;; amdgpu-corpus repo=pytorch/pytorch kind=compiled arch=gfx1100 opt=O3
	.text
	.amdgcn_target "amdgcn-amd-amdhsa--gfx1100"
	.amdhsa_code_object_version 6
	.section	.text._ZN2at6native29vectorized_elementwise_kernelILi16ENS0_13AUnaryFunctorIdddZZZNS0_12_GLOBAL__N_132hermite_polynomial_h_kernel_cudaERNS_18TensorIteratorBaseEENKUlvE_clEvENKUlvE_clEvEUlddE_EESt5arrayIPcLm2EEEEviT0_T1_,"axG",@progbits,_ZN2at6native29vectorized_elementwise_kernelILi16ENS0_13AUnaryFunctorIdddZZZNS0_12_GLOBAL__N_132hermite_polynomial_h_kernel_cudaERNS_18TensorIteratorBaseEENKUlvE_clEvENKUlvE_clEvEUlddE_EESt5arrayIPcLm2EEEEviT0_T1_,comdat
	.globl	_ZN2at6native29vectorized_elementwise_kernelILi16ENS0_13AUnaryFunctorIdddZZZNS0_12_GLOBAL__N_132hermite_polynomial_h_kernel_cudaERNS_18TensorIteratorBaseEENKUlvE_clEvENKUlvE_clEvEUlddE_EESt5arrayIPcLm2EEEEviT0_T1_ ; -- Begin function _ZN2at6native29vectorized_elementwise_kernelILi16ENS0_13AUnaryFunctorIdddZZZNS0_12_GLOBAL__N_132hermite_polynomial_h_kernel_cudaERNS_18TensorIteratorBaseEENKUlvE_clEvENKUlvE_clEvEUlddE_EESt5arrayIPcLm2EEEEviT0_T1_
	.p2align	8
	.type	_ZN2at6native29vectorized_elementwise_kernelILi16ENS0_13AUnaryFunctorIdddZZZNS0_12_GLOBAL__N_132hermite_polynomial_h_kernel_cudaERNS_18TensorIteratorBaseEENKUlvE_clEvENKUlvE_clEvEUlddE_EESt5arrayIPcLm2EEEEviT0_T1_,@function
_ZN2at6native29vectorized_elementwise_kernelILi16ENS0_13AUnaryFunctorIdddZZZNS0_12_GLOBAL__N_132hermite_polynomial_h_kernel_cudaERNS_18TensorIteratorBaseEENKUlvE_clEvENKUlvE_clEvEUlddE_EESt5arrayIPcLm2EEEEviT0_T1_: ; @_ZN2at6native29vectorized_elementwise_kernelILi16ENS0_13AUnaryFunctorIdddZZZNS0_12_GLOBAL__N_132hermite_polynomial_h_kernel_cudaERNS_18TensorIteratorBaseEENKUlvE_clEvENKUlvE_clEvEUlddE_EESt5arrayIPcLm2EEEEviT0_T1_
; %bb.0:
	s_clause 0x2
	s_load_b128 s[4:7], s[0:1], 0x10
	s_load_b32 s3, s[0:1], 0x0
	s_load_b64 s[8:9], s[0:1], 0x20
	s_lshl_b32 s2, s15, 10
	s_mov_b32 s0, -1
	s_waitcnt lgkmcnt(0)
	s_sub_i32 s10, s3, s2
	v_add_f64 v[9:10], s[4:5], s[4:5]
	s_cmpk_gt_i32 s10, 0x3ff
	s_cbranch_scc0 .LBB0_50
; %bb.1:
	s_ashr_i32 s3, s2, 31
	v_lshlrev_b32_e32 v17, 5, v0
	s_lshl_b64 s[0:1], s[2:3], 3
	s_mov_b32 s3, exec_lo
	s_add_u32 s12, s8, s0
	s_addc_u32 s13, s9, s1
	s_clause 0x1
	global_load_b128 v[1:4], v17, s[12:13]
	global_load_b128 v[5:8], v17, s[12:13] offset:16
	s_waitcnt vmcnt(1)
	v_trunc_f64_e32 v[11:12], v[1:2]
	v_cmp_class_f64_e64 vcc_lo, v[1:2], 0x1f8
	v_mov_b32_e32 v1, 0
	v_mov_b32_e32 v2, 0
	s_delay_alu instid0(VALU_DEP_4) | instskip(NEXT) | instid1(VALU_DEP_1)
	v_ldexp_f64 v[13:14], v[11:12], 0xffffffe0
	v_floor_f64_e32 v[13:14], v[13:14]
	s_delay_alu instid0(VALU_DEP_1) | instskip(SKIP_1) | instid1(VALU_DEP_2)
	v_fma_f64 v[11:12], 0xc1f00000, v[13:14], v[11:12]
	v_cvt_i32_f64_e32 v13, v[13:14]
	v_cvt_u32_f64_e32 v15, v[11:12]
	s_delay_alu instid0(VALU_DEP_2) | instskip(SKIP_1) | instid1(VALU_DEP_3)
	v_cndmask_b32_e32 v14, -1, v13, vcc_lo
	v_add_f64 v[11:12], s[4:5], s[4:5]
	v_cndmask_b32_e32 v13, -1, v15, vcc_lo
	s_delay_alu instid0(VALU_DEP_1)
	v_cmpx_lt_i64_e32 -1, v[13:14]
	s_cbranch_execz .LBB0_13
; %bb.2:
	v_mov_b32_e32 v1, 0
	v_mov_b32_e32 v2, 0x3ff00000
	s_mov_b32 s11, exec_lo
	v_cmpx_lt_i64_e32 0, v[13:14]
	s_cbranch_execz .LBB0_12
; %bb.3:
                                        ; implicit-def: $vgpr1_vgpr2
	s_mov_b32 s4, exec_lo
	v_cmpx_ne_u64_e32 1, v[13:14]
	s_xor_b32 s12, exec_lo, s4
	s_cbranch_execz .LBB0_9
; %bb.4:
	v_mov_b32_e32 v1, 0
	v_mov_b32_e32 v2, 0x7ff80000
	s_mov_b32 s13, exec_lo
	v_cmpx_gt_u64_e32 0x201, v[13:14]
	s_cbranch_execz .LBB0_8
; %bb.5:
	v_mov_b32_e32 v15, 0
	v_lshlrev_b64 v[13:14], 1, v[13:14]
	v_dual_mov_b32 v16, 0x3ff00000 :: v_dual_mov_b32 v1, v11
	v_mov_b32_e32 v2, v12
	s_mov_b64 s[4:5], 2
	s_mov_b32 s14, 0
	.p2align	6
.LBB0_6:                                ; =>This Inner Loop Header: Depth=1
	v_cvt_f64_u32_e32 v[18:19], s5
	v_cvt_f64_u32_e32 v[20:21], s4
	s_add_u32 s4, s4, 2
	s_addc_u32 s5, s5, 0
	s_delay_alu instid0(SALU_CYCLE_1) | instskip(SKIP_1) | instid1(VALU_DEP_3)
	v_cmp_ge_u64_e32 vcc_lo, s[4:5], v[13:14]
	s_or_b32 s14, vcc_lo, s14
	v_ldexp_f64 v[18:19], v[18:19], 32
	s_delay_alu instid0(VALU_DEP_1) | instskip(NEXT) | instid1(VALU_DEP_1)
	v_add_f64 v[18:19], v[18:19], v[20:21]
	v_mul_f64 v[15:16], v[15:16], v[18:19]
	v_dual_mov_b32 v19, v2 :: v_dual_mov_b32 v18, v1
	s_delay_alu instid0(VALU_DEP_1)
	v_fma_f64 v[1:2], v[11:12], v[18:19], -v[15:16]
	v_dual_mov_b32 v15, v18 :: v_dual_mov_b32 v16, v19
	s_and_not1_b32 exec_lo, exec_lo, s14
	s_cbranch_execnz .LBB0_6
; %bb.7:
	s_or_b32 exec_lo, exec_lo, s14
.LBB0_8:
	s_delay_alu instid0(SALU_CYCLE_1)
	s_or_b32 exec_lo, exec_lo, s13
.LBB0_9:
	s_and_not1_saveexec_b32 s4, s12
; %bb.10:
	v_dual_mov_b32 v1, v11 :: v_dual_mov_b32 v2, v12
; %bb.11:
	s_or_b32 exec_lo, exec_lo, s4
.LBB0_12:
	s_delay_alu instid0(SALU_CYCLE_1)
	s_or_b32 exec_lo, exec_lo, s11
.LBB0_13:
	s_delay_alu instid0(SALU_CYCLE_1)
	s_or_b32 exec_lo, exec_lo, s3
	v_trunc_f64_e32 v[13:14], v[3:4]
	v_cmp_class_f64_e64 vcc_lo, v[3:4], 0x1f8
	v_mov_b32_e32 v3, 0
	v_mov_b32_e32 v4, 0
	s_mov_b32 s3, exec_lo
	s_delay_alu instid0(VALU_DEP_4) | instskip(NEXT) | instid1(VALU_DEP_1)
	v_ldexp_f64 v[15:16], v[13:14], 0xffffffe0
	v_floor_f64_e32 v[15:16], v[15:16]
	s_delay_alu instid0(VALU_DEP_1) | instskip(SKIP_1) | instid1(VALU_DEP_2)
	v_fma_f64 v[13:14], 0xc1f00000, v[15:16], v[13:14]
	v_cvt_i32_f64_e32 v15, v[15:16]
	v_cvt_u32_f64_e32 v13, v[13:14]
	s_delay_alu instid0(VALU_DEP_1) | instskip(NEXT) | instid1(VALU_DEP_1)
	v_dual_cndmask_b32 v14, -1, v15 :: v_dual_cndmask_b32 v13, -1, v13
	v_cmpx_lt_i64_e32 -1, v[13:14]
	s_cbranch_execz .LBB0_25
; %bb.14:
	v_mov_b32_e32 v3, 0
	v_mov_b32_e32 v4, 0x3ff00000
	s_mov_b32 s11, exec_lo
	v_cmpx_lt_i64_e32 0, v[13:14]
	s_cbranch_execz .LBB0_24
; %bb.15:
	s_mov_b32 s4, exec_lo
	v_cmpx_ne_u64_e32 1, v[13:14]
	s_xor_b32 s12, exec_lo, s4
	s_cbranch_execz .LBB0_21
; %bb.16:
	v_mov_b32_e32 v3, 0
	v_mov_b32_e32 v4, 0x7ff80000
	s_mov_b32 s13, exec_lo
	v_cmpx_gt_u64_e32 0x201, v[13:14]
	s_cbranch_execz .LBB0_20
; %bb.17:
	v_mov_b32_e32 v15, 0
	v_lshlrev_b64 v[13:14], 1, v[13:14]
	v_dual_mov_b32 v16, 0x3ff00000 :: v_dual_mov_b32 v3, v11
	v_mov_b32_e32 v4, v12
	s_mov_b64 s[4:5], 2
	s_mov_b32 s14, 0
	.p2align	6
.LBB0_18:                               ; =>This Inner Loop Header: Depth=1
	v_cvt_f64_u32_e32 v[18:19], s5
	v_cvt_f64_u32_e32 v[20:21], s4
	s_add_u32 s4, s4, 2
	s_addc_u32 s5, s5, 0
	s_delay_alu instid0(SALU_CYCLE_1) | instskip(SKIP_1) | instid1(VALU_DEP_3)
	v_cmp_ge_u64_e32 vcc_lo, s[4:5], v[13:14]
	s_or_b32 s14, vcc_lo, s14
	v_ldexp_f64 v[18:19], v[18:19], 32
	s_delay_alu instid0(VALU_DEP_1) | instskip(NEXT) | instid1(VALU_DEP_1)
	v_add_f64 v[18:19], v[18:19], v[20:21]
	v_mul_f64 v[15:16], v[15:16], v[18:19]
	v_dual_mov_b32 v19, v4 :: v_dual_mov_b32 v18, v3
	s_delay_alu instid0(VALU_DEP_1)
	v_fma_f64 v[3:4], v[11:12], v[18:19], -v[15:16]
	v_dual_mov_b32 v15, v18 :: v_dual_mov_b32 v16, v19
	s_and_not1_b32 exec_lo, exec_lo, s14
	s_cbranch_execnz .LBB0_18
; %bb.19:
	s_or_b32 exec_lo, exec_lo, s14
.LBB0_20:
	s_delay_alu instid0(SALU_CYCLE_1)
	s_or_b32 exec_lo, exec_lo, s13
.LBB0_21:
	s_and_not1_saveexec_b32 s4, s12
; %bb.22:
	v_dual_mov_b32 v3, v11 :: v_dual_mov_b32 v4, v12
; %bb.23:
	s_or_b32 exec_lo, exec_lo, s4
.LBB0_24:
	s_delay_alu instid0(SALU_CYCLE_1)
	s_or_b32 exec_lo, exec_lo, s11
.LBB0_25:
	s_delay_alu instid0(SALU_CYCLE_1)
	s_or_b32 exec_lo, exec_lo, s3
	s_waitcnt vmcnt(0)
	v_trunc_f64_e32 v[13:14], v[5:6]
	v_cmp_class_f64_e64 vcc_lo, v[5:6], 0x1f8
	v_mov_b32_e32 v5, 0
	v_mov_b32_e32 v6, 0
	s_mov_b32 s3, exec_lo
	s_delay_alu instid0(VALU_DEP_4) | instskip(NEXT) | instid1(VALU_DEP_1)
	v_ldexp_f64 v[15:16], v[13:14], 0xffffffe0
	v_floor_f64_e32 v[15:16], v[15:16]
	s_delay_alu instid0(VALU_DEP_1) | instskip(SKIP_1) | instid1(VALU_DEP_2)
	v_fma_f64 v[13:14], 0xc1f00000, v[15:16], v[13:14]
	v_cvt_i32_f64_e32 v15, v[15:16]
	v_cvt_u32_f64_e32 v13, v[13:14]
	s_delay_alu instid0(VALU_DEP_1) | instskip(NEXT) | instid1(VALU_DEP_1)
	v_dual_cndmask_b32 v14, -1, v15 :: v_dual_cndmask_b32 v13, -1, v13
	v_cmpx_lt_i64_e32 -1, v[13:14]
	s_cbranch_execz .LBB0_37
; %bb.26:
	v_mov_b32_e32 v5, 0
	v_mov_b32_e32 v6, 0x3ff00000
	s_mov_b32 s11, exec_lo
	v_cmpx_lt_i64_e32 0, v[13:14]
	s_cbranch_execz .LBB0_36
; %bb.27:
                                        ; implicit-def: $vgpr5_vgpr6
	s_mov_b32 s4, exec_lo
	v_cmpx_ne_u64_e32 1, v[13:14]
	s_xor_b32 s12, exec_lo, s4
	s_cbranch_execz .LBB0_33
; %bb.28:
	v_mov_b32_e32 v5, 0
	v_mov_b32_e32 v6, 0x7ff80000
	s_mov_b32 s13, exec_lo
	v_cmpx_gt_u64_e32 0x201, v[13:14]
	s_cbranch_execz .LBB0_32
; %bb.29:
	v_mov_b32_e32 v15, 0
	v_lshlrev_b64 v[13:14], 1, v[13:14]
	v_dual_mov_b32 v16, 0x3ff00000 :: v_dual_mov_b32 v5, v11
	v_mov_b32_e32 v6, v12
	s_mov_b64 s[4:5], 2
	s_mov_b32 s14, 0
	.p2align	6
.LBB0_30:                               ; =>This Inner Loop Header: Depth=1
	v_cvt_f64_u32_e32 v[18:19], s5
	v_cvt_f64_u32_e32 v[20:21], s4
	s_add_u32 s4, s4, 2
	s_addc_u32 s5, s5, 0
	s_delay_alu instid0(SALU_CYCLE_1) | instskip(SKIP_1) | instid1(VALU_DEP_3)
	v_cmp_ge_u64_e32 vcc_lo, s[4:5], v[13:14]
	s_or_b32 s14, vcc_lo, s14
	v_ldexp_f64 v[18:19], v[18:19], 32
	s_delay_alu instid0(VALU_DEP_1) | instskip(NEXT) | instid1(VALU_DEP_1)
	v_add_f64 v[18:19], v[18:19], v[20:21]
	v_mul_f64 v[15:16], v[15:16], v[18:19]
	v_dual_mov_b32 v19, v6 :: v_dual_mov_b32 v18, v5
	s_delay_alu instid0(VALU_DEP_1)
	v_fma_f64 v[5:6], v[11:12], v[18:19], -v[15:16]
	v_dual_mov_b32 v15, v18 :: v_dual_mov_b32 v16, v19
	s_and_not1_b32 exec_lo, exec_lo, s14
	s_cbranch_execnz .LBB0_30
; %bb.31:
	s_or_b32 exec_lo, exec_lo, s14
.LBB0_32:
	s_delay_alu instid0(SALU_CYCLE_1)
	s_or_b32 exec_lo, exec_lo, s13
.LBB0_33:
	s_and_not1_saveexec_b32 s4, s12
; %bb.34:
	v_dual_mov_b32 v5, v11 :: v_dual_mov_b32 v6, v12
; %bb.35:
	s_or_b32 exec_lo, exec_lo, s4
.LBB0_36:
	s_delay_alu instid0(SALU_CYCLE_1)
	s_or_b32 exec_lo, exec_lo, s11
.LBB0_37:
	s_delay_alu instid0(SALU_CYCLE_1)
	s_or_b32 exec_lo, exec_lo, s3
	v_trunc_f64_e32 v[13:14], v[7:8]
	v_cmp_class_f64_e64 vcc_lo, v[7:8], 0x1f8
	v_mov_b32_e32 v7, 0
	v_mov_b32_e32 v8, 0
	s_mov_b32 s3, exec_lo
	s_delay_alu instid0(VALU_DEP_4) | instskip(NEXT) | instid1(VALU_DEP_1)
	v_ldexp_f64 v[15:16], v[13:14], 0xffffffe0
	v_floor_f64_e32 v[15:16], v[15:16]
	s_delay_alu instid0(VALU_DEP_1) | instskip(SKIP_1) | instid1(VALU_DEP_2)
	v_fma_f64 v[13:14], 0xc1f00000, v[15:16], v[13:14]
	v_cvt_i32_f64_e32 v15, v[15:16]
	v_cvt_u32_f64_e32 v13, v[13:14]
	s_delay_alu instid0(VALU_DEP_1) | instskip(NEXT) | instid1(VALU_DEP_1)
	v_dual_cndmask_b32 v14, -1, v15 :: v_dual_cndmask_b32 v13, -1, v13
	v_cmpx_lt_i64_e32 -1, v[13:14]
	s_cbranch_execz .LBB0_49
; %bb.38:
	v_mov_b32_e32 v7, 0
	v_mov_b32_e32 v8, 0x3ff00000
	s_mov_b32 s11, exec_lo
	v_cmpx_lt_i64_e32 0, v[13:14]
	s_cbranch_execz .LBB0_48
; %bb.39:
	s_mov_b32 s4, exec_lo
	v_cmpx_ne_u64_e32 1, v[13:14]
	s_xor_b32 s12, exec_lo, s4
	s_cbranch_execz .LBB0_45
; %bb.40:
	v_mov_b32_e32 v7, 0
	v_mov_b32_e32 v8, 0x7ff80000
	s_mov_b32 s13, exec_lo
	v_cmpx_gt_u64_e32 0x201, v[13:14]
	s_cbranch_execz .LBB0_44
; %bb.41:
	v_mov_b32_e32 v15, 0
	v_lshlrev_b64 v[13:14], 1, v[13:14]
	v_dual_mov_b32 v16, 0x3ff00000 :: v_dual_mov_b32 v7, v11
	v_mov_b32_e32 v8, v12
	s_mov_b64 s[4:5], 2
	s_mov_b32 s14, 0
	.p2align	6
.LBB0_42:                               ; =>This Inner Loop Header: Depth=1
	v_cvt_f64_u32_e32 v[18:19], s5
	v_cvt_f64_u32_e32 v[20:21], s4
	s_add_u32 s4, s4, 2
	s_addc_u32 s5, s5, 0
	s_delay_alu instid0(SALU_CYCLE_1) | instskip(SKIP_1) | instid1(VALU_DEP_3)
	v_cmp_ge_u64_e32 vcc_lo, s[4:5], v[13:14]
	s_or_b32 s14, vcc_lo, s14
	v_ldexp_f64 v[18:19], v[18:19], 32
	s_delay_alu instid0(VALU_DEP_1) | instskip(NEXT) | instid1(VALU_DEP_1)
	v_add_f64 v[18:19], v[18:19], v[20:21]
	v_mul_f64 v[15:16], v[15:16], v[18:19]
	v_dual_mov_b32 v19, v8 :: v_dual_mov_b32 v18, v7
	s_delay_alu instid0(VALU_DEP_1)
	v_fma_f64 v[7:8], v[11:12], v[18:19], -v[15:16]
	v_dual_mov_b32 v15, v18 :: v_dual_mov_b32 v16, v19
	s_and_not1_b32 exec_lo, exec_lo, s14
	s_cbranch_execnz .LBB0_42
; %bb.43:
	s_or_b32 exec_lo, exec_lo, s14
.LBB0_44:
	s_delay_alu instid0(SALU_CYCLE_1)
	s_or_b32 exec_lo, exec_lo, s13
                                        ; implicit-def: $vgpr11_vgpr12
.LBB0_45:
	s_and_not1_saveexec_b32 s4, s12
; %bb.46:
	v_dual_mov_b32 v7, v11 :: v_dual_mov_b32 v8, v12
; %bb.47:
	s_or_b32 exec_lo, exec_lo, s4
.LBB0_48:
	s_delay_alu instid0(SALU_CYCLE_1)
	s_or_b32 exec_lo, exec_lo, s11
.LBB0_49:
	s_delay_alu instid0(SALU_CYCLE_1)
	s_or_b32 exec_lo, exec_lo, s3
	s_add_u32 s4, s6, s0
	s_addc_u32 s5, s7, s1
	s_mov_b32 s0, 0
	s_clause 0x1
	global_store_b128 v17, v[1:4], s[4:5]
	global_store_b128 v17, v[5:8], s[4:5] offset:16
.LBB0_50:
	s_and_b32 vcc_lo, exec_lo, s0
	s_cbranch_vccz .LBB0_107
; %bb.51:
	v_dual_mov_b32 v16, 0 :: v_dual_mov_b32 v1, v0
	v_mov_b32_e32 v17, 0
	v_cmp_gt_i32_e32 vcc_lo, s10, v0
	v_or_b32_e32 v11, s2, v0
	v_or_b32_e32 v20, 0x100, v0
	s_delay_alu instid0(VALU_DEP_4)
	v_dual_mov_b32 v19, v17 :: v_dual_mov_b32 v18, v16
	s_and_saveexec_b32 s1, vcc_lo
	s_cbranch_execz .LBB0_53
; %bb.52:
	v_mov_b32_e32 v12, 0
	s_delay_alu instid0(VALU_DEP_1) | instskip(NEXT) | instid1(VALU_DEP_1)
	v_lshlrev_b64 v[1:2], 3, v[11:12]
	v_add_co_u32 v1, s0, s8, v1
	s_delay_alu instid0(VALU_DEP_1)
	v_add_co_ci_u32_e64 v2, s0, s9, v2, s0
	global_load_b64 v[18:19], v[1:2], off
	v_or_b32_e32 v1, 0x100, v0
.LBB0_53:
	s_or_b32 exec_lo, exec_lo, s1
	s_delay_alu instid0(SALU_CYCLE_1) | instskip(NEXT) | instid1(VALU_DEP_1)
	s_mov_b32 s1, exec_lo
	v_cmpx_gt_i32_e64 s10, v1
	s_cbranch_execz .LBB0_55
; %bb.54:
	v_dual_mov_b32 v3, 0 :: v_dual_add_nc_u32 v2, s2, v1
	v_add_nc_u32_e32 v1, 0x100, v1
	s_delay_alu instid0(VALU_DEP_2) | instskip(NEXT) | instid1(VALU_DEP_1)
	v_lshlrev_b64 v[2:3], 3, v[2:3]
	v_add_co_u32 v2, s0, s8, v2
	s_delay_alu instid0(VALU_DEP_1)
	v_add_co_ci_u32_e64 v3, s0, s9, v3, s0
	global_load_b64 v[16:17], v[2:3], off
.LBB0_55:
	s_or_b32 exec_lo, exec_lo, s1
	v_mov_b32_e32 v12, 0
	v_mov_b32_e32 v13, 0
	s_mov_b32 s1, exec_lo
	s_delay_alu instid0(VALU_DEP_1)
	v_dual_mov_b32 v15, v13 :: v_dual_mov_b32 v14, v12
	v_cmpx_gt_i32_e64 s10, v1
	s_cbranch_execnz .LBB0_59
; %bb.56:
	s_or_b32 exec_lo, exec_lo, s1
	s_delay_alu instid0(SALU_CYCLE_1)
	s_mov_b32 s1, exec_lo
	v_cmpx_gt_i32_e64 s10, v1
	s_cbranch_execnz .LBB0_60
.LBB0_57:
	s_or_b32 exec_lo, exec_lo, s1
                                        ; implicit-def: $vgpr1_vgpr2_vgpr3_vgpr4_vgpr5_vgpr6_vgpr7_vgpr8
	s_and_saveexec_b32 s1, vcc_lo
	s_cbranch_execnz .LBB0_61
.LBB0_58:
	s_or_b32 exec_lo, exec_lo, s1
	s_delay_alu instid0(SALU_CYCLE_1)
	s_mov_b32 s1, exec_lo
	v_cmpx_gt_i32_e64 s10, v20
	s_cbranch_execnz .LBB0_74
	s_branch .LBB0_87
.LBB0_59:
	v_dual_mov_b32 v3, 0 :: v_dual_add_nc_u32 v2, s2, v1
	v_add_nc_u32_e32 v1, 0x100, v1
	s_delay_alu instid0(VALU_DEP_2) | instskip(NEXT) | instid1(VALU_DEP_1)
	v_lshlrev_b64 v[2:3], 3, v[2:3]
	v_add_co_u32 v2, s0, s8, v2
	s_delay_alu instid0(VALU_DEP_1) | instskip(SKIP_2) | instid1(SALU_CYCLE_1)
	v_add_co_ci_u32_e64 v3, s0, s9, v3, s0
	global_load_b64 v[14:15], v[2:3], off
	s_or_b32 exec_lo, exec_lo, s1
	s_mov_b32 s1, exec_lo
	v_cmpx_gt_i32_e64 s10, v1
	s_cbranch_execz .LBB0_57
.LBB0_60:
	v_dual_mov_b32 v2, 0 :: v_dual_add_nc_u32 v1, s2, v1
	s_delay_alu instid0(VALU_DEP_1) | instskip(NEXT) | instid1(VALU_DEP_1)
	v_lshlrev_b64 v[1:2], 3, v[1:2]
	v_add_co_u32 v1, s0, s8, v1
	s_delay_alu instid0(VALU_DEP_1)
	v_add_co_ci_u32_e64 v2, s0, s9, v2, s0
	global_load_b64 v[12:13], v[1:2], off
	s_or_b32 exec_lo, exec_lo, s1
                                        ; implicit-def: $vgpr1_vgpr2_vgpr3_vgpr4_vgpr5_vgpr6_vgpr7_vgpr8
	s_and_saveexec_b32 s1, vcc_lo
	s_cbranch_execz .LBB0_58
.LBB0_61:
	s_waitcnt vmcnt(0)
	v_trunc_f64_e32 v[1:2], v[18:19]
	v_cmp_class_f64_e64 s0, v[18:19], 0x1f8
	s_mov_b32 s3, exec_lo
	s_delay_alu instid0(VALU_DEP_2) | instskip(NEXT) | instid1(VALU_DEP_1)
	v_ldexp_f64 v[3:4], v[1:2], 0xffffffe0
	v_floor_f64_e32 v[3:4], v[3:4]
	s_delay_alu instid0(VALU_DEP_1) | instskip(SKIP_1) | instid1(VALU_DEP_2)
	v_fma_f64 v[1:2], 0xc1f00000, v[3:4], v[1:2]
	v_cvt_i32_f64_e32 v3, v[3:4]
	v_cvt_u32_f64_e32 v1, v[1:2]
	s_delay_alu instid0(VALU_DEP_2) | instskip(NEXT) | instid1(VALU_DEP_2)
	v_cndmask_b32_e64 v4, -1, v3, s0
	v_cndmask_b32_e64 v3, -1, v1, s0
	v_mov_b32_e32 v1, 0
	v_mov_b32_e32 v2, 0
	s_delay_alu instid0(VALU_DEP_3)
	v_cmpx_lt_i64_e32 -1, v[3:4]
	s_cbranch_execz .LBB0_73
; %bb.62:
	v_mov_b32_e32 v1, 0
	v_mov_b32_e32 v2, 0x3ff00000
	s_mov_b32 s8, exec_lo
	v_cmpx_lt_i64_e32 0, v[3:4]
	s_cbranch_execz .LBB0_72
; %bb.63:
                                        ; implicit-def: $vgpr1_vgpr2
	s_mov_b32 s4, exec_lo
	v_cmpx_ne_u64_e32 1, v[3:4]
	s_xor_b32 s9, exec_lo, s4
	s_cbranch_execz .LBB0_69
; %bb.64:
	v_mov_b32_e32 v1, 0
	v_mov_b32_e32 v2, 0x7ff80000
	s_mov_b32 s11, exec_lo
	v_cmpx_gt_u64_e32 0x201, v[3:4]
	s_cbranch_execz .LBB0_68
; %bb.65:
	v_mov_b32_e32 v5, 0
	v_lshlrev_b64 v[3:4], 1, v[3:4]
	v_dual_mov_b32 v6, 0x3ff00000 :: v_dual_mov_b32 v1, v9
	v_mov_b32_e32 v2, v10
	s_mov_b64 s[4:5], 2
	s_mov_b32 s12, 0
	.p2align	6
.LBB0_66:                               ; =>This Inner Loop Header: Depth=1
	v_cvt_f64_u32_e32 v[7:8], s5
	v_cvt_f64_u32_e32 v[18:19], s4
	s_add_u32 s4, s4, 2
	s_addc_u32 s5, s5, 0
	s_delay_alu instid0(SALU_CYCLE_1) | instskip(NEXT) | instid1(VALU_DEP_1)
	v_cmp_ge_u64_e64 s0, s[4:5], v[3:4]
	s_or_b32 s12, s0, s12
	s_delay_alu instid0(VALU_DEP_3) | instskip(NEXT) | instid1(VALU_DEP_1)
	v_ldexp_f64 v[7:8], v[7:8], 32
	v_add_f64 v[7:8], v[7:8], v[18:19]
	s_delay_alu instid0(VALU_DEP_1) | instskip(SKIP_1) | instid1(VALU_DEP_1)
	v_mul_f64 v[5:6], v[5:6], v[7:8]
	v_dual_mov_b32 v8, v2 :: v_dual_mov_b32 v7, v1
	v_fma_f64 v[1:2], v[9:10], v[7:8], -v[5:6]
	v_dual_mov_b32 v5, v7 :: v_dual_mov_b32 v6, v8
	s_and_not1_b32 exec_lo, exec_lo, s12
	s_cbranch_execnz .LBB0_66
; %bb.67:
	s_or_b32 exec_lo, exec_lo, s12
.LBB0_68:
	s_delay_alu instid0(SALU_CYCLE_1)
	s_or_b32 exec_lo, exec_lo, s11
.LBB0_69:
	s_and_not1_saveexec_b32 s0, s9
; %bb.70:
	v_dual_mov_b32 v1, v9 :: v_dual_mov_b32 v2, v10
; %bb.71:
	s_or_b32 exec_lo, exec_lo, s0
.LBB0_72:
	s_delay_alu instid0(SALU_CYCLE_1)
	s_or_b32 exec_lo, exec_lo, s8
.LBB0_73:
	s_delay_alu instid0(SALU_CYCLE_1) | instskip(NEXT) | instid1(SALU_CYCLE_1)
	s_or_b32 exec_lo, exec_lo, s3
	s_or_b32 exec_lo, exec_lo, s1
	s_delay_alu instid0(SALU_CYCLE_1)
	s_mov_b32 s1, exec_lo
	v_cmpx_gt_i32_e64 s10, v20
	s_cbranch_execz .LBB0_87
.LBB0_74:
	s_waitcnt vmcnt(0)
	v_trunc_f64_e32 v[3:4], v[16:17]
	v_cmp_class_f64_e64 s0, v[16:17], 0x1f8
	s_mov_b32 s3, exec_lo
	s_delay_alu instid0(VALU_DEP_2) | instskip(NEXT) | instid1(VALU_DEP_1)
	v_ldexp_f64 v[18:19], v[3:4], 0xffffffe0
	v_floor_f64_e32 v[18:19], v[18:19]
	s_delay_alu instid0(VALU_DEP_1) | instskip(SKIP_1) | instid1(VALU_DEP_2)
	v_fma_f64 v[3:4], 0xc1f00000, v[18:19], v[3:4]
	v_cvt_i32_f64_e32 v18, v[18:19]
	v_cvt_u32_f64_e32 v3, v[3:4]
	s_delay_alu instid0(VALU_DEP_2) | instskip(NEXT) | instid1(VALU_DEP_2)
	v_cndmask_b32_e64 v17, -1, v18, s0
	v_cndmask_b32_e64 v16, -1, v3, s0
	v_mov_b32_e32 v3, 0
	v_mov_b32_e32 v4, 0
	s_delay_alu instid0(VALU_DEP_3)
	v_cmpx_lt_i64_e32 -1, v[16:17]
	s_cbranch_execz .LBB0_86
; %bb.75:
	v_mov_b32_e32 v3, 0
	v_mov_b32_e32 v4, 0x3ff00000
	s_mov_b32 s8, exec_lo
	v_cmpx_lt_i64_e32 0, v[16:17]
	s_cbranch_execz .LBB0_85
; %bb.76:
	s_mov_b32 s4, exec_lo
	v_cmpx_ne_u64_e32 1, v[16:17]
	s_xor_b32 s9, exec_lo, s4
	s_cbranch_execz .LBB0_82
; %bb.77:
	v_mov_b32_e32 v3, 0
	v_mov_b32_e32 v4, 0x7ff80000
	s_mov_b32 s11, exec_lo
	v_cmpx_gt_u64_e32 0x201, v[16:17]
	s_cbranch_execz .LBB0_81
; %bb.78:
	v_lshlrev_b64 v[16:17], 1, v[16:17]
	v_dual_mov_b32 v18, 0 :: v_dual_mov_b32 v3, v9
	v_dual_mov_b32 v19, 0x3ff00000 :: v_dual_mov_b32 v4, v10
	s_mov_b64 s[4:5], 2
	s_mov_b32 s12, 0
	.p2align	6
.LBB0_79:                               ; =>This Inner Loop Header: Depth=1
	v_cvt_f64_u32_e32 v[21:22], s5
	v_cvt_f64_u32_e32 v[23:24], s4
	s_add_u32 s4, s4, 2
	s_addc_u32 s5, s5, 0
	s_delay_alu instid0(SALU_CYCLE_1) | instskip(NEXT) | instid1(VALU_DEP_1)
	v_cmp_ge_u64_e64 s0, s[4:5], v[16:17]
	s_or_b32 s12, s0, s12
	s_delay_alu instid0(VALU_DEP_3) | instskip(NEXT) | instid1(VALU_DEP_1)
	v_ldexp_f64 v[21:22], v[21:22], 32
	v_add_f64 v[21:22], v[21:22], v[23:24]
	s_delay_alu instid0(VALU_DEP_1) | instskip(SKIP_1) | instid1(VALU_DEP_1)
	v_mul_f64 v[18:19], v[18:19], v[21:22]
	v_dual_mov_b32 v22, v4 :: v_dual_mov_b32 v21, v3
	v_fma_f64 v[3:4], v[9:10], v[21:22], -v[18:19]
	v_dual_mov_b32 v18, v21 :: v_dual_mov_b32 v19, v22
	s_and_not1_b32 exec_lo, exec_lo, s12
	s_cbranch_execnz .LBB0_79
; %bb.80:
	s_or_b32 exec_lo, exec_lo, s12
.LBB0_81:
	s_delay_alu instid0(SALU_CYCLE_1)
	s_or_b32 exec_lo, exec_lo, s11
.LBB0_82:
	s_and_not1_saveexec_b32 s0, s9
; %bb.83:
	v_dual_mov_b32 v3, v9 :: v_dual_mov_b32 v4, v10
; %bb.84:
	s_or_b32 exec_lo, exec_lo, s0
.LBB0_85:
	s_delay_alu instid0(SALU_CYCLE_1)
	s_or_b32 exec_lo, exec_lo, s8
.LBB0_86:
	s_delay_alu instid0(SALU_CYCLE_1)
	s_or_b32 exec_lo, exec_lo, s3
.LBB0_87:
	s_delay_alu instid0(SALU_CYCLE_1) | instskip(SKIP_3) | instid1(VALU_DEP_1)
	s_or_b32 exec_lo, exec_lo, s1
	s_waitcnt vmcnt(0)
	v_or_b32_e32 v16, 0x200, v0
	s_mov_b32 s1, exec_lo
	v_cmpx_gt_i32_e64 s10, v16
	s_cbranch_execz .LBB0_101
; %bb.88:
	v_trunc_f64_e32 v[5:6], v[14:15]
	v_cmp_class_f64_e64 s0, v[14:15], 0x1f8
	s_mov_b32 s3, exec_lo
	s_delay_alu instid0(VALU_DEP_2) | instskip(NEXT) | instid1(VALU_DEP_1)
	v_ldexp_f64 v[16:17], v[5:6], 0xffffffe0
	v_floor_f64_e32 v[16:17], v[16:17]
	s_delay_alu instid0(VALU_DEP_1) | instskip(SKIP_1) | instid1(VALU_DEP_2)
	v_fma_f64 v[5:6], 0xc1f00000, v[16:17], v[5:6]
	v_cvt_i32_f64_e32 v16, v[16:17]
	v_cvt_u32_f64_e32 v5, v[5:6]
	s_delay_alu instid0(VALU_DEP_2) | instskip(NEXT) | instid1(VALU_DEP_2)
	v_cndmask_b32_e64 v15, -1, v16, s0
	v_cndmask_b32_e64 v14, -1, v5, s0
	v_mov_b32_e32 v5, 0
	v_mov_b32_e32 v6, 0
	s_delay_alu instid0(VALU_DEP_3)
	v_cmpx_lt_i64_e32 -1, v[14:15]
	s_cbranch_execz .LBB0_100
; %bb.89:
	v_mov_b32_e32 v5, 0
	v_mov_b32_e32 v6, 0x3ff00000
	s_mov_b32 s8, exec_lo
	v_cmpx_lt_i64_e32 0, v[14:15]
	s_cbranch_execz .LBB0_99
; %bb.90:
	s_mov_b32 s4, exec_lo
	v_cmpx_ne_u64_e32 1, v[14:15]
	s_xor_b32 s9, exec_lo, s4
	s_cbranch_execz .LBB0_96
; %bb.91:
	v_mov_b32_e32 v5, 0
	v_mov_b32_e32 v6, 0x7ff80000
	s_mov_b32 s11, exec_lo
	v_cmpx_gt_u64_e32 0x201, v[14:15]
	s_cbranch_execz .LBB0_95
; %bb.92:
	v_lshlrev_b64 v[14:15], 1, v[14:15]
	v_dual_mov_b32 v16, 0 :: v_dual_mov_b32 v5, v9
	v_dual_mov_b32 v17, 0x3ff00000 :: v_dual_mov_b32 v6, v10
	s_mov_b64 s[4:5], 2
	s_mov_b32 s12, 0
	.p2align	6
.LBB0_93:                               ; =>This Inner Loop Header: Depth=1
	v_cvt_f64_u32_e32 v[18:19], s5
	v_cvt_f64_u32_e32 v[21:22], s4
	s_add_u32 s4, s4, 2
	s_addc_u32 s5, s5, 0
	s_delay_alu instid0(SALU_CYCLE_1) | instskip(NEXT) | instid1(VALU_DEP_1)
	v_cmp_ge_u64_e64 s0, s[4:5], v[14:15]
	s_or_b32 s12, s0, s12
	s_delay_alu instid0(VALU_DEP_3) | instskip(NEXT) | instid1(VALU_DEP_1)
	v_ldexp_f64 v[18:19], v[18:19], 32
	v_add_f64 v[18:19], v[18:19], v[21:22]
	s_delay_alu instid0(VALU_DEP_1) | instskip(SKIP_1) | instid1(VALU_DEP_1)
	v_mul_f64 v[16:17], v[16:17], v[18:19]
	v_dual_mov_b32 v19, v6 :: v_dual_mov_b32 v18, v5
	v_fma_f64 v[5:6], v[9:10], v[18:19], -v[16:17]
	v_dual_mov_b32 v16, v18 :: v_dual_mov_b32 v17, v19
	s_and_not1_b32 exec_lo, exec_lo, s12
	s_cbranch_execnz .LBB0_93
; %bb.94:
	s_or_b32 exec_lo, exec_lo, s12
.LBB0_95:
	s_delay_alu instid0(SALU_CYCLE_1)
	s_or_b32 exec_lo, exec_lo, s11
.LBB0_96:
	s_and_not1_saveexec_b32 s0, s9
; %bb.97:
	v_dual_mov_b32 v5, v9 :: v_dual_mov_b32 v6, v10
; %bb.98:
	s_or_b32 exec_lo, exec_lo, s0
.LBB0_99:
	s_delay_alu instid0(SALU_CYCLE_1)
	s_or_b32 exec_lo, exec_lo, s8
.LBB0_100:
	s_delay_alu instid0(SALU_CYCLE_1)
	s_or_b32 exec_lo, exec_lo, s3
.LBB0_101:
	s_delay_alu instid0(SALU_CYCLE_1) | instskip(SKIP_2) | instid1(VALU_DEP_1)
	s_or_b32 exec_lo, exec_lo, s1
	v_or_b32_e32 v14, 0x300, v0
	s_mov_b32 s1, exec_lo
	v_cmpx_gt_i32_e64 s10, v14
	s_cbranch_execnz .LBB0_108
; %bb.102:
	s_or_b32 exec_lo, exec_lo, s1
	s_and_saveexec_b32 s0, vcc_lo
	s_delay_alu instid0(SALU_CYCLE_1)
	s_xor_b32 s0, exec_lo, s0
	s_cbranch_execnz .LBB0_121
.LBB0_103:
	s_or_b32 exec_lo, exec_lo, s0
	s_delay_alu instid0(SALU_CYCLE_1)
	s_mov_b32 s0, exec_lo
	v_cmpx_gt_i32_e64 s10, v0
	s_cbranch_execnz .LBB0_122
.LBB0_104:
	s_or_b32 exec_lo, exec_lo, s0
	s_delay_alu instid0(SALU_CYCLE_1)
	s_mov_b32 s0, exec_lo
	v_cmpx_gt_i32_e64 s10, v0
	s_cbranch_execnz .LBB0_123
.LBB0_105:
	s_or_b32 exec_lo, exec_lo, s0
	s_delay_alu instid0(SALU_CYCLE_1)
	s_mov_b32 s0, exec_lo
	v_cmpx_gt_i32_e64 s10, v0
	s_cbranch_execz .LBB0_107
.LBB0_106:
	v_dual_mov_b32 v1, 0 :: v_dual_add_nc_u32 v0, s2, v0
	s_delay_alu instid0(VALU_DEP_1) | instskip(NEXT) | instid1(VALU_DEP_1)
	v_lshlrev_b64 v[0:1], 3, v[0:1]
	v_add_co_u32 v0, vcc_lo, s6, v0
	s_delay_alu instid0(VALU_DEP_2)
	v_add_co_ci_u32_e32 v1, vcc_lo, s7, v1, vcc_lo
	global_store_b64 v[0:1], v[7:8], off
.LBB0_107:
	s_nop 0
	s_sendmsg sendmsg(MSG_DEALLOC_VGPRS)
	s_endpgm
.LBB0_108:
	v_trunc_f64_e32 v[7:8], v[12:13]
	v_cmp_class_f64_e64 s0, v[12:13], 0x1f8
	s_mov_b32 s3, exec_lo
	s_delay_alu instid0(VALU_DEP_2) | instskip(NEXT) | instid1(VALU_DEP_1)
	v_ldexp_f64 v[14:15], v[7:8], 0xffffffe0
	v_floor_f64_e32 v[14:15], v[14:15]
	s_delay_alu instid0(VALU_DEP_1) | instskip(SKIP_1) | instid1(VALU_DEP_2)
	v_fma_f64 v[7:8], 0xc1f00000, v[14:15], v[7:8]
	v_cvt_i32_f64_e32 v14, v[14:15]
	v_cvt_u32_f64_e32 v7, v[7:8]
	s_delay_alu instid0(VALU_DEP_2) | instskip(NEXT) | instid1(VALU_DEP_2)
	v_cndmask_b32_e64 v13, -1, v14, s0
	v_cndmask_b32_e64 v12, -1, v7, s0
	v_mov_b32_e32 v7, 0
	v_mov_b32_e32 v8, 0
	s_delay_alu instid0(VALU_DEP_3)
	v_cmpx_lt_i64_e32 -1, v[12:13]
	s_cbranch_execz .LBB0_120
; %bb.109:
	v_mov_b32_e32 v7, 0
	v_mov_b32_e32 v8, 0x3ff00000
	s_mov_b32 s8, exec_lo
	v_cmpx_lt_i64_e32 0, v[12:13]
	s_cbranch_execz .LBB0_119
; %bb.110:
	s_mov_b32 s4, exec_lo
	v_cmpx_ne_u64_e32 1, v[12:13]
	s_xor_b32 s9, exec_lo, s4
	s_cbranch_execz .LBB0_116
; %bb.111:
	v_mov_b32_e32 v7, 0
	v_mov_b32_e32 v8, 0x7ff80000
	s_mov_b32 s11, exec_lo
	v_cmpx_gt_u64_e32 0x201, v[12:13]
	s_cbranch_execz .LBB0_115
; %bb.112:
	v_lshlrev_b64 v[12:13], 1, v[12:13]
	v_dual_mov_b32 v14, 0 :: v_dual_mov_b32 v7, v9
	v_dual_mov_b32 v15, 0x3ff00000 :: v_dual_mov_b32 v8, v10
	s_mov_b64 s[4:5], 2
	s_mov_b32 s12, 0
	.p2align	6
.LBB0_113:                              ; =>This Inner Loop Header: Depth=1
	v_cvt_f64_u32_e32 v[16:17], s5
	v_cvt_f64_u32_e32 v[18:19], s4
	s_add_u32 s4, s4, 2
	s_addc_u32 s5, s5, 0
	s_delay_alu instid0(SALU_CYCLE_1) | instskip(NEXT) | instid1(VALU_DEP_1)
	v_cmp_ge_u64_e64 s0, s[4:5], v[12:13]
	s_or_b32 s12, s0, s12
	s_delay_alu instid0(VALU_DEP_3) | instskip(NEXT) | instid1(VALU_DEP_1)
	v_ldexp_f64 v[16:17], v[16:17], 32
	v_add_f64 v[16:17], v[16:17], v[18:19]
	s_delay_alu instid0(VALU_DEP_1) | instskip(SKIP_1) | instid1(VALU_DEP_1)
	v_mul_f64 v[14:15], v[14:15], v[16:17]
	v_dual_mov_b32 v17, v8 :: v_dual_mov_b32 v16, v7
	v_fma_f64 v[7:8], v[9:10], v[16:17], -v[14:15]
	v_dual_mov_b32 v14, v16 :: v_dual_mov_b32 v15, v17
	s_and_not1_b32 exec_lo, exec_lo, s12
	s_cbranch_execnz .LBB0_113
; %bb.114:
	s_or_b32 exec_lo, exec_lo, s12
.LBB0_115:
	s_delay_alu instid0(SALU_CYCLE_1)
	s_or_b32 exec_lo, exec_lo, s11
                                        ; implicit-def: $vgpr9_vgpr10
.LBB0_116:
	s_and_not1_saveexec_b32 s0, s9
; %bb.117:
	v_dual_mov_b32 v7, v9 :: v_dual_mov_b32 v8, v10
; %bb.118:
	s_or_b32 exec_lo, exec_lo, s0
.LBB0_119:
	s_delay_alu instid0(SALU_CYCLE_1)
	s_or_b32 exec_lo, exec_lo, s8
.LBB0_120:
	s_delay_alu instid0(SALU_CYCLE_1) | instskip(NEXT) | instid1(SALU_CYCLE_1)
	s_or_b32 exec_lo, exec_lo, s3
	s_or_b32 exec_lo, exec_lo, s1
	s_and_saveexec_b32 s0, vcc_lo
	s_delay_alu instid0(SALU_CYCLE_1)
	s_xor_b32 s0, exec_lo, s0
	s_cbranch_execz .LBB0_103
.LBB0_121:
	v_mov_b32_e32 v12, 0
	v_mov_b32_e32 v0, v20
	s_delay_alu instid0(VALU_DEP_2) | instskip(NEXT) | instid1(VALU_DEP_1)
	v_lshlrev_b64 v[9:10], 3, v[11:12]
	v_add_co_u32 v9, vcc_lo, s6, v9
	s_delay_alu instid0(VALU_DEP_2) | instskip(SKIP_2) | instid1(SALU_CYCLE_1)
	v_add_co_ci_u32_e32 v10, vcc_lo, s7, v10, vcc_lo
	global_store_b64 v[9:10], v[1:2], off
	s_or_b32 exec_lo, exec_lo, s0
	s_mov_b32 s0, exec_lo
	v_cmpx_gt_i32_e64 s10, v0
	s_cbranch_execz .LBB0_104
.LBB0_122:
	v_dual_mov_b32 v2, 0 :: v_dual_add_nc_u32 v1, s2, v0
	v_add_nc_u32_e32 v0, 0x100, v0
	s_delay_alu instid0(VALU_DEP_2) | instskip(NEXT) | instid1(VALU_DEP_1)
	v_lshlrev_b64 v[1:2], 3, v[1:2]
	v_add_co_u32 v1, vcc_lo, s6, v1
	s_delay_alu instid0(VALU_DEP_2) | instskip(SKIP_2) | instid1(SALU_CYCLE_1)
	v_add_co_ci_u32_e32 v2, vcc_lo, s7, v2, vcc_lo
	global_store_b64 v[1:2], v[3:4], off
	s_or_b32 exec_lo, exec_lo, s0
	s_mov_b32 s0, exec_lo
	v_cmpx_gt_i32_e64 s10, v0
	s_cbranch_execz .LBB0_105
.LBB0_123:
	v_dual_mov_b32 v2, 0 :: v_dual_add_nc_u32 v1, s2, v0
	v_add_nc_u32_e32 v0, 0x100, v0
	s_delay_alu instid0(VALU_DEP_2) | instskip(NEXT) | instid1(VALU_DEP_1)
	v_lshlrev_b64 v[1:2], 3, v[1:2]
	v_add_co_u32 v1, vcc_lo, s6, v1
	s_delay_alu instid0(VALU_DEP_2) | instskip(SKIP_2) | instid1(SALU_CYCLE_1)
	v_add_co_ci_u32_e32 v2, vcc_lo, s7, v2, vcc_lo
	global_store_b64 v[1:2], v[5:6], off
	s_or_b32 exec_lo, exec_lo, s0
	s_mov_b32 s0, exec_lo
	v_cmpx_gt_i32_e64 s10, v0
	s_cbranch_execnz .LBB0_106
	s_branch .LBB0_107
	.section	.rodata,"a",@progbits
	.p2align	6, 0x0
	.amdhsa_kernel _ZN2at6native29vectorized_elementwise_kernelILi16ENS0_13AUnaryFunctorIdddZZZNS0_12_GLOBAL__N_132hermite_polynomial_h_kernel_cudaERNS_18TensorIteratorBaseEENKUlvE_clEvENKUlvE_clEvEUlddE_EESt5arrayIPcLm2EEEEviT0_T1_
		.amdhsa_group_segment_fixed_size 0
		.amdhsa_private_segment_fixed_size 0
		.amdhsa_kernarg_size 40
		.amdhsa_user_sgpr_count 15
		.amdhsa_user_sgpr_dispatch_ptr 0
		.amdhsa_user_sgpr_queue_ptr 0
		.amdhsa_user_sgpr_kernarg_segment_ptr 1
		.amdhsa_user_sgpr_dispatch_id 0
		.amdhsa_user_sgpr_private_segment_size 0
		.amdhsa_wavefront_size32 1
		.amdhsa_uses_dynamic_stack 0
		.amdhsa_enable_private_segment 0
		.amdhsa_system_sgpr_workgroup_id_x 1
		.amdhsa_system_sgpr_workgroup_id_y 0
		.amdhsa_system_sgpr_workgroup_id_z 0
		.amdhsa_system_sgpr_workgroup_info 0
		.amdhsa_system_vgpr_workitem_id 0
		.amdhsa_next_free_vgpr 25
		.amdhsa_next_free_sgpr 16
		.amdhsa_reserve_vcc 1
		.amdhsa_float_round_mode_32 0
		.amdhsa_float_round_mode_16_64 0
		.amdhsa_float_denorm_mode_32 3
		.amdhsa_float_denorm_mode_16_64 3
		.amdhsa_dx10_clamp 1
		.amdhsa_ieee_mode 1
		.amdhsa_fp16_overflow 0
		.amdhsa_workgroup_processor_mode 1
		.amdhsa_memory_ordered 1
		.amdhsa_forward_progress 0
		.amdhsa_shared_vgpr_count 0
		.amdhsa_exception_fp_ieee_invalid_op 0
		.amdhsa_exception_fp_denorm_src 0
		.amdhsa_exception_fp_ieee_div_zero 0
		.amdhsa_exception_fp_ieee_overflow 0
		.amdhsa_exception_fp_ieee_underflow 0
		.amdhsa_exception_fp_ieee_inexact 0
		.amdhsa_exception_int_div_zero 0
	.end_amdhsa_kernel
	.section	.text._ZN2at6native29vectorized_elementwise_kernelILi16ENS0_13AUnaryFunctorIdddZZZNS0_12_GLOBAL__N_132hermite_polynomial_h_kernel_cudaERNS_18TensorIteratorBaseEENKUlvE_clEvENKUlvE_clEvEUlddE_EESt5arrayIPcLm2EEEEviT0_T1_,"axG",@progbits,_ZN2at6native29vectorized_elementwise_kernelILi16ENS0_13AUnaryFunctorIdddZZZNS0_12_GLOBAL__N_132hermite_polynomial_h_kernel_cudaERNS_18TensorIteratorBaseEENKUlvE_clEvENKUlvE_clEvEUlddE_EESt5arrayIPcLm2EEEEviT0_T1_,comdat
.Lfunc_end0:
	.size	_ZN2at6native29vectorized_elementwise_kernelILi16ENS0_13AUnaryFunctorIdddZZZNS0_12_GLOBAL__N_132hermite_polynomial_h_kernel_cudaERNS_18TensorIteratorBaseEENKUlvE_clEvENKUlvE_clEvEUlddE_EESt5arrayIPcLm2EEEEviT0_T1_, .Lfunc_end0-_ZN2at6native29vectorized_elementwise_kernelILi16ENS0_13AUnaryFunctorIdddZZZNS0_12_GLOBAL__N_132hermite_polynomial_h_kernel_cudaERNS_18TensorIteratorBaseEENKUlvE_clEvENKUlvE_clEvEUlddE_EESt5arrayIPcLm2EEEEviT0_T1_
                                        ; -- End function
	.section	.AMDGPU.csdata,"",@progbits
; Kernel info:
; codeLenInByte = 3780
; NumSgprs: 18
; NumVgprs: 25
; ScratchSize: 0
; MemoryBound: 0
; FloatMode: 240
; IeeeMode: 1
; LDSByteSize: 0 bytes/workgroup (compile time only)
; SGPRBlocks: 2
; VGPRBlocks: 3
; NumSGPRsForWavesPerEU: 18
; NumVGPRsForWavesPerEU: 25
; Occupancy: 16
; WaveLimiterHint : 0
; COMPUTE_PGM_RSRC2:SCRATCH_EN: 0
; COMPUTE_PGM_RSRC2:USER_SGPR: 15
; COMPUTE_PGM_RSRC2:TRAP_HANDLER: 0
; COMPUTE_PGM_RSRC2:TGID_X_EN: 1
; COMPUTE_PGM_RSRC2:TGID_Y_EN: 0
; COMPUTE_PGM_RSRC2:TGID_Z_EN: 0
; COMPUTE_PGM_RSRC2:TIDIG_COMP_CNT: 0
	.section	.text._ZN2at6native29vectorized_elementwise_kernelILi8ENS0_13AUnaryFunctorIdddZZZNS0_12_GLOBAL__N_132hermite_polynomial_h_kernel_cudaERNS_18TensorIteratorBaseEENKUlvE_clEvENKUlvE_clEvEUlddE_EESt5arrayIPcLm2EEEEviT0_T1_,"axG",@progbits,_ZN2at6native29vectorized_elementwise_kernelILi8ENS0_13AUnaryFunctorIdddZZZNS0_12_GLOBAL__N_132hermite_polynomial_h_kernel_cudaERNS_18TensorIteratorBaseEENKUlvE_clEvENKUlvE_clEvEUlddE_EESt5arrayIPcLm2EEEEviT0_T1_,comdat
	.globl	_ZN2at6native29vectorized_elementwise_kernelILi8ENS0_13AUnaryFunctorIdddZZZNS0_12_GLOBAL__N_132hermite_polynomial_h_kernel_cudaERNS_18TensorIteratorBaseEENKUlvE_clEvENKUlvE_clEvEUlddE_EESt5arrayIPcLm2EEEEviT0_T1_ ; -- Begin function _ZN2at6native29vectorized_elementwise_kernelILi8ENS0_13AUnaryFunctorIdddZZZNS0_12_GLOBAL__N_132hermite_polynomial_h_kernel_cudaERNS_18TensorIteratorBaseEENKUlvE_clEvENKUlvE_clEvEUlddE_EESt5arrayIPcLm2EEEEviT0_T1_
	.p2align	8
	.type	_ZN2at6native29vectorized_elementwise_kernelILi8ENS0_13AUnaryFunctorIdddZZZNS0_12_GLOBAL__N_132hermite_polynomial_h_kernel_cudaERNS_18TensorIteratorBaseEENKUlvE_clEvENKUlvE_clEvEUlddE_EESt5arrayIPcLm2EEEEviT0_T1_,@function
_ZN2at6native29vectorized_elementwise_kernelILi8ENS0_13AUnaryFunctorIdddZZZNS0_12_GLOBAL__N_132hermite_polynomial_h_kernel_cudaERNS_18TensorIteratorBaseEENKUlvE_clEvENKUlvE_clEvEUlddE_EESt5arrayIPcLm2EEEEviT0_T1_: ; @_ZN2at6native29vectorized_elementwise_kernelILi8ENS0_13AUnaryFunctorIdddZZZNS0_12_GLOBAL__N_132hermite_polynomial_h_kernel_cudaERNS_18TensorIteratorBaseEENKUlvE_clEvENKUlvE_clEvEUlddE_EESt5arrayIPcLm2EEEEviT0_T1_
; %bb.0:
	s_clause 0x2
	s_load_b128 s[4:7], s[0:1], 0x10
	s_load_b32 s3, s[0:1], 0x0
	s_load_b64 s[8:9], s[0:1], 0x20
	s_lshl_b32 s2, s15, 10
	s_mov_b32 s0, -1
	s_waitcnt lgkmcnt(0)
	s_sub_i32 s10, s3, s2
	v_add_f64 v[9:10], s[4:5], s[4:5]
	s_cmpk_gt_i32 s10, 0x3ff
	s_cbranch_scc0 .LBB1_50
; %bb.1:
	s_ashr_i32 s3, s2, 31
	v_lshlrev_b32_e32 v17, 5, v0
	s_lshl_b64 s[0:1], s[2:3], 3
	s_mov_b32 s3, exec_lo
	s_add_u32 s12, s8, s0
	s_addc_u32 s13, s9, s1
	s_clause 0x1
	global_load_b128 v[1:4], v17, s[12:13]
	global_load_b128 v[5:8], v17, s[12:13] offset:16
	s_waitcnt vmcnt(1)
	v_trunc_f64_e32 v[11:12], v[1:2]
	v_cmp_class_f64_e64 vcc_lo, v[1:2], 0x1f8
	v_mov_b32_e32 v1, 0
	v_mov_b32_e32 v2, 0
	s_delay_alu instid0(VALU_DEP_4) | instskip(NEXT) | instid1(VALU_DEP_1)
	v_ldexp_f64 v[13:14], v[11:12], 0xffffffe0
	v_floor_f64_e32 v[13:14], v[13:14]
	s_delay_alu instid0(VALU_DEP_1) | instskip(SKIP_1) | instid1(VALU_DEP_2)
	v_fma_f64 v[11:12], 0xc1f00000, v[13:14], v[11:12]
	v_cvt_i32_f64_e32 v13, v[13:14]
	v_cvt_u32_f64_e32 v15, v[11:12]
	s_delay_alu instid0(VALU_DEP_2) | instskip(SKIP_1) | instid1(VALU_DEP_3)
	v_cndmask_b32_e32 v14, -1, v13, vcc_lo
	v_add_f64 v[11:12], s[4:5], s[4:5]
	v_cndmask_b32_e32 v13, -1, v15, vcc_lo
	s_delay_alu instid0(VALU_DEP_1)
	v_cmpx_lt_i64_e32 -1, v[13:14]
	s_cbranch_execz .LBB1_13
; %bb.2:
	v_mov_b32_e32 v1, 0
	v_mov_b32_e32 v2, 0x3ff00000
	s_mov_b32 s11, exec_lo
	v_cmpx_lt_i64_e32 0, v[13:14]
	s_cbranch_execz .LBB1_12
; %bb.3:
                                        ; implicit-def: $vgpr1_vgpr2
	s_mov_b32 s4, exec_lo
	v_cmpx_ne_u64_e32 1, v[13:14]
	s_xor_b32 s12, exec_lo, s4
	s_cbranch_execz .LBB1_9
; %bb.4:
	v_mov_b32_e32 v1, 0
	v_mov_b32_e32 v2, 0x7ff80000
	s_mov_b32 s13, exec_lo
	v_cmpx_gt_u64_e32 0x201, v[13:14]
	s_cbranch_execz .LBB1_8
; %bb.5:
	v_mov_b32_e32 v15, 0
	v_lshlrev_b64 v[13:14], 1, v[13:14]
	v_dual_mov_b32 v16, 0x3ff00000 :: v_dual_mov_b32 v1, v11
	v_mov_b32_e32 v2, v12
	s_mov_b64 s[4:5], 2
	s_mov_b32 s14, 0
	.p2align	6
.LBB1_6:                                ; =>This Inner Loop Header: Depth=1
	v_cvt_f64_u32_e32 v[18:19], s5
	v_cvt_f64_u32_e32 v[20:21], s4
	s_add_u32 s4, s4, 2
	s_addc_u32 s5, s5, 0
	s_delay_alu instid0(SALU_CYCLE_1) | instskip(SKIP_1) | instid1(VALU_DEP_3)
	v_cmp_ge_u64_e32 vcc_lo, s[4:5], v[13:14]
	s_or_b32 s14, vcc_lo, s14
	v_ldexp_f64 v[18:19], v[18:19], 32
	s_delay_alu instid0(VALU_DEP_1) | instskip(NEXT) | instid1(VALU_DEP_1)
	v_add_f64 v[18:19], v[18:19], v[20:21]
	v_mul_f64 v[15:16], v[15:16], v[18:19]
	v_dual_mov_b32 v19, v2 :: v_dual_mov_b32 v18, v1
	s_delay_alu instid0(VALU_DEP_1)
	v_fma_f64 v[1:2], v[11:12], v[18:19], -v[15:16]
	v_dual_mov_b32 v15, v18 :: v_dual_mov_b32 v16, v19
	s_and_not1_b32 exec_lo, exec_lo, s14
	s_cbranch_execnz .LBB1_6
; %bb.7:
	s_or_b32 exec_lo, exec_lo, s14
.LBB1_8:
	s_delay_alu instid0(SALU_CYCLE_1)
	s_or_b32 exec_lo, exec_lo, s13
.LBB1_9:
	s_and_not1_saveexec_b32 s4, s12
; %bb.10:
	v_dual_mov_b32 v1, v11 :: v_dual_mov_b32 v2, v12
; %bb.11:
	s_or_b32 exec_lo, exec_lo, s4
.LBB1_12:
	s_delay_alu instid0(SALU_CYCLE_1)
	s_or_b32 exec_lo, exec_lo, s11
.LBB1_13:
	s_delay_alu instid0(SALU_CYCLE_1)
	s_or_b32 exec_lo, exec_lo, s3
	v_trunc_f64_e32 v[13:14], v[3:4]
	v_cmp_class_f64_e64 vcc_lo, v[3:4], 0x1f8
	v_mov_b32_e32 v3, 0
	v_mov_b32_e32 v4, 0
	s_mov_b32 s3, exec_lo
	s_delay_alu instid0(VALU_DEP_4) | instskip(NEXT) | instid1(VALU_DEP_1)
	v_ldexp_f64 v[15:16], v[13:14], 0xffffffe0
	v_floor_f64_e32 v[15:16], v[15:16]
	s_delay_alu instid0(VALU_DEP_1) | instskip(SKIP_1) | instid1(VALU_DEP_2)
	v_fma_f64 v[13:14], 0xc1f00000, v[15:16], v[13:14]
	v_cvt_i32_f64_e32 v15, v[15:16]
	v_cvt_u32_f64_e32 v13, v[13:14]
	s_delay_alu instid0(VALU_DEP_1) | instskip(NEXT) | instid1(VALU_DEP_1)
	v_dual_cndmask_b32 v14, -1, v15 :: v_dual_cndmask_b32 v13, -1, v13
	v_cmpx_lt_i64_e32 -1, v[13:14]
	s_cbranch_execz .LBB1_25
; %bb.14:
	v_mov_b32_e32 v3, 0
	v_mov_b32_e32 v4, 0x3ff00000
	s_mov_b32 s11, exec_lo
	v_cmpx_lt_i64_e32 0, v[13:14]
	s_cbranch_execz .LBB1_24
; %bb.15:
	s_mov_b32 s4, exec_lo
	v_cmpx_ne_u64_e32 1, v[13:14]
	s_xor_b32 s12, exec_lo, s4
	s_cbranch_execz .LBB1_21
; %bb.16:
	v_mov_b32_e32 v3, 0
	v_mov_b32_e32 v4, 0x7ff80000
	s_mov_b32 s13, exec_lo
	v_cmpx_gt_u64_e32 0x201, v[13:14]
	s_cbranch_execz .LBB1_20
; %bb.17:
	v_mov_b32_e32 v15, 0
	v_lshlrev_b64 v[13:14], 1, v[13:14]
	v_dual_mov_b32 v16, 0x3ff00000 :: v_dual_mov_b32 v3, v11
	v_mov_b32_e32 v4, v12
	s_mov_b64 s[4:5], 2
	s_mov_b32 s14, 0
	.p2align	6
.LBB1_18:                               ; =>This Inner Loop Header: Depth=1
	v_cvt_f64_u32_e32 v[18:19], s5
	v_cvt_f64_u32_e32 v[20:21], s4
	s_add_u32 s4, s4, 2
	s_addc_u32 s5, s5, 0
	s_delay_alu instid0(SALU_CYCLE_1) | instskip(SKIP_1) | instid1(VALU_DEP_3)
	v_cmp_ge_u64_e32 vcc_lo, s[4:5], v[13:14]
	s_or_b32 s14, vcc_lo, s14
	v_ldexp_f64 v[18:19], v[18:19], 32
	s_delay_alu instid0(VALU_DEP_1) | instskip(NEXT) | instid1(VALU_DEP_1)
	v_add_f64 v[18:19], v[18:19], v[20:21]
	v_mul_f64 v[15:16], v[15:16], v[18:19]
	v_dual_mov_b32 v19, v4 :: v_dual_mov_b32 v18, v3
	s_delay_alu instid0(VALU_DEP_1)
	v_fma_f64 v[3:4], v[11:12], v[18:19], -v[15:16]
	v_dual_mov_b32 v15, v18 :: v_dual_mov_b32 v16, v19
	s_and_not1_b32 exec_lo, exec_lo, s14
	s_cbranch_execnz .LBB1_18
; %bb.19:
	s_or_b32 exec_lo, exec_lo, s14
.LBB1_20:
	s_delay_alu instid0(SALU_CYCLE_1)
	s_or_b32 exec_lo, exec_lo, s13
.LBB1_21:
	s_and_not1_saveexec_b32 s4, s12
; %bb.22:
	v_dual_mov_b32 v3, v11 :: v_dual_mov_b32 v4, v12
; %bb.23:
	s_or_b32 exec_lo, exec_lo, s4
.LBB1_24:
	s_delay_alu instid0(SALU_CYCLE_1)
	s_or_b32 exec_lo, exec_lo, s11
.LBB1_25:
	s_delay_alu instid0(SALU_CYCLE_1)
	s_or_b32 exec_lo, exec_lo, s3
	s_waitcnt vmcnt(0)
	v_trunc_f64_e32 v[13:14], v[5:6]
	v_cmp_class_f64_e64 vcc_lo, v[5:6], 0x1f8
	v_mov_b32_e32 v5, 0
	v_mov_b32_e32 v6, 0
	s_mov_b32 s3, exec_lo
	s_delay_alu instid0(VALU_DEP_4) | instskip(NEXT) | instid1(VALU_DEP_1)
	v_ldexp_f64 v[15:16], v[13:14], 0xffffffe0
	v_floor_f64_e32 v[15:16], v[15:16]
	s_delay_alu instid0(VALU_DEP_1) | instskip(SKIP_1) | instid1(VALU_DEP_2)
	v_fma_f64 v[13:14], 0xc1f00000, v[15:16], v[13:14]
	v_cvt_i32_f64_e32 v15, v[15:16]
	v_cvt_u32_f64_e32 v13, v[13:14]
	s_delay_alu instid0(VALU_DEP_1) | instskip(NEXT) | instid1(VALU_DEP_1)
	v_dual_cndmask_b32 v14, -1, v15 :: v_dual_cndmask_b32 v13, -1, v13
	v_cmpx_lt_i64_e32 -1, v[13:14]
	s_cbranch_execz .LBB1_37
; %bb.26:
	v_mov_b32_e32 v5, 0
	v_mov_b32_e32 v6, 0x3ff00000
	s_mov_b32 s11, exec_lo
	v_cmpx_lt_i64_e32 0, v[13:14]
	s_cbranch_execz .LBB1_36
; %bb.27:
                                        ; implicit-def: $vgpr5_vgpr6
	s_mov_b32 s4, exec_lo
	v_cmpx_ne_u64_e32 1, v[13:14]
	s_xor_b32 s12, exec_lo, s4
	s_cbranch_execz .LBB1_33
; %bb.28:
	v_mov_b32_e32 v5, 0
	v_mov_b32_e32 v6, 0x7ff80000
	s_mov_b32 s13, exec_lo
	v_cmpx_gt_u64_e32 0x201, v[13:14]
	s_cbranch_execz .LBB1_32
; %bb.29:
	v_mov_b32_e32 v15, 0
	v_lshlrev_b64 v[13:14], 1, v[13:14]
	v_dual_mov_b32 v16, 0x3ff00000 :: v_dual_mov_b32 v5, v11
	v_mov_b32_e32 v6, v12
	s_mov_b64 s[4:5], 2
	s_mov_b32 s14, 0
	.p2align	6
.LBB1_30:                               ; =>This Inner Loop Header: Depth=1
	v_cvt_f64_u32_e32 v[18:19], s5
	v_cvt_f64_u32_e32 v[20:21], s4
	s_add_u32 s4, s4, 2
	s_addc_u32 s5, s5, 0
	s_delay_alu instid0(SALU_CYCLE_1) | instskip(SKIP_1) | instid1(VALU_DEP_3)
	v_cmp_ge_u64_e32 vcc_lo, s[4:5], v[13:14]
	s_or_b32 s14, vcc_lo, s14
	v_ldexp_f64 v[18:19], v[18:19], 32
	s_delay_alu instid0(VALU_DEP_1) | instskip(NEXT) | instid1(VALU_DEP_1)
	v_add_f64 v[18:19], v[18:19], v[20:21]
	v_mul_f64 v[15:16], v[15:16], v[18:19]
	v_dual_mov_b32 v19, v6 :: v_dual_mov_b32 v18, v5
	s_delay_alu instid0(VALU_DEP_1)
	v_fma_f64 v[5:6], v[11:12], v[18:19], -v[15:16]
	v_dual_mov_b32 v15, v18 :: v_dual_mov_b32 v16, v19
	s_and_not1_b32 exec_lo, exec_lo, s14
	s_cbranch_execnz .LBB1_30
; %bb.31:
	s_or_b32 exec_lo, exec_lo, s14
.LBB1_32:
	s_delay_alu instid0(SALU_CYCLE_1)
	s_or_b32 exec_lo, exec_lo, s13
.LBB1_33:
	s_and_not1_saveexec_b32 s4, s12
; %bb.34:
	v_dual_mov_b32 v5, v11 :: v_dual_mov_b32 v6, v12
; %bb.35:
	s_or_b32 exec_lo, exec_lo, s4
.LBB1_36:
	s_delay_alu instid0(SALU_CYCLE_1)
	s_or_b32 exec_lo, exec_lo, s11
.LBB1_37:
	s_delay_alu instid0(SALU_CYCLE_1)
	s_or_b32 exec_lo, exec_lo, s3
	v_trunc_f64_e32 v[13:14], v[7:8]
	v_cmp_class_f64_e64 vcc_lo, v[7:8], 0x1f8
	v_mov_b32_e32 v7, 0
	v_mov_b32_e32 v8, 0
	s_mov_b32 s3, exec_lo
	s_delay_alu instid0(VALU_DEP_4) | instskip(NEXT) | instid1(VALU_DEP_1)
	v_ldexp_f64 v[15:16], v[13:14], 0xffffffe0
	v_floor_f64_e32 v[15:16], v[15:16]
	s_delay_alu instid0(VALU_DEP_1) | instskip(SKIP_1) | instid1(VALU_DEP_2)
	v_fma_f64 v[13:14], 0xc1f00000, v[15:16], v[13:14]
	v_cvt_i32_f64_e32 v15, v[15:16]
	v_cvt_u32_f64_e32 v13, v[13:14]
	s_delay_alu instid0(VALU_DEP_1) | instskip(NEXT) | instid1(VALU_DEP_1)
	v_dual_cndmask_b32 v14, -1, v15 :: v_dual_cndmask_b32 v13, -1, v13
	v_cmpx_lt_i64_e32 -1, v[13:14]
	s_cbranch_execz .LBB1_49
; %bb.38:
	v_mov_b32_e32 v7, 0
	v_mov_b32_e32 v8, 0x3ff00000
	s_mov_b32 s11, exec_lo
	v_cmpx_lt_i64_e32 0, v[13:14]
	s_cbranch_execz .LBB1_48
; %bb.39:
	s_mov_b32 s4, exec_lo
	v_cmpx_ne_u64_e32 1, v[13:14]
	s_xor_b32 s12, exec_lo, s4
	s_cbranch_execz .LBB1_45
; %bb.40:
	v_mov_b32_e32 v7, 0
	v_mov_b32_e32 v8, 0x7ff80000
	s_mov_b32 s13, exec_lo
	v_cmpx_gt_u64_e32 0x201, v[13:14]
	s_cbranch_execz .LBB1_44
; %bb.41:
	v_mov_b32_e32 v15, 0
	v_lshlrev_b64 v[13:14], 1, v[13:14]
	v_dual_mov_b32 v16, 0x3ff00000 :: v_dual_mov_b32 v7, v11
	v_mov_b32_e32 v8, v12
	s_mov_b64 s[4:5], 2
	s_mov_b32 s14, 0
	.p2align	6
.LBB1_42:                               ; =>This Inner Loop Header: Depth=1
	v_cvt_f64_u32_e32 v[18:19], s5
	v_cvt_f64_u32_e32 v[20:21], s4
	s_add_u32 s4, s4, 2
	s_addc_u32 s5, s5, 0
	s_delay_alu instid0(SALU_CYCLE_1) | instskip(SKIP_1) | instid1(VALU_DEP_3)
	v_cmp_ge_u64_e32 vcc_lo, s[4:5], v[13:14]
	s_or_b32 s14, vcc_lo, s14
	v_ldexp_f64 v[18:19], v[18:19], 32
	s_delay_alu instid0(VALU_DEP_1) | instskip(NEXT) | instid1(VALU_DEP_1)
	v_add_f64 v[18:19], v[18:19], v[20:21]
	v_mul_f64 v[15:16], v[15:16], v[18:19]
	v_dual_mov_b32 v19, v8 :: v_dual_mov_b32 v18, v7
	s_delay_alu instid0(VALU_DEP_1)
	v_fma_f64 v[7:8], v[11:12], v[18:19], -v[15:16]
	v_dual_mov_b32 v15, v18 :: v_dual_mov_b32 v16, v19
	s_and_not1_b32 exec_lo, exec_lo, s14
	s_cbranch_execnz .LBB1_42
; %bb.43:
	s_or_b32 exec_lo, exec_lo, s14
.LBB1_44:
	s_delay_alu instid0(SALU_CYCLE_1)
	s_or_b32 exec_lo, exec_lo, s13
                                        ; implicit-def: $vgpr11_vgpr12
.LBB1_45:
	s_and_not1_saveexec_b32 s4, s12
; %bb.46:
	v_dual_mov_b32 v7, v11 :: v_dual_mov_b32 v8, v12
; %bb.47:
	s_or_b32 exec_lo, exec_lo, s4
.LBB1_48:
	s_delay_alu instid0(SALU_CYCLE_1)
	s_or_b32 exec_lo, exec_lo, s11
.LBB1_49:
	s_delay_alu instid0(SALU_CYCLE_1)
	s_or_b32 exec_lo, exec_lo, s3
	s_add_u32 s4, s6, s0
	s_addc_u32 s5, s7, s1
	s_mov_b32 s0, 0
	s_clause 0x1
	global_store_b128 v17, v[1:4], s[4:5]
	global_store_b128 v17, v[5:8], s[4:5] offset:16
.LBB1_50:
	s_and_b32 vcc_lo, exec_lo, s0
	s_cbranch_vccz .LBB1_107
; %bb.51:
	v_dual_mov_b32 v16, 0 :: v_dual_mov_b32 v1, v0
	v_mov_b32_e32 v17, 0
	v_cmp_gt_i32_e32 vcc_lo, s10, v0
	v_or_b32_e32 v11, s2, v0
	v_or_b32_e32 v20, 0x100, v0
	s_delay_alu instid0(VALU_DEP_4)
	v_dual_mov_b32 v19, v17 :: v_dual_mov_b32 v18, v16
	s_and_saveexec_b32 s1, vcc_lo
	s_cbranch_execz .LBB1_53
; %bb.52:
	v_mov_b32_e32 v12, 0
	s_delay_alu instid0(VALU_DEP_1) | instskip(NEXT) | instid1(VALU_DEP_1)
	v_lshlrev_b64 v[1:2], 3, v[11:12]
	v_add_co_u32 v1, s0, s8, v1
	s_delay_alu instid0(VALU_DEP_1)
	v_add_co_ci_u32_e64 v2, s0, s9, v2, s0
	global_load_b64 v[18:19], v[1:2], off
	v_or_b32_e32 v1, 0x100, v0
.LBB1_53:
	s_or_b32 exec_lo, exec_lo, s1
	s_delay_alu instid0(SALU_CYCLE_1) | instskip(NEXT) | instid1(VALU_DEP_1)
	s_mov_b32 s1, exec_lo
	v_cmpx_gt_i32_e64 s10, v1
	s_cbranch_execz .LBB1_55
; %bb.54:
	v_dual_mov_b32 v3, 0 :: v_dual_add_nc_u32 v2, s2, v1
	v_add_nc_u32_e32 v1, 0x100, v1
	s_delay_alu instid0(VALU_DEP_2) | instskip(NEXT) | instid1(VALU_DEP_1)
	v_lshlrev_b64 v[2:3], 3, v[2:3]
	v_add_co_u32 v2, s0, s8, v2
	s_delay_alu instid0(VALU_DEP_1)
	v_add_co_ci_u32_e64 v3, s0, s9, v3, s0
	global_load_b64 v[16:17], v[2:3], off
.LBB1_55:
	s_or_b32 exec_lo, exec_lo, s1
	v_mov_b32_e32 v12, 0
	v_mov_b32_e32 v13, 0
	s_mov_b32 s1, exec_lo
	s_delay_alu instid0(VALU_DEP_1)
	v_dual_mov_b32 v15, v13 :: v_dual_mov_b32 v14, v12
	v_cmpx_gt_i32_e64 s10, v1
	s_cbranch_execnz .LBB1_59
; %bb.56:
	s_or_b32 exec_lo, exec_lo, s1
	s_delay_alu instid0(SALU_CYCLE_1)
	s_mov_b32 s1, exec_lo
	v_cmpx_gt_i32_e64 s10, v1
	s_cbranch_execnz .LBB1_60
.LBB1_57:
	s_or_b32 exec_lo, exec_lo, s1
                                        ; implicit-def: $vgpr1_vgpr2_vgpr3_vgpr4_vgpr5_vgpr6_vgpr7_vgpr8
	s_and_saveexec_b32 s1, vcc_lo
	s_cbranch_execnz .LBB1_61
.LBB1_58:
	s_or_b32 exec_lo, exec_lo, s1
	s_delay_alu instid0(SALU_CYCLE_1)
	s_mov_b32 s1, exec_lo
	v_cmpx_gt_i32_e64 s10, v20
	s_cbranch_execnz .LBB1_74
	s_branch .LBB1_87
.LBB1_59:
	v_dual_mov_b32 v3, 0 :: v_dual_add_nc_u32 v2, s2, v1
	v_add_nc_u32_e32 v1, 0x100, v1
	s_delay_alu instid0(VALU_DEP_2) | instskip(NEXT) | instid1(VALU_DEP_1)
	v_lshlrev_b64 v[2:3], 3, v[2:3]
	v_add_co_u32 v2, s0, s8, v2
	s_delay_alu instid0(VALU_DEP_1) | instskip(SKIP_2) | instid1(SALU_CYCLE_1)
	v_add_co_ci_u32_e64 v3, s0, s9, v3, s0
	global_load_b64 v[14:15], v[2:3], off
	s_or_b32 exec_lo, exec_lo, s1
	s_mov_b32 s1, exec_lo
	v_cmpx_gt_i32_e64 s10, v1
	s_cbranch_execz .LBB1_57
.LBB1_60:
	v_dual_mov_b32 v2, 0 :: v_dual_add_nc_u32 v1, s2, v1
	s_delay_alu instid0(VALU_DEP_1) | instskip(NEXT) | instid1(VALU_DEP_1)
	v_lshlrev_b64 v[1:2], 3, v[1:2]
	v_add_co_u32 v1, s0, s8, v1
	s_delay_alu instid0(VALU_DEP_1)
	v_add_co_ci_u32_e64 v2, s0, s9, v2, s0
	global_load_b64 v[12:13], v[1:2], off
	s_or_b32 exec_lo, exec_lo, s1
                                        ; implicit-def: $vgpr1_vgpr2_vgpr3_vgpr4_vgpr5_vgpr6_vgpr7_vgpr8
	s_and_saveexec_b32 s1, vcc_lo
	s_cbranch_execz .LBB1_58
.LBB1_61:
	s_waitcnt vmcnt(0)
	v_trunc_f64_e32 v[1:2], v[18:19]
	v_cmp_class_f64_e64 s0, v[18:19], 0x1f8
	s_mov_b32 s3, exec_lo
	s_delay_alu instid0(VALU_DEP_2) | instskip(NEXT) | instid1(VALU_DEP_1)
	v_ldexp_f64 v[3:4], v[1:2], 0xffffffe0
	v_floor_f64_e32 v[3:4], v[3:4]
	s_delay_alu instid0(VALU_DEP_1) | instskip(SKIP_1) | instid1(VALU_DEP_2)
	v_fma_f64 v[1:2], 0xc1f00000, v[3:4], v[1:2]
	v_cvt_i32_f64_e32 v3, v[3:4]
	v_cvt_u32_f64_e32 v1, v[1:2]
	s_delay_alu instid0(VALU_DEP_2) | instskip(NEXT) | instid1(VALU_DEP_2)
	v_cndmask_b32_e64 v4, -1, v3, s0
	v_cndmask_b32_e64 v3, -1, v1, s0
	v_mov_b32_e32 v1, 0
	v_mov_b32_e32 v2, 0
	s_delay_alu instid0(VALU_DEP_3)
	v_cmpx_lt_i64_e32 -1, v[3:4]
	s_cbranch_execz .LBB1_73
; %bb.62:
	v_mov_b32_e32 v1, 0
	v_mov_b32_e32 v2, 0x3ff00000
	s_mov_b32 s8, exec_lo
	v_cmpx_lt_i64_e32 0, v[3:4]
	s_cbranch_execz .LBB1_72
; %bb.63:
                                        ; implicit-def: $vgpr1_vgpr2
	s_mov_b32 s4, exec_lo
	v_cmpx_ne_u64_e32 1, v[3:4]
	s_xor_b32 s9, exec_lo, s4
	s_cbranch_execz .LBB1_69
; %bb.64:
	v_mov_b32_e32 v1, 0
	v_mov_b32_e32 v2, 0x7ff80000
	s_mov_b32 s11, exec_lo
	v_cmpx_gt_u64_e32 0x201, v[3:4]
	s_cbranch_execz .LBB1_68
; %bb.65:
	v_mov_b32_e32 v5, 0
	v_lshlrev_b64 v[3:4], 1, v[3:4]
	v_dual_mov_b32 v6, 0x3ff00000 :: v_dual_mov_b32 v1, v9
	v_mov_b32_e32 v2, v10
	s_mov_b64 s[4:5], 2
	s_mov_b32 s12, 0
	.p2align	6
.LBB1_66:                               ; =>This Inner Loop Header: Depth=1
	v_cvt_f64_u32_e32 v[7:8], s5
	v_cvt_f64_u32_e32 v[18:19], s4
	s_add_u32 s4, s4, 2
	s_addc_u32 s5, s5, 0
	s_delay_alu instid0(SALU_CYCLE_1) | instskip(NEXT) | instid1(VALU_DEP_1)
	v_cmp_ge_u64_e64 s0, s[4:5], v[3:4]
	s_or_b32 s12, s0, s12
	s_delay_alu instid0(VALU_DEP_3) | instskip(NEXT) | instid1(VALU_DEP_1)
	v_ldexp_f64 v[7:8], v[7:8], 32
	v_add_f64 v[7:8], v[7:8], v[18:19]
	s_delay_alu instid0(VALU_DEP_1) | instskip(SKIP_1) | instid1(VALU_DEP_1)
	v_mul_f64 v[5:6], v[5:6], v[7:8]
	v_dual_mov_b32 v8, v2 :: v_dual_mov_b32 v7, v1
	v_fma_f64 v[1:2], v[9:10], v[7:8], -v[5:6]
	v_dual_mov_b32 v5, v7 :: v_dual_mov_b32 v6, v8
	s_and_not1_b32 exec_lo, exec_lo, s12
	s_cbranch_execnz .LBB1_66
; %bb.67:
	s_or_b32 exec_lo, exec_lo, s12
.LBB1_68:
	s_delay_alu instid0(SALU_CYCLE_1)
	s_or_b32 exec_lo, exec_lo, s11
.LBB1_69:
	s_and_not1_saveexec_b32 s0, s9
; %bb.70:
	v_dual_mov_b32 v1, v9 :: v_dual_mov_b32 v2, v10
; %bb.71:
	s_or_b32 exec_lo, exec_lo, s0
.LBB1_72:
	s_delay_alu instid0(SALU_CYCLE_1)
	s_or_b32 exec_lo, exec_lo, s8
.LBB1_73:
	s_delay_alu instid0(SALU_CYCLE_1) | instskip(NEXT) | instid1(SALU_CYCLE_1)
	s_or_b32 exec_lo, exec_lo, s3
	s_or_b32 exec_lo, exec_lo, s1
	s_delay_alu instid0(SALU_CYCLE_1)
	s_mov_b32 s1, exec_lo
	v_cmpx_gt_i32_e64 s10, v20
	s_cbranch_execz .LBB1_87
.LBB1_74:
	s_waitcnt vmcnt(0)
	v_trunc_f64_e32 v[3:4], v[16:17]
	v_cmp_class_f64_e64 s0, v[16:17], 0x1f8
	s_mov_b32 s3, exec_lo
	s_delay_alu instid0(VALU_DEP_2) | instskip(NEXT) | instid1(VALU_DEP_1)
	v_ldexp_f64 v[18:19], v[3:4], 0xffffffe0
	v_floor_f64_e32 v[18:19], v[18:19]
	s_delay_alu instid0(VALU_DEP_1) | instskip(SKIP_1) | instid1(VALU_DEP_2)
	v_fma_f64 v[3:4], 0xc1f00000, v[18:19], v[3:4]
	v_cvt_i32_f64_e32 v18, v[18:19]
	v_cvt_u32_f64_e32 v3, v[3:4]
	s_delay_alu instid0(VALU_DEP_2) | instskip(NEXT) | instid1(VALU_DEP_2)
	v_cndmask_b32_e64 v17, -1, v18, s0
	v_cndmask_b32_e64 v16, -1, v3, s0
	v_mov_b32_e32 v3, 0
	v_mov_b32_e32 v4, 0
	s_delay_alu instid0(VALU_DEP_3)
	v_cmpx_lt_i64_e32 -1, v[16:17]
	s_cbranch_execz .LBB1_86
; %bb.75:
	v_mov_b32_e32 v3, 0
	v_mov_b32_e32 v4, 0x3ff00000
	s_mov_b32 s8, exec_lo
	v_cmpx_lt_i64_e32 0, v[16:17]
	s_cbranch_execz .LBB1_85
; %bb.76:
	s_mov_b32 s4, exec_lo
	v_cmpx_ne_u64_e32 1, v[16:17]
	s_xor_b32 s9, exec_lo, s4
	s_cbranch_execz .LBB1_82
; %bb.77:
	v_mov_b32_e32 v3, 0
	v_mov_b32_e32 v4, 0x7ff80000
	s_mov_b32 s11, exec_lo
	v_cmpx_gt_u64_e32 0x201, v[16:17]
	s_cbranch_execz .LBB1_81
; %bb.78:
	v_lshlrev_b64 v[16:17], 1, v[16:17]
	v_dual_mov_b32 v18, 0 :: v_dual_mov_b32 v3, v9
	v_dual_mov_b32 v19, 0x3ff00000 :: v_dual_mov_b32 v4, v10
	s_mov_b64 s[4:5], 2
	s_mov_b32 s12, 0
	.p2align	6
.LBB1_79:                               ; =>This Inner Loop Header: Depth=1
	v_cvt_f64_u32_e32 v[21:22], s5
	v_cvt_f64_u32_e32 v[23:24], s4
	s_add_u32 s4, s4, 2
	s_addc_u32 s5, s5, 0
	s_delay_alu instid0(SALU_CYCLE_1) | instskip(NEXT) | instid1(VALU_DEP_1)
	v_cmp_ge_u64_e64 s0, s[4:5], v[16:17]
	s_or_b32 s12, s0, s12
	s_delay_alu instid0(VALU_DEP_3) | instskip(NEXT) | instid1(VALU_DEP_1)
	v_ldexp_f64 v[21:22], v[21:22], 32
	v_add_f64 v[21:22], v[21:22], v[23:24]
	s_delay_alu instid0(VALU_DEP_1) | instskip(SKIP_1) | instid1(VALU_DEP_1)
	v_mul_f64 v[18:19], v[18:19], v[21:22]
	v_dual_mov_b32 v22, v4 :: v_dual_mov_b32 v21, v3
	v_fma_f64 v[3:4], v[9:10], v[21:22], -v[18:19]
	v_dual_mov_b32 v18, v21 :: v_dual_mov_b32 v19, v22
	s_and_not1_b32 exec_lo, exec_lo, s12
	s_cbranch_execnz .LBB1_79
; %bb.80:
	s_or_b32 exec_lo, exec_lo, s12
.LBB1_81:
	s_delay_alu instid0(SALU_CYCLE_1)
	s_or_b32 exec_lo, exec_lo, s11
.LBB1_82:
	s_and_not1_saveexec_b32 s0, s9
; %bb.83:
	v_dual_mov_b32 v3, v9 :: v_dual_mov_b32 v4, v10
; %bb.84:
	s_or_b32 exec_lo, exec_lo, s0
.LBB1_85:
	s_delay_alu instid0(SALU_CYCLE_1)
	s_or_b32 exec_lo, exec_lo, s8
.LBB1_86:
	s_delay_alu instid0(SALU_CYCLE_1)
	s_or_b32 exec_lo, exec_lo, s3
.LBB1_87:
	s_delay_alu instid0(SALU_CYCLE_1) | instskip(SKIP_3) | instid1(VALU_DEP_1)
	s_or_b32 exec_lo, exec_lo, s1
	s_waitcnt vmcnt(0)
	v_or_b32_e32 v16, 0x200, v0
	s_mov_b32 s1, exec_lo
	v_cmpx_gt_i32_e64 s10, v16
	s_cbranch_execz .LBB1_101
; %bb.88:
	v_trunc_f64_e32 v[5:6], v[14:15]
	v_cmp_class_f64_e64 s0, v[14:15], 0x1f8
	s_mov_b32 s3, exec_lo
	s_delay_alu instid0(VALU_DEP_2) | instskip(NEXT) | instid1(VALU_DEP_1)
	v_ldexp_f64 v[16:17], v[5:6], 0xffffffe0
	v_floor_f64_e32 v[16:17], v[16:17]
	s_delay_alu instid0(VALU_DEP_1) | instskip(SKIP_1) | instid1(VALU_DEP_2)
	v_fma_f64 v[5:6], 0xc1f00000, v[16:17], v[5:6]
	v_cvt_i32_f64_e32 v16, v[16:17]
	v_cvt_u32_f64_e32 v5, v[5:6]
	s_delay_alu instid0(VALU_DEP_2) | instskip(NEXT) | instid1(VALU_DEP_2)
	v_cndmask_b32_e64 v15, -1, v16, s0
	v_cndmask_b32_e64 v14, -1, v5, s0
	v_mov_b32_e32 v5, 0
	v_mov_b32_e32 v6, 0
	s_delay_alu instid0(VALU_DEP_3)
	v_cmpx_lt_i64_e32 -1, v[14:15]
	s_cbranch_execz .LBB1_100
; %bb.89:
	v_mov_b32_e32 v5, 0
	v_mov_b32_e32 v6, 0x3ff00000
	s_mov_b32 s8, exec_lo
	v_cmpx_lt_i64_e32 0, v[14:15]
	s_cbranch_execz .LBB1_99
; %bb.90:
	s_mov_b32 s4, exec_lo
	v_cmpx_ne_u64_e32 1, v[14:15]
	s_xor_b32 s9, exec_lo, s4
	s_cbranch_execz .LBB1_96
; %bb.91:
	v_mov_b32_e32 v5, 0
	v_mov_b32_e32 v6, 0x7ff80000
	s_mov_b32 s11, exec_lo
	v_cmpx_gt_u64_e32 0x201, v[14:15]
	s_cbranch_execz .LBB1_95
; %bb.92:
	v_lshlrev_b64 v[14:15], 1, v[14:15]
	v_dual_mov_b32 v16, 0 :: v_dual_mov_b32 v5, v9
	v_dual_mov_b32 v17, 0x3ff00000 :: v_dual_mov_b32 v6, v10
	s_mov_b64 s[4:5], 2
	s_mov_b32 s12, 0
	.p2align	6
.LBB1_93:                               ; =>This Inner Loop Header: Depth=1
	v_cvt_f64_u32_e32 v[18:19], s5
	v_cvt_f64_u32_e32 v[21:22], s4
	s_add_u32 s4, s4, 2
	s_addc_u32 s5, s5, 0
	s_delay_alu instid0(SALU_CYCLE_1) | instskip(NEXT) | instid1(VALU_DEP_1)
	v_cmp_ge_u64_e64 s0, s[4:5], v[14:15]
	s_or_b32 s12, s0, s12
	s_delay_alu instid0(VALU_DEP_3) | instskip(NEXT) | instid1(VALU_DEP_1)
	v_ldexp_f64 v[18:19], v[18:19], 32
	v_add_f64 v[18:19], v[18:19], v[21:22]
	s_delay_alu instid0(VALU_DEP_1) | instskip(SKIP_1) | instid1(VALU_DEP_1)
	v_mul_f64 v[16:17], v[16:17], v[18:19]
	v_dual_mov_b32 v19, v6 :: v_dual_mov_b32 v18, v5
	v_fma_f64 v[5:6], v[9:10], v[18:19], -v[16:17]
	v_dual_mov_b32 v16, v18 :: v_dual_mov_b32 v17, v19
	s_and_not1_b32 exec_lo, exec_lo, s12
	s_cbranch_execnz .LBB1_93
; %bb.94:
	s_or_b32 exec_lo, exec_lo, s12
.LBB1_95:
	s_delay_alu instid0(SALU_CYCLE_1)
	s_or_b32 exec_lo, exec_lo, s11
.LBB1_96:
	s_and_not1_saveexec_b32 s0, s9
; %bb.97:
	v_dual_mov_b32 v5, v9 :: v_dual_mov_b32 v6, v10
; %bb.98:
	s_or_b32 exec_lo, exec_lo, s0
.LBB1_99:
	s_delay_alu instid0(SALU_CYCLE_1)
	s_or_b32 exec_lo, exec_lo, s8
.LBB1_100:
	s_delay_alu instid0(SALU_CYCLE_1)
	s_or_b32 exec_lo, exec_lo, s3
.LBB1_101:
	s_delay_alu instid0(SALU_CYCLE_1) | instskip(SKIP_2) | instid1(VALU_DEP_1)
	s_or_b32 exec_lo, exec_lo, s1
	v_or_b32_e32 v14, 0x300, v0
	s_mov_b32 s1, exec_lo
	v_cmpx_gt_i32_e64 s10, v14
	s_cbranch_execnz .LBB1_108
; %bb.102:
	s_or_b32 exec_lo, exec_lo, s1
	s_and_saveexec_b32 s0, vcc_lo
	s_delay_alu instid0(SALU_CYCLE_1)
	s_xor_b32 s0, exec_lo, s0
	s_cbranch_execnz .LBB1_121
.LBB1_103:
	s_or_b32 exec_lo, exec_lo, s0
	s_delay_alu instid0(SALU_CYCLE_1)
	s_mov_b32 s0, exec_lo
	v_cmpx_gt_i32_e64 s10, v0
	s_cbranch_execnz .LBB1_122
.LBB1_104:
	s_or_b32 exec_lo, exec_lo, s0
	s_delay_alu instid0(SALU_CYCLE_1)
	s_mov_b32 s0, exec_lo
	v_cmpx_gt_i32_e64 s10, v0
	s_cbranch_execnz .LBB1_123
.LBB1_105:
	s_or_b32 exec_lo, exec_lo, s0
	s_delay_alu instid0(SALU_CYCLE_1)
	s_mov_b32 s0, exec_lo
	v_cmpx_gt_i32_e64 s10, v0
	s_cbranch_execz .LBB1_107
.LBB1_106:
	v_dual_mov_b32 v1, 0 :: v_dual_add_nc_u32 v0, s2, v0
	s_delay_alu instid0(VALU_DEP_1) | instskip(NEXT) | instid1(VALU_DEP_1)
	v_lshlrev_b64 v[0:1], 3, v[0:1]
	v_add_co_u32 v0, vcc_lo, s6, v0
	s_delay_alu instid0(VALU_DEP_2)
	v_add_co_ci_u32_e32 v1, vcc_lo, s7, v1, vcc_lo
	global_store_b64 v[0:1], v[7:8], off
.LBB1_107:
	s_nop 0
	s_sendmsg sendmsg(MSG_DEALLOC_VGPRS)
	s_endpgm
.LBB1_108:
	v_trunc_f64_e32 v[7:8], v[12:13]
	v_cmp_class_f64_e64 s0, v[12:13], 0x1f8
	s_mov_b32 s3, exec_lo
	s_delay_alu instid0(VALU_DEP_2) | instskip(NEXT) | instid1(VALU_DEP_1)
	v_ldexp_f64 v[14:15], v[7:8], 0xffffffe0
	v_floor_f64_e32 v[14:15], v[14:15]
	s_delay_alu instid0(VALU_DEP_1) | instskip(SKIP_1) | instid1(VALU_DEP_2)
	v_fma_f64 v[7:8], 0xc1f00000, v[14:15], v[7:8]
	v_cvt_i32_f64_e32 v14, v[14:15]
	v_cvt_u32_f64_e32 v7, v[7:8]
	s_delay_alu instid0(VALU_DEP_2) | instskip(NEXT) | instid1(VALU_DEP_2)
	v_cndmask_b32_e64 v13, -1, v14, s0
	v_cndmask_b32_e64 v12, -1, v7, s0
	v_mov_b32_e32 v7, 0
	v_mov_b32_e32 v8, 0
	s_delay_alu instid0(VALU_DEP_3)
	v_cmpx_lt_i64_e32 -1, v[12:13]
	s_cbranch_execz .LBB1_120
; %bb.109:
	v_mov_b32_e32 v7, 0
	v_mov_b32_e32 v8, 0x3ff00000
	s_mov_b32 s8, exec_lo
	v_cmpx_lt_i64_e32 0, v[12:13]
	s_cbranch_execz .LBB1_119
; %bb.110:
	s_mov_b32 s4, exec_lo
	v_cmpx_ne_u64_e32 1, v[12:13]
	s_xor_b32 s9, exec_lo, s4
	s_cbranch_execz .LBB1_116
; %bb.111:
	v_mov_b32_e32 v7, 0
	v_mov_b32_e32 v8, 0x7ff80000
	s_mov_b32 s11, exec_lo
	v_cmpx_gt_u64_e32 0x201, v[12:13]
	s_cbranch_execz .LBB1_115
; %bb.112:
	v_lshlrev_b64 v[12:13], 1, v[12:13]
	v_dual_mov_b32 v14, 0 :: v_dual_mov_b32 v7, v9
	v_dual_mov_b32 v15, 0x3ff00000 :: v_dual_mov_b32 v8, v10
	s_mov_b64 s[4:5], 2
	s_mov_b32 s12, 0
	.p2align	6
.LBB1_113:                              ; =>This Inner Loop Header: Depth=1
	v_cvt_f64_u32_e32 v[16:17], s5
	v_cvt_f64_u32_e32 v[18:19], s4
	s_add_u32 s4, s4, 2
	s_addc_u32 s5, s5, 0
	s_delay_alu instid0(SALU_CYCLE_1) | instskip(NEXT) | instid1(VALU_DEP_1)
	v_cmp_ge_u64_e64 s0, s[4:5], v[12:13]
	s_or_b32 s12, s0, s12
	s_delay_alu instid0(VALU_DEP_3) | instskip(NEXT) | instid1(VALU_DEP_1)
	v_ldexp_f64 v[16:17], v[16:17], 32
	v_add_f64 v[16:17], v[16:17], v[18:19]
	s_delay_alu instid0(VALU_DEP_1) | instskip(SKIP_1) | instid1(VALU_DEP_1)
	v_mul_f64 v[14:15], v[14:15], v[16:17]
	v_dual_mov_b32 v17, v8 :: v_dual_mov_b32 v16, v7
	v_fma_f64 v[7:8], v[9:10], v[16:17], -v[14:15]
	v_dual_mov_b32 v14, v16 :: v_dual_mov_b32 v15, v17
	s_and_not1_b32 exec_lo, exec_lo, s12
	s_cbranch_execnz .LBB1_113
; %bb.114:
	s_or_b32 exec_lo, exec_lo, s12
.LBB1_115:
	s_delay_alu instid0(SALU_CYCLE_1)
	s_or_b32 exec_lo, exec_lo, s11
                                        ; implicit-def: $vgpr9_vgpr10
.LBB1_116:
	s_and_not1_saveexec_b32 s0, s9
; %bb.117:
	v_dual_mov_b32 v7, v9 :: v_dual_mov_b32 v8, v10
; %bb.118:
	s_or_b32 exec_lo, exec_lo, s0
.LBB1_119:
	s_delay_alu instid0(SALU_CYCLE_1)
	s_or_b32 exec_lo, exec_lo, s8
.LBB1_120:
	s_delay_alu instid0(SALU_CYCLE_1) | instskip(NEXT) | instid1(SALU_CYCLE_1)
	s_or_b32 exec_lo, exec_lo, s3
	s_or_b32 exec_lo, exec_lo, s1
	s_and_saveexec_b32 s0, vcc_lo
	s_delay_alu instid0(SALU_CYCLE_1)
	s_xor_b32 s0, exec_lo, s0
	s_cbranch_execz .LBB1_103
.LBB1_121:
	v_mov_b32_e32 v12, 0
	v_mov_b32_e32 v0, v20
	s_delay_alu instid0(VALU_DEP_2) | instskip(NEXT) | instid1(VALU_DEP_1)
	v_lshlrev_b64 v[9:10], 3, v[11:12]
	v_add_co_u32 v9, vcc_lo, s6, v9
	s_delay_alu instid0(VALU_DEP_2) | instskip(SKIP_2) | instid1(SALU_CYCLE_1)
	v_add_co_ci_u32_e32 v10, vcc_lo, s7, v10, vcc_lo
	global_store_b64 v[9:10], v[1:2], off
	s_or_b32 exec_lo, exec_lo, s0
	s_mov_b32 s0, exec_lo
	v_cmpx_gt_i32_e64 s10, v0
	s_cbranch_execz .LBB1_104
.LBB1_122:
	v_dual_mov_b32 v2, 0 :: v_dual_add_nc_u32 v1, s2, v0
	v_add_nc_u32_e32 v0, 0x100, v0
	s_delay_alu instid0(VALU_DEP_2) | instskip(NEXT) | instid1(VALU_DEP_1)
	v_lshlrev_b64 v[1:2], 3, v[1:2]
	v_add_co_u32 v1, vcc_lo, s6, v1
	s_delay_alu instid0(VALU_DEP_2) | instskip(SKIP_2) | instid1(SALU_CYCLE_1)
	v_add_co_ci_u32_e32 v2, vcc_lo, s7, v2, vcc_lo
	global_store_b64 v[1:2], v[3:4], off
	s_or_b32 exec_lo, exec_lo, s0
	s_mov_b32 s0, exec_lo
	v_cmpx_gt_i32_e64 s10, v0
	s_cbranch_execz .LBB1_105
.LBB1_123:
	v_dual_mov_b32 v2, 0 :: v_dual_add_nc_u32 v1, s2, v0
	v_add_nc_u32_e32 v0, 0x100, v0
	s_delay_alu instid0(VALU_DEP_2) | instskip(NEXT) | instid1(VALU_DEP_1)
	v_lshlrev_b64 v[1:2], 3, v[1:2]
	v_add_co_u32 v1, vcc_lo, s6, v1
	s_delay_alu instid0(VALU_DEP_2) | instskip(SKIP_2) | instid1(SALU_CYCLE_1)
	v_add_co_ci_u32_e32 v2, vcc_lo, s7, v2, vcc_lo
	global_store_b64 v[1:2], v[5:6], off
	s_or_b32 exec_lo, exec_lo, s0
	s_mov_b32 s0, exec_lo
	v_cmpx_gt_i32_e64 s10, v0
	s_cbranch_execnz .LBB1_106
	s_branch .LBB1_107
	.section	.rodata,"a",@progbits
	.p2align	6, 0x0
	.amdhsa_kernel _ZN2at6native29vectorized_elementwise_kernelILi8ENS0_13AUnaryFunctorIdddZZZNS0_12_GLOBAL__N_132hermite_polynomial_h_kernel_cudaERNS_18TensorIteratorBaseEENKUlvE_clEvENKUlvE_clEvEUlddE_EESt5arrayIPcLm2EEEEviT0_T1_
		.amdhsa_group_segment_fixed_size 0
		.amdhsa_private_segment_fixed_size 0
		.amdhsa_kernarg_size 40
		.amdhsa_user_sgpr_count 15
		.amdhsa_user_sgpr_dispatch_ptr 0
		.amdhsa_user_sgpr_queue_ptr 0
		.amdhsa_user_sgpr_kernarg_segment_ptr 1
		.amdhsa_user_sgpr_dispatch_id 0
		.amdhsa_user_sgpr_private_segment_size 0
		.amdhsa_wavefront_size32 1
		.amdhsa_uses_dynamic_stack 0
		.amdhsa_enable_private_segment 0
		.amdhsa_system_sgpr_workgroup_id_x 1
		.amdhsa_system_sgpr_workgroup_id_y 0
		.amdhsa_system_sgpr_workgroup_id_z 0
		.amdhsa_system_sgpr_workgroup_info 0
		.amdhsa_system_vgpr_workitem_id 0
		.amdhsa_next_free_vgpr 25
		.amdhsa_next_free_sgpr 16
		.amdhsa_reserve_vcc 1
		.amdhsa_float_round_mode_32 0
		.amdhsa_float_round_mode_16_64 0
		.amdhsa_float_denorm_mode_32 3
		.amdhsa_float_denorm_mode_16_64 3
		.amdhsa_dx10_clamp 1
		.amdhsa_ieee_mode 1
		.amdhsa_fp16_overflow 0
		.amdhsa_workgroup_processor_mode 1
		.amdhsa_memory_ordered 1
		.amdhsa_forward_progress 0
		.amdhsa_shared_vgpr_count 0
		.amdhsa_exception_fp_ieee_invalid_op 0
		.amdhsa_exception_fp_denorm_src 0
		.amdhsa_exception_fp_ieee_div_zero 0
		.amdhsa_exception_fp_ieee_overflow 0
		.amdhsa_exception_fp_ieee_underflow 0
		.amdhsa_exception_fp_ieee_inexact 0
		.amdhsa_exception_int_div_zero 0
	.end_amdhsa_kernel
	.section	.text._ZN2at6native29vectorized_elementwise_kernelILi8ENS0_13AUnaryFunctorIdddZZZNS0_12_GLOBAL__N_132hermite_polynomial_h_kernel_cudaERNS_18TensorIteratorBaseEENKUlvE_clEvENKUlvE_clEvEUlddE_EESt5arrayIPcLm2EEEEviT0_T1_,"axG",@progbits,_ZN2at6native29vectorized_elementwise_kernelILi8ENS0_13AUnaryFunctorIdddZZZNS0_12_GLOBAL__N_132hermite_polynomial_h_kernel_cudaERNS_18TensorIteratorBaseEENKUlvE_clEvENKUlvE_clEvEUlddE_EESt5arrayIPcLm2EEEEviT0_T1_,comdat
.Lfunc_end1:
	.size	_ZN2at6native29vectorized_elementwise_kernelILi8ENS0_13AUnaryFunctorIdddZZZNS0_12_GLOBAL__N_132hermite_polynomial_h_kernel_cudaERNS_18TensorIteratorBaseEENKUlvE_clEvENKUlvE_clEvEUlddE_EESt5arrayIPcLm2EEEEviT0_T1_, .Lfunc_end1-_ZN2at6native29vectorized_elementwise_kernelILi8ENS0_13AUnaryFunctorIdddZZZNS0_12_GLOBAL__N_132hermite_polynomial_h_kernel_cudaERNS_18TensorIteratorBaseEENKUlvE_clEvENKUlvE_clEvEUlddE_EESt5arrayIPcLm2EEEEviT0_T1_
                                        ; -- End function
	.section	.AMDGPU.csdata,"",@progbits
; Kernel info:
; codeLenInByte = 3780
; NumSgprs: 18
; NumVgprs: 25
; ScratchSize: 0
; MemoryBound: 0
; FloatMode: 240
; IeeeMode: 1
; LDSByteSize: 0 bytes/workgroup (compile time only)
; SGPRBlocks: 2
; VGPRBlocks: 3
; NumSGPRsForWavesPerEU: 18
; NumVGPRsForWavesPerEU: 25
; Occupancy: 16
; WaveLimiterHint : 0
; COMPUTE_PGM_RSRC2:SCRATCH_EN: 0
; COMPUTE_PGM_RSRC2:USER_SGPR: 15
; COMPUTE_PGM_RSRC2:TRAP_HANDLER: 0
; COMPUTE_PGM_RSRC2:TGID_X_EN: 1
; COMPUTE_PGM_RSRC2:TGID_Y_EN: 0
; COMPUTE_PGM_RSRC2:TGID_Z_EN: 0
; COMPUTE_PGM_RSRC2:TIDIG_COMP_CNT: 0
	.section	.text._ZN2at6native29vectorized_elementwise_kernelILi4ENS0_13AUnaryFunctorIdddZZZNS0_12_GLOBAL__N_132hermite_polynomial_h_kernel_cudaERNS_18TensorIteratorBaseEENKUlvE_clEvENKUlvE_clEvEUlddE_EESt5arrayIPcLm2EEEEviT0_T1_,"axG",@progbits,_ZN2at6native29vectorized_elementwise_kernelILi4ENS0_13AUnaryFunctorIdddZZZNS0_12_GLOBAL__N_132hermite_polynomial_h_kernel_cudaERNS_18TensorIteratorBaseEENKUlvE_clEvENKUlvE_clEvEUlddE_EESt5arrayIPcLm2EEEEviT0_T1_,comdat
	.globl	_ZN2at6native29vectorized_elementwise_kernelILi4ENS0_13AUnaryFunctorIdddZZZNS0_12_GLOBAL__N_132hermite_polynomial_h_kernel_cudaERNS_18TensorIteratorBaseEENKUlvE_clEvENKUlvE_clEvEUlddE_EESt5arrayIPcLm2EEEEviT0_T1_ ; -- Begin function _ZN2at6native29vectorized_elementwise_kernelILi4ENS0_13AUnaryFunctorIdddZZZNS0_12_GLOBAL__N_132hermite_polynomial_h_kernel_cudaERNS_18TensorIteratorBaseEENKUlvE_clEvENKUlvE_clEvEUlddE_EESt5arrayIPcLm2EEEEviT0_T1_
	.p2align	8
	.type	_ZN2at6native29vectorized_elementwise_kernelILi4ENS0_13AUnaryFunctorIdddZZZNS0_12_GLOBAL__N_132hermite_polynomial_h_kernel_cudaERNS_18TensorIteratorBaseEENKUlvE_clEvENKUlvE_clEvEUlddE_EESt5arrayIPcLm2EEEEviT0_T1_,@function
_ZN2at6native29vectorized_elementwise_kernelILi4ENS0_13AUnaryFunctorIdddZZZNS0_12_GLOBAL__N_132hermite_polynomial_h_kernel_cudaERNS_18TensorIteratorBaseEENKUlvE_clEvENKUlvE_clEvEUlddE_EESt5arrayIPcLm2EEEEviT0_T1_: ; @_ZN2at6native29vectorized_elementwise_kernelILi4ENS0_13AUnaryFunctorIdddZZZNS0_12_GLOBAL__N_132hermite_polynomial_h_kernel_cudaERNS_18TensorIteratorBaseEENKUlvE_clEvENKUlvE_clEvEUlddE_EESt5arrayIPcLm2EEEEviT0_T1_
; %bb.0:
	s_clause 0x2
	s_load_b128 s[4:7], s[0:1], 0x10
	s_load_b32 s3, s[0:1], 0x0
	s_load_b64 s[8:9], s[0:1], 0x20
	s_lshl_b32 s2, s15, 10
	s_mov_b32 s0, -1
	s_waitcnt lgkmcnt(0)
	s_sub_i32 s10, s3, s2
	v_add_f64 v[9:10], s[4:5], s[4:5]
	s_cmpk_gt_i32 s10, 0x3ff
	s_cbranch_scc0 .LBB2_50
; %bb.1:
	s_ashr_i32 s3, s2, 31
	v_lshlrev_b32_e32 v17, 5, v0
	s_lshl_b64 s[0:1], s[2:3], 3
	s_mov_b32 s3, exec_lo
	s_add_u32 s12, s8, s0
	s_addc_u32 s13, s9, s1
	s_clause 0x1
	global_load_b128 v[1:4], v17, s[12:13]
	global_load_b128 v[5:8], v17, s[12:13] offset:16
	s_waitcnt vmcnt(1)
	v_trunc_f64_e32 v[11:12], v[1:2]
	v_cmp_class_f64_e64 vcc_lo, v[1:2], 0x1f8
	v_mov_b32_e32 v1, 0
	v_mov_b32_e32 v2, 0
	s_delay_alu instid0(VALU_DEP_4) | instskip(NEXT) | instid1(VALU_DEP_1)
	v_ldexp_f64 v[13:14], v[11:12], 0xffffffe0
	v_floor_f64_e32 v[13:14], v[13:14]
	s_delay_alu instid0(VALU_DEP_1) | instskip(SKIP_1) | instid1(VALU_DEP_2)
	v_fma_f64 v[11:12], 0xc1f00000, v[13:14], v[11:12]
	v_cvt_i32_f64_e32 v13, v[13:14]
	v_cvt_u32_f64_e32 v15, v[11:12]
	s_delay_alu instid0(VALU_DEP_2) | instskip(SKIP_1) | instid1(VALU_DEP_3)
	v_cndmask_b32_e32 v14, -1, v13, vcc_lo
	v_add_f64 v[11:12], s[4:5], s[4:5]
	v_cndmask_b32_e32 v13, -1, v15, vcc_lo
	s_delay_alu instid0(VALU_DEP_1)
	v_cmpx_lt_i64_e32 -1, v[13:14]
	s_cbranch_execz .LBB2_13
; %bb.2:
	v_mov_b32_e32 v1, 0
	v_mov_b32_e32 v2, 0x3ff00000
	s_mov_b32 s11, exec_lo
	v_cmpx_lt_i64_e32 0, v[13:14]
	s_cbranch_execz .LBB2_12
; %bb.3:
                                        ; implicit-def: $vgpr1_vgpr2
	s_mov_b32 s4, exec_lo
	v_cmpx_ne_u64_e32 1, v[13:14]
	s_xor_b32 s12, exec_lo, s4
	s_cbranch_execz .LBB2_9
; %bb.4:
	v_mov_b32_e32 v1, 0
	v_mov_b32_e32 v2, 0x7ff80000
	s_mov_b32 s13, exec_lo
	v_cmpx_gt_u64_e32 0x201, v[13:14]
	s_cbranch_execz .LBB2_8
; %bb.5:
	v_mov_b32_e32 v15, 0
	v_lshlrev_b64 v[13:14], 1, v[13:14]
	v_dual_mov_b32 v16, 0x3ff00000 :: v_dual_mov_b32 v1, v11
	v_mov_b32_e32 v2, v12
	s_mov_b64 s[4:5], 2
	s_mov_b32 s14, 0
	.p2align	6
.LBB2_6:                                ; =>This Inner Loop Header: Depth=1
	v_cvt_f64_u32_e32 v[18:19], s5
	v_cvt_f64_u32_e32 v[20:21], s4
	s_add_u32 s4, s4, 2
	s_addc_u32 s5, s5, 0
	s_delay_alu instid0(SALU_CYCLE_1) | instskip(SKIP_1) | instid1(VALU_DEP_3)
	v_cmp_ge_u64_e32 vcc_lo, s[4:5], v[13:14]
	s_or_b32 s14, vcc_lo, s14
	v_ldexp_f64 v[18:19], v[18:19], 32
	s_delay_alu instid0(VALU_DEP_1) | instskip(NEXT) | instid1(VALU_DEP_1)
	v_add_f64 v[18:19], v[18:19], v[20:21]
	v_mul_f64 v[15:16], v[15:16], v[18:19]
	v_dual_mov_b32 v19, v2 :: v_dual_mov_b32 v18, v1
	s_delay_alu instid0(VALU_DEP_1)
	v_fma_f64 v[1:2], v[11:12], v[18:19], -v[15:16]
	v_dual_mov_b32 v15, v18 :: v_dual_mov_b32 v16, v19
	s_and_not1_b32 exec_lo, exec_lo, s14
	s_cbranch_execnz .LBB2_6
; %bb.7:
	s_or_b32 exec_lo, exec_lo, s14
.LBB2_8:
	s_delay_alu instid0(SALU_CYCLE_1)
	s_or_b32 exec_lo, exec_lo, s13
.LBB2_9:
	s_and_not1_saveexec_b32 s4, s12
; %bb.10:
	v_dual_mov_b32 v1, v11 :: v_dual_mov_b32 v2, v12
; %bb.11:
	s_or_b32 exec_lo, exec_lo, s4
.LBB2_12:
	s_delay_alu instid0(SALU_CYCLE_1)
	s_or_b32 exec_lo, exec_lo, s11
.LBB2_13:
	s_delay_alu instid0(SALU_CYCLE_1)
	s_or_b32 exec_lo, exec_lo, s3
	v_trunc_f64_e32 v[13:14], v[3:4]
	v_cmp_class_f64_e64 vcc_lo, v[3:4], 0x1f8
	v_mov_b32_e32 v3, 0
	v_mov_b32_e32 v4, 0
	s_mov_b32 s3, exec_lo
	s_delay_alu instid0(VALU_DEP_4) | instskip(NEXT) | instid1(VALU_DEP_1)
	v_ldexp_f64 v[15:16], v[13:14], 0xffffffe0
	v_floor_f64_e32 v[15:16], v[15:16]
	s_delay_alu instid0(VALU_DEP_1) | instskip(SKIP_1) | instid1(VALU_DEP_2)
	v_fma_f64 v[13:14], 0xc1f00000, v[15:16], v[13:14]
	v_cvt_i32_f64_e32 v15, v[15:16]
	v_cvt_u32_f64_e32 v13, v[13:14]
	s_delay_alu instid0(VALU_DEP_1) | instskip(NEXT) | instid1(VALU_DEP_1)
	v_dual_cndmask_b32 v14, -1, v15 :: v_dual_cndmask_b32 v13, -1, v13
	v_cmpx_lt_i64_e32 -1, v[13:14]
	s_cbranch_execz .LBB2_25
; %bb.14:
	v_mov_b32_e32 v3, 0
	v_mov_b32_e32 v4, 0x3ff00000
	s_mov_b32 s11, exec_lo
	v_cmpx_lt_i64_e32 0, v[13:14]
	s_cbranch_execz .LBB2_24
; %bb.15:
	s_mov_b32 s4, exec_lo
	v_cmpx_ne_u64_e32 1, v[13:14]
	s_xor_b32 s12, exec_lo, s4
	s_cbranch_execz .LBB2_21
; %bb.16:
	v_mov_b32_e32 v3, 0
	v_mov_b32_e32 v4, 0x7ff80000
	s_mov_b32 s13, exec_lo
	v_cmpx_gt_u64_e32 0x201, v[13:14]
	s_cbranch_execz .LBB2_20
; %bb.17:
	v_mov_b32_e32 v15, 0
	v_lshlrev_b64 v[13:14], 1, v[13:14]
	v_dual_mov_b32 v16, 0x3ff00000 :: v_dual_mov_b32 v3, v11
	v_mov_b32_e32 v4, v12
	s_mov_b64 s[4:5], 2
	s_mov_b32 s14, 0
	.p2align	6
.LBB2_18:                               ; =>This Inner Loop Header: Depth=1
	v_cvt_f64_u32_e32 v[18:19], s5
	v_cvt_f64_u32_e32 v[20:21], s4
	s_add_u32 s4, s4, 2
	s_addc_u32 s5, s5, 0
	s_delay_alu instid0(SALU_CYCLE_1) | instskip(SKIP_1) | instid1(VALU_DEP_3)
	v_cmp_ge_u64_e32 vcc_lo, s[4:5], v[13:14]
	s_or_b32 s14, vcc_lo, s14
	v_ldexp_f64 v[18:19], v[18:19], 32
	s_delay_alu instid0(VALU_DEP_1) | instskip(NEXT) | instid1(VALU_DEP_1)
	v_add_f64 v[18:19], v[18:19], v[20:21]
	v_mul_f64 v[15:16], v[15:16], v[18:19]
	v_dual_mov_b32 v19, v4 :: v_dual_mov_b32 v18, v3
	s_delay_alu instid0(VALU_DEP_1)
	v_fma_f64 v[3:4], v[11:12], v[18:19], -v[15:16]
	v_dual_mov_b32 v15, v18 :: v_dual_mov_b32 v16, v19
	s_and_not1_b32 exec_lo, exec_lo, s14
	s_cbranch_execnz .LBB2_18
; %bb.19:
	s_or_b32 exec_lo, exec_lo, s14
.LBB2_20:
	s_delay_alu instid0(SALU_CYCLE_1)
	s_or_b32 exec_lo, exec_lo, s13
.LBB2_21:
	s_and_not1_saveexec_b32 s4, s12
; %bb.22:
	v_dual_mov_b32 v3, v11 :: v_dual_mov_b32 v4, v12
; %bb.23:
	s_or_b32 exec_lo, exec_lo, s4
.LBB2_24:
	s_delay_alu instid0(SALU_CYCLE_1)
	s_or_b32 exec_lo, exec_lo, s11
.LBB2_25:
	s_delay_alu instid0(SALU_CYCLE_1)
	s_or_b32 exec_lo, exec_lo, s3
	s_waitcnt vmcnt(0)
	v_trunc_f64_e32 v[13:14], v[5:6]
	v_cmp_class_f64_e64 vcc_lo, v[5:6], 0x1f8
	v_mov_b32_e32 v5, 0
	v_mov_b32_e32 v6, 0
	s_mov_b32 s3, exec_lo
	s_delay_alu instid0(VALU_DEP_4) | instskip(NEXT) | instid1(VALU_DEP_1)
	v_ldexp_f64 v[15:16], v[13:14], 0xffffffe0
	v_floor_f64_e32 v[15:16], v[15:16]
	s_delay_alu instid0(VALU_DEP_1) | instskip(SKIP_1) | instid1(VALU_DEP_2)
	v_fma_f64 v[13:14], 0xc1f00000, v[15:16], v[13:14]
	v_cvt_i32_f64_e32 v15, v[15:16]
	v_cvt_u32_f64_e32 v13, v[13:14]
	s_delay_alu instid0(VALU_DEP_1) | instskip(NEXT) | instid1(VALU_DEP_1)
	v_dual_cndmask_b32 v14, -1, v15 :: v_dual_cndmask_b32 v13, -1, v13
	v_cmpx_lt_i64_e32 -1, v[13:14]
	s_cbranch_execz .LBB2_37
; %bb.26:
	v_mov_b32_e32 v5, 0
	v_mov_b32_e32 v6, 0x3ff00000
	s_mov_b32 s11, exec_lo
	v_cmpx_lt_i64_e32 0, v[13:14]
	s_cbranch_execz .LBB2_36
; %bb.27:
                                        ; implicit-def: $vgpr5_vgpr6
	s_mov_b32 s4, exec_lo
	v_cmpx_ne_u64_e32 1, v[13:14]
	s_xor_b32 s12, exec_lo, s4
	s_cbranch_execz .LBB2_33
; %bb.28:
	v_mov_b32_e32 v5, 0
	v_mov_b32_e32 v6, 0x7ff80000
	s_mov_b32 s13, exec_lo
	v_cmpx_gt_u64_e32 0x201, v[13:14]
	s_cbranch_execz .LBB2_32
; %bb.29:
	v_mov_b32_e32 v15, 0
	v_lshlrev_b64 v[13:14], 1, v[13:14]
	v_dual_mov_b32 v16, 0x3ff00000 :: v_dual_mov_b32 v5, v11
	v_mov_b32_e32 v6, v12
	s_mov_b64 s[4:5], 2
	s_mov_b32 s14, 0
	.p2align	6
.LBB2_30:                               ; =>This Inner Loop Header: Depth=1
	v_cvt_f64_u32_e32 v[18:19], s5
	v_cvt_f64_u32_e32 v[20:21], s4
	s_add_u32 s4, s4, 2
	s_addc_u32 s5, s5, 0
	s_delay_alu instid0(SALU_CYCLE_1) | instskip(SKIP_1) | instid1(VALU_DEP_3)
	v_cmp_ge_u64_e32 vcc_lo, s[4:5], v[13:14]
	s_or_b32 s14, vcc_lo, s14
	v_ldexp_f64 v[18:19], v[18:19], 32
	s_delay_alu instid0(VALU_DEP_1) | instskip(NEXT) | instid1(VALU_DEP_1)
	v_add_f64 v[18:19], v[18:19], v[20:21]
	v_mul_f64 v[15:16], v[15:16], v[18:19]
	v_dual_mov_b32 v19, v6 :: v_dual_mov_b32 v18, v5
	s_delay_alu instid0(VALU_DEP_1)
	v_fma_f64 v[5:6], v[11:12], v[18:19], -v[15:16]
	v_dual_mov_b32 v15, v18 :: v_dual_mov_b32 v16, v19
	s_and_not1_b32 exec_lo, exec_lo, s14
	s_cbranch_execnz .LBB2_30
; %bb.31:
	s_or_b32 exec_lo, exec_lo, s14
.LBB2_32:
	s_delay_alu instid0(SALU_CYCLE_1)
	s_or_b32 exec_lo, exec_lo, s13
.LBB2_33:
	s_and_not1_saveexec_b32 s4, s12
; %bb.34:
	v_dual_mov_b32 v5, v11 :: v_dual_mov_b32 v6, v12
; %bb.35:
	s_or_b32 exec_lo, exec_lo, s4
.LBB2_36:
	s_delay_alu instid0(SALU_CYCLE_1)
	s_or_b32 exec_lo, exec_lo, s11
.LBB2_37:
	s_delay_alu instid0(SALU_CYCLE_1)
	s_or_b32 exec_lo, exec_lo, s3
	v_trunc_f64_e32 v[13:14], v[7:8]
	v_cmp_class_f64_e64 vcc_lo, v[7:8], 0x1f8
	v_mov_b32_e32 v7, 0
	v_mov_b32_e32 v8, 0
	s_mov_b32 s3, exec_lo
	s_delay_alu instid0(VALU_DEP_4) | instskip(NEXT) | instid1(VALU_DEP_1)
	v_ldexp_f64 v[15:16], v[13:14], 0xffffffe0
	v_floor_f64_e32 v[15:16], v[15:16]
	s_delay_alu instid0(VALU_DEP_1) | instskip(SKIP_1) | instid1(VALU_DEP_2)
	v_fma_f64 v[13:14], 0xc1f00000, v[15:16], v[13:14]
	v_cvt_i32_f64_e32 v15, v[15:16]
	v_cvt_u32_f64_e32 v13, v[13:14]
	s_delay_alu instid0(VALU_DEP_1) | instskip(NEXT) | instid1(VALU_DEP_1)
	v_dual_cndmask_b32 v14, -1, v15 :: v_dual_cndmask_b32 v13, -1, v13
	v_cmpx_lt_i64_e32 -1, v[13:14]
	s_cbranch_execz .LBB2_49
; %bb.38:
	v_mov_b32_e32 v7, 0
	v_mov_b32_e32 v8, 0x3ff00000
	s_mov_b32 s11, exec_lo
	v_cmpx_lt_i64_e32 0, v[13:14]
	s_cbranch_execz .LBB2_48
; %bb.39:
	s_mov_b32 s4, exec_lo
	v_cmpx_ne_u64_e32 1, v[13:14]
	s_xor_b32 s12, exec_lo, s4
	s_cbranch_execz .LBB2_45
; %bb.40:
	v_mov_b32_e32 v7, 0
	v_mov_b32_e32 v8, 0x7ff80000
	s_mov_b32 s13, exec_lo
	v_cmpx_gt_u64_e32 0x201, v[13:14]
	s_cbranch_execz .LBB2_44
; %bb.41:
	v_mov_b32_e32 v15, 0
	v_lshlrev_b64 v[13:14], 1, v[13:14]
	v_dual_mov_b32 v16, 0x3ff00000 :: v_dual_mov_b32 v7, v11
	v_mov_b32_e32 v8, v12
	s_mov_b64 s[4:5], 2
	s_mov_b32 s14, 0
	.p2align	6
.LBB2_42:                               ; =>This Inner Loop Header: Depth=1
	v_cvt_f64_u32_e32 v[18:19], s5
	v_cvt_f64_u32_e32 v[20:21], s4
	s_add_u32 s4, s4, 2
	s_addc_u32 s5, s5, 0
	s_delay_alu instid0(SALU_CYCLE_1) | instskip(SKIP_1) | instid1(VALU_DEP_3)
	v_cmp_ge_u64_e32 vcc_lo, s[4:5], v[13:14]
	s_or_b32 s14, vcc_lo, s14
	v_ldexp_f64 v[18:19], v[18:19], 32
	s_delay_alu instid0(VALU_DEP_1) | instskip(NEXT) | instid1(VALU_DEP_1)
	v_add_f64 v[18:19], v[18:19], v[20:21]
	v_mul_f64 v[15:16], v[15:16], v[18:19]
	v_dual_mov_b32 v19, v8 :: v_dual_mov_b32 v18, v7
	s_delay_alu instid0(VALU_DEP_1)
	v_fma_f64 v[7:8], v[11:12], v[18:19], -v[15:16]
	v_dual_mov_b32 v15, v18 :: v_dual_mov_b32 v16, v19
	s_and_not1_b32 exec_lo, exec_lo, s14
	s_cbranch_execnz .LBB2_42
; %bb.43:
	s_or_b32 exec_lo, exec_lo, s14
.LBB2_44:
	s_delay_alu instid0(SALU_CYCLE_1)
	s_or_b32 exec_lo, exec_lo, s13
                                        ; implicit-def: $vgpr11_vgpr12
.LBB2_45:
	s_and_not1_saveexec_b32 s4, s12
; %bb.46:
	v_dual_mov_b32 v7, v11 :: v_dual_mov_b32 v8, v12
; %bb.47:
	s_or_b32 exec_lo, exec_lo, s4
.LBB2_48:
	s_delay_alu instid0(SALU_CYCLE_1)
	s_or_b32 exec_lo, exec_lo, s11
.LBB2_49:
	s_delay_alu instid0(SALU_CYCLE_1)
	s_or_b32 exec_lo, exec_lo, s3
	s_add_u32 s4, s6, s0
	s_addc_u32 s5, s7, s1
	s_mov_b32 s0, 0
	s_clause 0x1
	global_store_b128 v17, v[1:4], s[4:5]
	global_store_b128 v17, v[5:8], s[4:5] offset:16
.LBB2_50:
	s_and_b32 vcc_lo, exec_lo, s0
	s_cbranch_vccz .LBB2_107
; %bb.51:
	v_dual_mov_b32 v16, 0 :: v_dual_mov_b32 v1, v0
	v_mov_b32_e32 v17, 0
	v_cmp_gt_i32_e32 vcc_lo, s10, v0
	v_or_b32_e32 v11, s2, v0
	v_or_b32_e32 v20, 0x100, v0
	s_delay_alu instid0(VALU_DEP_4)
	v_dual_mov_b32 v19, v17 :: v_dual_mov_b32 v18, v16
	s_and_saveexec_b32 s1, vcc_lo
	s_cbranch_execz .LBB2_53
; %bb.52:
	v_mov_b32_e32 v12, 0
	s_delay_alu instid0(VALU_DEP_1) | instskip(NEXT) | instid1(VALU_DEP_1)
	v_lshlrev_b64 v[1:2], 3, v[11:12]
	v_add_co_u32 v1, s0, s8, v1
	s_delay_alu instid0(VALU_DEP_1)
	v_add_co_ci_u32_e64 v2, s0, s9, v2, s0
	global_load_b64 v[18:19], v[1:2], off
	v_or_b32_e32 v1, 0x100, v0
.LBB2_53:
	s_or_b32 exec_lo, exec_lo, s1
	s_delay_alu instid0(SALU_CYCLE_1) | instskip(NEXT) | instid1(VALU_DEP_1)
	s_mov_b32 s1, exec_lo
	v_cmpx_gt_i32_e64 s10, v1
	s_cbranch_execz .LBB2_55
; %bb.54:
	v_dual_mov_b32 v3, 0 :: v_dual_add_nc_u32 v2, s2, v1
	v_add_nc_u32_e32 v1, 0x100, v1
	s_delay_alu instid0(VALU_DEP_2) | instskip(NEXT) | instid1(VALU_DEP_1)
	v_lshlrev_b64 v[2:3], 3, v[2:3]
	v_add_co_u32 v2, s0, s8, v2
	s_delay_alu instid0(VALU_DEP_1)
	v_add_co_ci_u32_e64 v3, s0, s9, v3, s0
	global_load_b64 v[16:17], v[2:3], off
.LBB2_55:
	s_or_b32 exec_lo, exec_lo, s1
	v_mov_b32_e32 v12, 0
	v_mov_b32_e32 v13, 0
	s_mov_b32 s1, exec_lo
	s_delay_alu instid0(VALU_DEP_1)
	v_dual_mov_b32 v15, v13 :: v_dual_mov_b32 v14, v12
	v_cmpx_gt_i32_e64 s10, v1
	s_cbranch_execnz .LBB2_59
; %bb.56:
	s_or_b32 exec_lo, exec_lo, s1
	s_delay_alu instid0(SALU_CYCLE_1)
	s_mov_b32 s1, exec_lo
	v_cmpx_gt_i32_e64 s10, v1
	s_cbranch_execnz .LBB2_60
.LBB2_57:
	s_or_b32 exec_lo, exec_lo, s1
                                        ; implicit-def: $vgpr1_vgpr2_vgpr3_vgpr4_vgpr5_vgpr6_vgpr7_vgpr8
	s_and_saveexec_b32 s1, vcc_lo
	s_cbranch_execnz .LBB2_61
.LBB2_58:
	s_or_b32 exec_lo, exec_lo, s1
	s_delay_alu instid0(SALU_CYCLE_1)
	s_mov_b32 s1, exec_lo
	v_cmpx_gt_i32_e64 s10, v20
	s_cbranch_execnz .LBB2_74
	s_branch .LBB2_87
.LBB2_59:
	v_dual_mov_b32 v3, 0 :: v_dual_add_nc_u32 v2, s2, v1
	v_add_nc_u32_e32 v1, 0x100, v1
	s_delay_alu instid0(VALU_DEP_2) | instskip(NEXT) | instid1(VALU_DEP_1)
	v_lshlrev_b64 v[2:3], 3, v[2:3]
	v_add_co_u32 v2, s0, s8, v2
	s_delay_alu instid0(VALU_DEP_1) | instskip(SKIP_2) | instid1(SALU_CYCLE_1)
	v_add_co_ci_u32_e64 v3, s0, s9, v3, s0
	global_load_b64 v[14:15], v[2:3], off
	s_or_b32 exec_lo, exec_lo, s1
	s_mov_b32 s1, exec_lo
	v_cmpx_gt_i32_e64 s10, v1
	s_cbranch_execz .LBB2_57
.LBB2_60:
	v_dual_mov_b32 v2, 0 :: v_dual_add_nc_u32 v1, s2, v1
	s_delay_alu instid0(VALU_DEP_1) | instskip(NEXT) | instid1(VALU_DEP_1)
	v_lshlrev_b64 v[1:2], 3, v[1:2]
	v_add_co_u32 v1, s0, s8, v1
	s_delay_alu instid0(VALU_DEP_1)
	v_add_co_ci_u32_e64 v2, s0, s9, v2, s0
	global_load_b64 v[12:13], v[1:2], off
	s_or_b32 exec_lo, exec_lo, s1
                                        ; implicit-def: $vgpr1_vgpr2_vgpr3_vgpr4_vgpr5_vgpr6_vgpr7_vgpr8
	s_and_saveexec_b32 s1, vcc_lo
	s_cbranch_execz .LBB2_58
.LBB2_61:
	s_waitcnt vmcnt(0)
	v_trunc_f64_e32 v[1:2], v[18:19]
	v_cmp_class_f64_e64 s0, v[18:19], 0x1f8
	s_mov_b32 s3, exec_lo
	s_delay_alu instid0(VALU_DEP_2) | instskip(NEXT) | instid1(VALU_DEP_1)
	v_ldexp_f64 v[3:4], v[1:2], 0xffffffe0
	v_floor_f64_e32 v[3:4], v[3:4]
	s_delay_alu instid0(VALU_DEP_1) | instskip(SKIP_1) | instid1(VALU_DEP_2)
	v_fma_f64 v[1:2], 0xc1f00000, v[3:4], v[1:2]
	v_cvt_i32_f64_e32 v3, v[3:4]
	v_cvt_u32_f64_e32 v1, v[1:2]
	s_delay_alu instid0(VALU_DEP_2) | instskip(NEXT) | instid1(VALU_DEP_2)
	v_cndmask_b32_e64 v4, -1, v3, s0
	v_cndmask_b32_e64 v3, -1, v1, s0
	v_mov_b32_e32 v1, 0
	v_mov_b32_e32 v2, 0
	s_delay_alu instid0(VALU_DEP_3)
	v_cmpx_lt_i64_e32 -1, v[3:4]
	s_cbranch_execz .LBB2_73
; %bb.62:
	v_mov_b32_e32 v1, 0
	v_mov_b32_e32 v2, 0x3ff00000
	s_mov_b32 s8, exec_lo
	v_cmpx_lt_i64_e32 0, v[3:4]
	s_cbranch_execz .LBB2_72
; %bb.63:
                                        ; implicit-def: $vgpr1_vgpr2
	s_mov_b32 s4, exec_lo
	v_cmpx_ne_u64_e32 1, v[3:4]
	s_xor_b32 s9, exec_lo, s4
	s_cbranch_execz .LBB2_69
; %bb.64:
	v_mov_b32_e32 v1, 0
	v_mov_b32_e32 v2, 0x7ff80000
	s_mov_b32 s11, exec_lo
	v_cmpx_gt_u64_e32 0x201, v[3:4]
	s_cbranch_execz .LBB2_68
; %bb.65:
	v_mov_b32_e32 v5, 0
	v_lshlrev_b64 v[3:4], 1, v[3:4]
	v_dual_mov_b32 v6, 0x3ff00000 :: v_dual_mov_b32 v1, v9
	v_mov_b32_e32 v2, v10
	s_mov_b64 s[4:5], 2
	s_mov_b32 s12, 0
	.p2align	6
.LBB2_66:                               ; =>This Inner Loop Header: Depth=1
	v_cvt_f64_u32_e32 v[7:8], s5
	v_cvt_f64_u32_e32 v[18:19], s4
	s_add_u32 s4, s4, 2
	s_addc_u32 s5, s5, 0
	s_delay_alu instid0(SALU_CYCLE_1) | instskip(NEXT) | instid1(VALU_DEP_1)
	v_cmp_ge_u64_e64 s0, s[4:5], v[3:4]
	s_or_b32 s12, s0, s12
	s_delay_alu instid0(VALU_DEP_3) | instskip(NEXT) | instid1(VALU_DEP_1)
	v_ldexp_f64 v[7:8], v[7:8], 32
	v_add_f64 v[7:8], v[7:8], v[18:19]
	s_delay_alu instid0(VALU_DEP_1) | instskip(SKIP_1) | instid1(VALU_DEP_1)
	v_mul_f64 v[5:6], v[5:6], v[7:8]
	v_dual_mov_b32 v8, v2 :: v_dual_mov_b32 v7, v1
	v_fma_f64 v[1:2], v[9:10], v[7:8], -v[5:6]
	v_dual_mov_b32 v5, v7 :: v_dual_mov_b32 v6, v8
	s_and_not1_b32 exec_lo, exec_lo, s12
	s_cbranch_execnz .LBB2_66
; %bb.67:
	s_or_b32 exec_lo, exec_lo, s12
.LBB2_68:
	s_delay_alu instid0(SALU_CYCLE_1)
	s_or_b32 exec_lo, exec_lo, s11
.LBB2_69:
	s_and_not1_saveexec_b32 s0, s9
; %bb.70:
	v_dual_mov_b32 v1, v9 :: v_dual_mov_b32 v2, v10
; %bb.71:
	s_or_b32 exec_lo, exec_lo, s0
.LBB2_72:
	s_delay_alu instid0(SALU_CYCLE_1)
	s_or_b32 exec_lo, exec_lo, s8
.LBB2_73:
	s_delay_alu instid0(SALU_CYCLE_1) | instskip(NEXT) | instid1(SALU_CYCLE_1)
	s_or_b32 exec_lo, exec_lo, s3
	s_or_b32 exec_lo, exec_lo, s1
	s_delay_alu instid0(SALU_CYCLE_1)
	s_mov_b32 s1, exec_lo
	v_cmpx_gt_i32_e64 s10, v20
	s_cbranch_execz .LBB2_87
.LBB2_74:
	s_waitcnt vmcnt(0)
	v_trunc_f64_e32 v[3:4], v[16:17]
	v_cmp_class_f64_e64 s0, v[16:17], 0x1f8
	s_mov_b32 s3, exec_lo
	s_delay_alu instid0(VALU_DEP_2) | instskip(NEXT) | instid1(VALU_DEP_1)
	v_ldexp_f64 v[18:19], v[3:4], 0xffffffe0
	v_floor_f64_e32 v[18:19], v[18:19]
	s_delay_alu instid0(VALU_DEP_1) | instskip(SKIP_1) | instid1(VALU_DEP_2)
	v_fma_f64 v[3:4], 0xc1f00000, v[18:19], v[3:4]
	v_cvt_i32_f64_e32 v18, v[18:19]
	v_cvt_u32_f64_e32 v3, v[3:4]
	s_delay_alu instid0(VALU_DEP_2) | instskip(NEXT) | instid1(VALU_DEP_2)
	v_cndmask_b32_e64 v17, -1, v18, s0
	v_cndmask_b32_e64 v16, -1, v3, s0
	v_mov_b32_e32 v3, 0
	v_mov_b32_e32 v4, 0
	s_delay_alu instid0(VALU_DEP_3)
	v_cmpx_lt_i64_e32 -1, v[16:17]
	s_cbranch_execz .LBB2_86
; %bb.75:
	v_mov_b32_e32 v3, 0
	v_mov_b32_e32 v4, 0x3ff00000
	s_mov_b32 s8, exec_lo
	v_cmpx_lt_i64_e32 0, v[16:17]
	s_cbranch_execz .LBB2_85
; %bb.76:
	s_mov_b32 s4, exec_lo
	v_cmpx_ne_u64_e32 1, v[16:17]
	s_xor_b32 s9, exec_lo, s4
	s_cbranch_execz .LBB2_82
; %bb.77:
	v_mov_b32_e32 v3, 0
	v_mov_b32_e32 v4, 0x7ff80000
	s_mov_b32 s11, exec_lo
	v_cmpx_gt_u64_e32 0x201, v[16:17]
	s_cbranch_execz .LBB2_81
; %bb.78:
	v_lshlrev_b64 v[16:17], 1, v[16:17]
	v_dual_mov_b32 v18, 0 :: v_dual_mov_b32 v3, v9
	v_dual_mov_b32 v19, 0x3ff00000 :: v_dual_mov_b32 v4, v10
	s_mov_b64 s[4:5], 2
	s_mov_b32 s12, 0
	.p2align	6
.LBB2_79:                               ; =>This Inner Loop Header: Depth=1
	v_cvt_f64_u32_e32 v[21:22], s5
	v_cvt_f64_u32_e32 v[23:24], s4
	s_add_u32 s4, s4, 2
	s_addc_u32 s5, s5, 0
	s_delay_alu instid0(SALU_CYCLE_1) | instskip(NEXT) | instid1(VALU_DEP_1)
	v_cmp_ge_u64_e64 s0, s[4:5], v[16:17]
	s_or_b32 s12, s0, s12
	s_delay_alu instid0(VALU_DEP_3) | instskip(NEXT) | instid1(VALU_DEP_1)
	v_ldexp_f64 v[21:22], v[21:22], 32
	v_add_f64 v[21:22], v[21:22], v[23:24]
	s_delay_alu instid0(VALU_DEP_1) | instskip(SKIP_1) | instid1(VALU_DEP_1)
	v_mul_f64 v[18:19], v[18:19], v[21:22]
	v_dual_mov_b32 v22, v4 :: v_dual_mov_b32 v21, v3
	v_fma_f64 v[3:4], v[9:10], v[21:22], -v[18:19]
	v_dual_mov_b32 v18, v21 :: v_dual_mov_b32 v19, v22
	s_and_not1_b32 exec_lo, exec_lo, s12
	s_cbranch_execnz .LBB2_79
; %bb.80:
	s_or_b32 exec_lo, exec_lo, s12
.LBB2_81:
	s_delay_alu instid0(SALU_CYCLE_1)
	s_or_b32 exec_lo, exec_lo, s11
.LBB2_82:
	s_and_not1_saveexec_b32 s0, s9
; %bb.83:
	v_dual_mov_b32 v3, v9 :: v_dual_mov_b32 v4, v10
; %bb.84:
	s_or_b32 exec_lo, exec_lo, s0
.LBB2_85:
	s_delay_alu instid0(SALU_CYCLE_1)
	s_or_b32 exec_lo, exec_lo, s8
.LBB2_86:
	s_delay_alu instid0(SALU_CYCLE_1)
	s_or_b32 exec_lo, exec_lo, s3
.LBB2_87:
	s_delay_alu instid0(SALU_CYCLE_1) | instskip(SKIP_3) | instid1(VALU_DEP_1)
	s_or_b32 exec_lo, exec_lo, s1
	s_waitcnt vmcnt(0)
	v_or_b32_e32 v16, 0x200, v0
	s_mov_b32 s1, exec_lo
	v_cmpx_gt_i32_e64 s10, v16
	s_cbranch_execz .LBB2_101
; %bb.88:
	v_trunc_f64_e32 v[5:6], v[14:15]
	v_cmp_class_f64_e64 s0, v[14:15], 0x1f8
	s_mov_b32 s3, exec_lo
	s_delay_alu instid0(VALU_DEP_2) | instskip(NEXT) | instid1(VALU_DEP_1)
	v_ldexp_f64 v[16:17], v[5:6], 0xffffffe0
	v_floor_f64_e32 v[16:17], v[16:17]
	s_delay_alu instid0(VALU_DEP_1) | instskip(SKIP_1) | instid1(VALU_DEP_2)
	v_fma_f64 v[5:6], 0xc1f00000, v[16:17], v[5:6]
	v_cvt_i32_f64_e32 v16, v[16:17]
	v_cvt_u32_f64_e32 v5, v[5:6]
	s_delay_alu instid0(VALU_DEP_2) | instskip(NEXT) | instid1(VALU_DEP_2)
	v_cndmask_b32_e64 v15, -1, v16, s0
	v_cndmask_b32_e64 v14, -1, v5, s0
	v_mov_b32_e32 v5, 0
	v_mov_b32_e32 v6, 0
	s_delay_alu instid0(VALU_DEP_3)
	v_cmpx_lt_i64_e32 -1, v[14:15]
	s_cbranch_execz .LBB2_100
; %bb.89:
	v_mov_b32_e32 v5, 0
	v_mov_b32_e32 v6, 0x3ff00000
	s_mov_b32 s8, exec_lo
	v_cmpx_lt_i64_e32 0, v[14:15]
	s_cbranch_execz .LBB2_99
; %bb.90:
	s_mov_b32 s4, exec_lo
	v_cmpx_ne_u64_e32 1, v[14:15]
	s_xor_b32 s9, exec_lo, s4
	s_cbranch_execz .LBB2_96
; %bb.91:
	v_mov_b32_e32 v5, 0
	v_mov_b32_e32 v6, 0x7ff80000
	s_mov_b32 s11, exec_lo
	v_cmpx_gt_u64_e32 0x201, v[14:15]
	s_cbranch_execz .LBB2_95
; %bb.92:
	v_lshlrev_b64 v[14:15], 1, v[14:15]
	v_dual_mov_b32 v16, 0 :: v_dual_mov_b32 v5, v9
	v_dual_mov_b32 v17, 0x3ff00000 :: v_dual_mov_b32 v6, v10
	s_mov_b64 s[4:5], 2
	s_mov_b32 s12, 0
	.p2align	6
.LBB2_93:                               ; =>This Inner Loop Header: Depth=1
	v_cvt_f64_u32_e32 v[18:19], s5
	v_cvt_f64_u32_e32 v[21:22], s4
	s_add_u32 s4, s4, 2
	s_addc_u32 s5, s5, 0
	s_delay_alu instid0(SALU_CYCLE_1) | instskip(NEXT) | instid1(VALU_DEP_1)
	v_cmp_ge_u64_e64 s0, s[4:5], v[14:15]
	s_or_b32 s12, s0, s12
	s_delay_alu instid0(VALU_DEP_3) | instskip(NEXT) | instid1(VALU_DEP_1)
	v_ldexp_f64 v[18:19], v[18:19], 32
	v_add_f64 v[18:19], v[18:19], v[21:22]
	s_delay_alu instid0(VALU_DEP_1) | instskip(SKIP_1) | instid1(VALU_DEP_1)
	v_mul_f64 v[16:17], v[16:17], v[18:19]
	v_dual_mov_b32 v19, v6 :: v_dual_mov_b32 v18, v5
	v_fma_f64 v[5:6], v[9:10], v[18:19], -v[16:17]
	v_dual_mov_b32 v16, v18 :: v_dual_mov_b32 v17, v19
	s_and_not1_b32 exec_lo, exec_lo, s12
	s_cbranch_execnz .LBB2_93
; %bb.94:
	s_or_b32 exec_lo, exec_lo, s12
.LBB2_95:
	s_delay_alu instid0(SALU_CYCLE_1)
	s_or_b32 exec_lo, exec_lo, s11
.LBB2_96:
	s_and_not1_saveexec_b32 s0, s9
; %bb.97:
	v_dual_mov_b32 v5, v9 :: v_dual_mov_b32 v6, v10
; %bb.98:
	s_or_b32 exec_lo, exec_lo, s0
.LBB2_99:
	s_delay_alu instid0(SALU_CYCLE_1)
	s_or_b32 exec_lo, exec_lo, s8
.LBB2_100:
	s_delay_alu instid0(SALU_CYCLE_1)
	s_or_b32 exec_lo, exec_lo, s3
.LBB2_101:
	s_delay_alu instid0(SALU_CYCLE_1) | instskip(SKIP_2) | instid1(VALU_DEP_1)
	s_or_b32 exec_lo, exec_lo, s1
	v_or_b32_e32 v14, 0x300, v0
	s_mov_b32 s1, exec_lo
	v_cmpx_gt_i32_e64 s10, v14
	s_cbranch_execnz .LBB2_108
; %bb.102:
	s_or_b32 exec_lo, exec_lo, s1
	s_and_saveexec_b32 s0, vcc_lo
	s_delay_alu instid0(SALU_CYCLE_1)
	s_xor_b32 s0, exec_lo, s0
	s_cbranch_execnz .LBB2_121
.LBB2_103:
	s_or_b32 exec_lo, exec_lo, s0
	s_delay_alu instid0(SALU_CYCLE_1)
	s_mov_b32 s0, exec_lo
	v_cmpx_gt_i32_e64 s10, v0
	s_cbranch_execnz .LBB2_122
.LBB2_104:
	s_or_b32 exec_lo, exec_lo, s0
	s_delay_alu instid0(SALU_CYCLE_1)
	s_mov_b32 s0, exec_lo
	v_cmpx_gt_i32_e64 s10, v0
	s_cbranch_execnz .LBB2_123
.LBB2_105:
	s_or_b32 exec_lo, exec_lo, s0
	s_delay_alu instid0(SALU_CYCLE_1)
	s_mov_b32 s0, exec_lo
	v_cmpx_gt_i32_e64 s10, v0
	s_cbranch_execz .LBB2_107
.LBB2_106:
	v_dual_mov_b32 v1, 0 :: v_dual_add_nc_u32 v0, s2, v0
	s_delay_alu instid0(VALU_DEP_1) | instskip(NEXT) | instid1(VALU_DEP_1)
	v_lshlrev_b64 v[0:1], 3, v[0:1]
	v_add_co_u32 v0, vcc_lo, s6, v0
	s_delay_alu instid0(VALU_DEP_2)
	v_add_co_ci_u32_e32 v1, vcc_lo, s7, v1, vcc_lo
	global_store_b64 v[0:1], v[7:8], off
.LBB2_107:
	s_nop 0
	s_sendmsg sendmsg(MSG_DEALLOC_VGPRS)
	s_endpgm
.LBB2_108:
	v_trunc_f64_e32 v[7:8], v[12:13]
	v_cmp_class_f64_e64 s0, v[12:13], 0x1f8
	s_mov_b32 s3, exec_lo
	s_delay_alu instid0(VALU_DEP_2) | instskip(NEXT) | instid1(VALU_DEP_1)
	v_ldexp_f64 v[14:15], v[7:8], 0xffffffe0
	v_floor_f64_e32 v[14:15], v[14:15]
	s_delay_alu instid0(VALU_DEP_1) | instskip(SKIP_1) | instid1(VALU_DEP_2)
	v_fma_f64 v[7:8], 0xc1f00000, v[14:15], v[7:8]
	v_cvt_i32_f64_e32 v14, v[14:15]
	v_cvt_u32_f64_e32 v7, v[7:8]
	s_delay_alu instid0(VALU_DEP_2) | instskip(NEXT) | instid1(VALU_DEP_2)
	v_cndmask_b32_e64 v13, -1, v14, s0
	v_cndmask_b32_e64 v12, -1, v7, s0
	v_mov_b32_e32 v7, 0
	v_mov_b32_e32 v8, 0
	s_delay_alu instid0(VALU_DEP_3)
	v_cmpx_lt_i64_e32 -1, v[12:13]
	s_cbranch_execz .LBB2_120
; %bb.109:
	v_mov_b32_e32 v7, 0
	v_mov_b32_e32 v8, 0x3ff00000
	s_mov_b32 s8, exec_lo
	v_cmpx_lt_i64_e32 0, v[12:13]
	s_cbranch_execz .LBB2_119
; %bb.110:
	s_mov_b32 s4, exec_lo
	v_cmpx_ne_u64_e32 1, v[12:13]
	s_xor_b32 s9, exec_lo, s4
	s_cbranch_execz .LBB2_116
; %bb.111:
	v_mov_b32_e32 v7, 0
	v_mov_b32_e32 v8, 0x7ff80000
	s_mov_b32 s11, exec_lo
	v_cmpx_gt_u64_e32 0x201, v[12:13]
	s_cbranch_execz .LBB2_115
; %bb.112:
	v_lshlrev_b64 v[12:13], 1, v[12:13]
	v_dual_mov_b32 v14, 0 :: v_dual_mov_b32 v7, v9
	v_dual_mov_b32 v15, 0x3ff00000 :: v_dual_mov_b32 v8, v10
	s_mov_b64 s[4:5], 2
	s_mov_b32 s12, 0
	.p2align	6
.LBB2_113:                              ; =>This Inner Loop Header: Depth=1
	v_cvt_f64_u32_e32 v[16:17], s5
	v_cvt_f64_u32_e32 v[18:19], s4
	s_add_u32 s4, s4, 2
	s_addc_u32 s5, s5, 0
	s_delay_alu instid0(SALU_CYCLE_1) | instskip(NEXT) | instid1(VALU_DEP_1)
	v_cmp_ge_u64_e64 s0, s[4:5], v[12:13]
	s_or_b32 s12, s0, s12
	s_delay_alu instid0(VALU_DEP_3) | instskip(NEXT) | instid1(VALU_DEP_1)
	v_ldexp_f64 v[16:17], v[16:17], 32
	v_add_f64 v[16:17], v[16:17], v[18:19]
	s_delay_alu instid0(VALU_DEP_1) | instskip(SKIP_1) | instid1(VALU_DEP_1)
	v_mul_f64 v[14:15], v[14:15], v[16:17]
	v_dual_mov_b32 v17, v8 :: v_dual_mov_b32 v16, v7
	v_fma_f64 v[7:8], v[9:10], v[16:17], -v[14:15]
	v_dual_mov_b32 v14, v16 :: v_dual_mov_b32 v15, v17
	s_and_not1_b32 exec_lo, exec_lo, s12
	s_cbranch_execnz .LBB2_113
; %bb.114:
	s_or_b32 exec_lo, exec_lo, s12
.LBB2_115:
	s_delay_alu instid0(SALU_CYCLE_1)
	s_or_b32 exec_lo, exec_lo, s11
                                        ; implicit-def: $vgpr9_vgpr10
.LBB2_116:
	s_and_not1_saveexec_b32 s0, s9
; %bb.117:
	v_dual_mov_b32 v7, v9 :: v_dual_mov_b32 v8, v10
; %bb.118:
	s_or_b32 exec_lo, exec_lo, s0
.LBB2_119:
	s_delay_alu instid0(SALU_CYCLE_1)
	s_or_b32 exec_lo, exec_lo, s8
.LBB2_120:
	s_delay_alu instid0(SALU_CYCLE_1) | instskip(NEXT) | instid1(SALU_CYCLE_1)
	s_or_b32 exec_lo, exec_lo, s3
	s_or_b32 exec_lo, exec_lo, s1
	s_and_saveexec_b32 s0, vcc_lo
	s_delay_alu instid0(SALU_CYCLE_1)
	s_xor_b32 s0, exec_lo, s0
	s_cbranch_execz .LBB2_103
.LBB2_121:
	v_mov_b32_e32 v12, 0
	v_mov_b32_e32 v0, v20
	s_delay_alu instid0(VALU_DEP_2) | instskip(NEXT) | instid1(VALU_DEP_1)
	v_lshlrev_b64 v[9:10], 3, v[11:12]
	v_add_co_u32 v9, vcc_lo, s6, v9
	s_delay_alu instid0(VALU_DEP_2) | instskip(SKIP_2) | instid1(SALU_CYCLE_1)
	v_add_co_ci_u32_e32 v10, vcc_lo, s7, v10, vcc_lo
	global_store_b64 v[9:10], v[1:2], off
	s_or_b32 exec_lo, exec_lo, s0
	s_mov_b32 s0, exec_lo
	v_cmpx_gt_i32_e64 s10, v0
	s_cbranch_execz .LBB2_104
.LBB2_122:
	v_dual_mov_b32 v2, 0 :: v_dual_add_nc_u32 v1, s2, v0
	v_add_nc_u32_e32 v0, 0x100, v0
	s_delay_alu instid0(VALU_DEP_2) | instskip(NEXT) | instid1(VALU_DEP_1)
	v_lshlrev_b64 v[1:2], 3, v[1:2]
	v_add_co_u32 v1, vcc_lo, s6, v1
	s_delay_alu instid0(VALU_DEP_2) | instskip(SKIP_2) | instid1(SALU_CYCLE_1)
	v_add_co_ci_u32_e32 v2, vcc_lo, s7, v2, vcc_lo
	global_store_b64 v[1:2], v[3:4], off
	s_or_b32 exec_lo, exec_lo, s0
	s_mov_b32 s0, exec_lo
	v_cmpx_gt_i32_e64 s10, v0
	s_cbranch_execz .LBB2_105
.LBB2_123:
	v_dual_mov_b32 v2, 0 :: v_dual_add_nc_u32 v1, s2, v0
	v_add_nc_u32_e32 v0, 0x100, v0
	s_delay_alu instid0(VALU_DEP_2) | instskip(NEXT) | instid1(VALU_DEP_1)
	v_lshlrev_b64 v[1:2], 3, v[1:2]
	v_add_co_u32 v1, vcc_lo, s6, v1
	s_delay_alu instid0(VALU_DEP_2) | instskip(SKIP_2) | instid1(SALU_CYCLE_1)
	v_add_co_ci_u32_e32 v2, vcc_lo, s7, v2, vcc_lo
	global_store_b64 v[1:2], v[5:6], off
	s_or_b32 exec_lo, exec_lo, s0
	s_mov_b32 s0, exec_lo
	v_cmpx_gt_i32_e64 s10, v0
	s_cbranch_execnz .LBB2_106
	s_branch .LBB2_107
	.section	.rodata,"a",@progbits
	.p2align	6, 0x0
	.amdhsa_kernel _ZN2at6native29vectorized_elementwise_kernelILi4ENS0_13AUnaryFunctorIdddZZZNS0_12_GLOBAL__N_132hermite_polynomial_h_kernel_cudaERNS_18TensorIteratorBaseEENKUlvE_clEvENKUlvE_clEvEUlddE_EESt5arrayIPcLm2EEEEviT0_T1_
		.amdhsa_group_segment_fixed_size 0
		.amdhsa_private_segment_fixed_size 0
		.amdhsa_kernarg_size 40
		.amdhsa_user_sgpr_count 15
		.amdhsa_user_sgpr_dispatch_ptr 0
		.amdhsa_user_sgpr_queue_ptr 0
		.amdhsa_user_sgpr_kernarg_segment_ptr 1
		.amdhsa_user_sgpr_dispatch_id 0
		.amdhsa_user_sgpr_private_segment_size 0
		.amdhsa_wavefront_size32 1
		.amdhsa_uses_dynamic_stack 0
		.amdhsa_enable_private_segment 0
		.amdhsa_system_sgpr_workgroup_id_x 1
		.amdhsa_system_sgpr_workgroup_id_y 0
		.amdhsa_system_sgpr_workgroup_id_z 0
		.amdhsa_system_sgpr_workgroup_info 0
		.amdhsa_system_vgpr_workitem_id 0
		.amdhsa_next_free_vgpr 25
		.amdhsa_next_free_sgpr 16
		.amdhsa_reserve_vcc 1
		.amdhsa_float_round_mode_32 0
		.amdhsa_float_round_mode_16_64 0
		.amdhsa_float_denorm_mode_32 3
		.amdhsa_float_denorm_mode_16_64 3
		.amdhsa_dx10_clamp 1
		.amdhsa_ieee_mode 1
		.amdhsa_fp16_overflow 0
		.amdhsa_workgroup_processor_mode 1
		.amdhsa_memory_ordered 1
		.amdhsa_forward_progress 0
		.amdhsa_shared_vgpr_count 0
		.amdhsa_exception_fp_ieee_invalid_op 0
		.amdhsa_exception_fp_denorm_src 0
		.amdhsa_exception_fp_ieee_div_zero 0
		.amdhsa_exception_fp_ieee_overflow 0
		.amdhsa_exception_fp_ieee_underflow 0
		.amdhsa_exception_fp_ieee_inexact 0
		.amdhsa_exception_int_div_zero 0
	.end_amdhsa_kernel
	.section	.text._ZN2at6native29vectorized_elementwise_kernelILi4ENS0_13AUnaryFunctorIdddZZZNS0_12_GLOBAL__N_132hermite_polynomial_h_kernel_cudaERNS_18TensorIteratorBaseEENKUlvE_clEvENKUlvE_clEvEUlddE_EESt5arrayIPcLm2EEEEviT0_T1_,"axG",@progbits,_ZN2at6native29vectorized_elementwise_kernelILi4ENS0_13AUnaryFunctorIdddZZZNS0_12_GLOBAL__N_132hermite_polynomial_h_kernel_cudaERNS_18TensorIteratorBaseEENKUlvE_clEvENKUlvE_clEvEUlddE_EESt5arrayIPcLm2EEEEviT0_T1_,comdat
.Lfunc_end2:
	.size	_ZN2at6native29vectorized_elementwise_kernelILi4ENS0_13AUnaryFunctorIdddZZZNS0_12_GLOBAL__N_132hermite_polynomial_h_kernel_cudaERNS_18TensorIteratorBaseEENKUlvE_clEvENKUlvE_clEvEUlddE_EESt5arrayIPcLm2EEEEviT0_T1_, .Lfunc_end2-_ZN2at6native29vectorized_elementwise_kernelILi4ENS0_13AUnaryFunctorIdddZZZNS0_12_GLOBAL__N_132hermite_polynomial_h_kernel_cudaERNS_18TensorIteratorBaseEENKUlvE_clEvENKUlvE_clEvEUlddE_EESt5arrayIPcLm2EEEEviT0_T1_
                                        ; -- End function
	.section	.AMDGPU.csdata,"",@progbits
; Kernel info:
; codeLenInByte = 3780
; NumSgprs: 18
; NumVgprs: 25
; ScratchSize: 0
; MemoryBound: 0
; FloatMode: 240
; IeeeMode: 1
; LDSByteSize: 0 bytes/workgroup (compile time only)
; SGPRBlocks: 2
; VGPRBlocks: 3
; NumSGPRsForWavesPerEU: 18
; NumVGPRsForWavesPerEU: 25
; Occupancy: 16
; WaveLimiterHint : 0
; COMPUTE_PGM_RSRC2:SCRATCH_EN: 0
; COMPUTE_PGM_RSRC2:USER_SGPR: 15
; COMPUTE_PGM_RSRC2:TRAP_HANDLER: 0
; COMPUTE_PGM_RSRC2:TGID_X_EN: 1
; COMPUTE_PGM_RSRC2:TGID_Y_EN: 0
; COMPUTE_PGM_RSRC2:TGID_Z_EN: 0
; COMPUTE_PGM_RSRC2:TIDIG_COMP_CNT: 0
	.section	.text._ZN2at6native29vectorized_elementwise_kernelILi2ENS0_13AUnaryFunctorIdddZZZNS0_12_GLOBAL__N_132hermite_polynomial_h_kernel_cudaERNS_18TensorIteratorBaseEENKUlvE_clEvENKUlvE_clEvEUlddE_EESt5arrayIPcLm2EEEEviT0_T1_,"axG",@progbits,_ZN2at6native29vectorized_elementwise_kernelILi2ENS0_13AUnaryFunctorIdddZZZNS0_12_GLOBAL__N_132hermite_polynomial_h_kernel_cudaERNS_18TensorIteratorBaseEENKUlvE_clEvENKUlvE_clEvEUlddE_EESt5arrayIPcLm2EEEEviT0_T1_,comdat
	.globl	_ZN2at6native29vectorized_elementwise_kernelILi2ENS0_13AUnaryFunctorIdddZZZNS0_12_GLOBAL__N_132hermite_polynomial_h_kernel_cudaERNS_18TensorIteratorBaseEENKUlvE_clEvENKUlvE_clEvEUlddE_EESt5arrayIPcLm2EEEEviT0_T1_ ; -- Begin function _ZN2at6native29vectorized_elementwise_kernelILi2ENS0_13AUnaryFunctorIdddZZZNS0_12_GLOBAL__N_132hermite_polynomial_h_kernel_cudaERNS_18TensorIteratorBaseEENKUlvE_clEvENKUlvE_clEvEUlddE_EESt5arrayIPcLm2EEEEviT0_T1_
	.p2align	8
	.type	_ZN2at6native29vectorized_elementwise_kernelILi2ENS0_13AUnaryFunctorIdddZZZNS0_12_GLOBAL__N_132hermite_polynomial_h_kernel_cudaERNS_18TensorIteratorBaseEENKUlvE_clEvENKUlvE_clEvEUlddE_EESt5arrayIPcLm2EEEEviT0_T1_,@function
_ZN2at6native29vectorized_elementwise_kernelILi2ENS0_13AUnaryFunctorIdddZZZNS0_12_GLOBAL__N_132hermite_polynomial_h_kernel_cudaERNS_18TensorIteratorBaseEENKUlvE_clEvENKUlvE_clEvEUlddE_EESt5arrayIPcLm2EEEEviT0_T1_: ; @_ZN2at6native29vectorized_elementwise_kernelILi2ENS0_13AUnaryFunctorIdddZZZNS0_12_GLOBAL__N_132hermite_polynomial_h_kernel_cudaERNS_18TensorIteratorBaseEENKUlvE_clEvENKUlvE_clEvEUlddE_EESt5arrayIPcLm2EEEEviT0_T1_
; %bb.0:
	s_clause 0x2
	s_load_b128 s[4:7], s[0:1], 0x10
	s_load_b32 s3, s[0:1], 0x0
	s_load_b64 s[8:9], s[0:1], 0x20
	s_lshl_b32 s2, s15, 10
	s_mov_b32 s0, -1
	s_waitcnt lgkmcnt(0)
	s_sub_i32 s10, s3, s2
	v_add_f64 v[9:10], s[4:5], s[4:5]
	s_cmpk_gt_i32 s10, 0x3ff
	s_cbranch_scc0 .LBB3_50
; %bb.1:
	s_ashr_i32 s3, s2, 31
	v_lshlrev_b32_e32 v17, 4, v0
	s_lshl_b64 s[0:1], s[2:3], 3
	s_delay_alu instid0(SALU_CYCLE_1) | instskip(SKIP_1) | instid1(VALU_DEP_1)
	s_add_u32 s12, s8, s0
	s_addc_u32 s13, s9, s1
	v_add_co_u32 v5, s3, s12, v17
	global_load_b128 v[1:4], v17, s[12:13]
	v_add_co_ci_u32_e64 v6, null, s13, 0, s3
	v_add_co_u32 v5, vcc_lo, 0x1000, v5
	s_mov_b32 s3, exec_lo
	s_delay_alu instid0(VALU_DEP_2)
	v_add_co_ci_u32_e32 v6, vcc_lo, 0, v6, vcc_lo
	global_load_b128 v[5:8], v[5:6], off
	s_waitcnt vmcnt(1)
	v_trunc_f64_e32 v[11:12], v[1:2]
	v_cmp_class_f64_e64 vcc_lo, v[1:2], 0x1f8
	v_mov_b32_e32 v1, 0
	v_mov_b32_e32 v2, 0
	s_delay_alu instid0(VALU_DEP_4) | instskip(NEXT) | instid1(VALU_DEP_1)
	v_ldexp_f64 v[13:14], v[11:12], 0xffffffe0
	v_floor_f64_e32 v[13:14], v[13:14]
	s_delay_alu instid0(VALU_DEP_1) | instskip(SKIP_1) | instid1(VALU_DEP_2)
	v_fma_f64 v[11:12], 0xc1f00000, v[13:14], v[11:12]
	v_cvt_i32_f64_e32 v13, v[13:14]
	v_cvt_u32_f64_e32 v15, v[11:12]
	v_add_f64 v[11:12], s[4:5], s[4:5]
	s_delay_alu instid0(VALU_DEP_2) | instskip(NEXT) | instid1(VALU_DEP_1)
	v_dual_cndmask_b32 v14, -1, v13 :: v_dual_cndmask_b32 v13, -1, v15
	v_cmpx_lt_i64_e32 -1, v[13:14]
	s_cbranch_execz .LBB3_13
; %bb.2:
	v_mov_b32_e32 v1, 0
	v_mov_b32_e32 v2, 0x3ff00000
	s_mov_b32 s11, exec_lo
	v_cmpx_lt_i64_e32 0, v[13:14]
	s_cbranch_execz .LBB3_12
; %bb.3:
                                        ; implicit-def: $vgpr1_vgpr2
	s_mov_b32 s4, exec_lo
	v_cmpx_ne_u64_e32 1, v[13:14]
	s_xor_b32 s12, exec_lo, s4
	s_cbranch_execz .LBB3_9
; %bb.4:
	v_mov_b32_e32 v1, 0
	v_mov_b32_e32 v2, 0x7ff80000
	s_mov_b32 s13, exec_lo
	v_cmpx_gt_u64_e32 0x201, v[13:14]
	s_cbranch_execz .LBB3_8
; %bb.5:
	v_mov_b32_e32 v15, 0
	v_lshlrev_b64 v[13:14], 1, v[13:14]
	v_dual_mov_b32 v16, 0x3ff00000 :: v_dual_mov_b32 v1, v11
	v_mov_b32_e32 v2, v12
	s_mov_b64 s[4:5], 2
	s_mov_b32 s14, 0
	.p2align	6
.LBB3_6:                                ; =>This Inner Loop Header: Depth=1
	v_cvt_f64_u32_e32 v[18:19], s5
	v_cvt_f64_u32_e32 v[20:21], s4
	s_add_u32 s4, s4, 2
	s_addc_u32 s5, s5, 0
	s_delay_alu instid0(SALU_CYCLE_1) | instskip(SKIP_1) | instid1(VALU_DEP_3)
	v_cmp_ge_u64_e32 vcc_lo, s[4:5], v[13:14]
	s_or_b32 s14, vcc_lo, s14
	v_ldexp_f64 v[18:19], v[18:19], 32
	s_delay_alu instid0(VALU_DEP_1) | instskip(NEXT) | instid1(VALU_DEP_1)
	v_add_f64 v[18:19], v[18:19], v[20:21]
	v_mul_f64 v[15:16], v[15:16], v[18:19]
	v_dual_mov_b32 v19, v2 :: v_dual_mov_b32 v18, v1
	s_delay_alu instid0(VALU_DEP_1)
	v_fma_f64 v[1:2], v[11:12], v[18:19], -v[15:16]
	v_dual_mov_b32 v15, v18 :: v_dual_mov_b32 v16, v19
	s_and_not1_b32 exec_lo, exec_lo, s14
	s_cbranch_execnz .LBB3_6
; %bb.7:
	s_or_b32 exec_lo, exec_lo, s14
.LBB3_8:
	s_delay_alu instid0(SALU_CYCLE_1)
	s_or_b32 exec_lo, exec_lo, s13
.LBB3_9:
	s_and_not1_saveexec_b32 s4, s12
; %bb.10:
	v_dual_mov_b32 v1, v11 :: v_dual_mov_b32 v2, v12
; %bb.11:
	s_or_b32 exec_lo, exec_lo, s4
.LBB3_12:
	s_delay_alu instid0(SALU_CYCLE_1)
	s_or_b32 exec_lo, exec_lo, s11
.LBB3_13:
	s_delay_alu instid0(SALU_CYCLE_1)
	s_or_b32 exec_lo, exec_lo, s3
	v_trunc_f64_e32 v[13:14], v[3:4]
	v_cmp_class_f64_e64 vcc_lo, v[3:4], 0x1f8
	v_mov_b32_e32 v3, 0
	v_mov_b32_e32 v4, 0
	s_mov_b32 s3, exec_lo
	s_delay_alu instid0(VALU_DEP_4) | instskip(NEXT) | instid1(VALU_DEP_1)
	v_ldexp_f64 v[15:16], v[13:14], 0xffffffe0
	v_floor_f64_e32 v[15:16], v[15:16]
	s_delay_alu instid0(VALU_DEP_1) | instskip(SKIP_1) | instid1(VALU_DEP_2)
	v_fma_f64 v[13:14], 0xc1f00000, v[15:16], v[13:14]
	v_cvt_i32_f64_e32 v15, v[15:16]
	v_cvt_u32_f64_e32 v13, v[13:14]
	s_delay_alu instid0(VALU_DEP_1) | instskip(NEXT) | instid1(VALU_DEP_1)
	v_dual_cndmask_b32 v14, -1, v15 :: v_dual_cndmask_b32 v13, -1, v13
	v_cmpx_lt_i64_e32 -1, v[13:14]
	s_cbranch_execz .LBB3_25
; %bb.14:
	v_mov_b32_e32 v3, 0
	v_mov_b32_e32 v4, 0x3ff00000
	s_mov_b32 s11, exec_lo
	v_cmpx_lt_i64_e32 0, v[13:14]
	s_cbranch_execz .LBB3_24
; %bb.15:
	s_mov_b32 s4, exec_lo
	v_cmpx_ne_u64_e32 1, v[13:14]
	s_xor_b32 s12, exec_lo, s4
	s_cbranch_execz .LBB3_21
; %bb.16:
	v_mov_b32_e32 v3, 0
	v_mov_b32_e32 v4, 0x7ff80000
	s_mov_b32 s13, exec_lo
	v_cmpx_gt_u64_e32 0x201, v[13:14]
	s_cbranch_execz .LBB3_20
; %bb.17:
	v_mov_b32_e32 v15, 0
	v_lshlrev_b64 v[13:14], 1, v[13:14]
	v_dual_mov_b32 v16, 0x3ff00000 :: v_dual_mov_b32 v3, v11
	v_mov_b32_e32 v4, v12
	s_mov_b64 s[4:5], 2
	s_mov_b32 s14, 0
	.p2align	6
.LBB3_18:                               ; =>This Inner Loop Header: Depth=1
	v_cvt_f64_u32_e32 v[18:19], s5
	v_cvt_f64_u32_e32 v[20:21], s4
	s_add_u32 s4, s4, 2
	s_addc_u32 s5, s5, 0
	s_delay_alu instid0(SALU_CYCLE_1) | instskip(SKIP_1) | instid1(VALU_DEP_3)
	v_cmp_ge_u64_e32 vcc_lo, s[4:5], v[13:14]
	s_or_b32 s14, vcc_lo, s14
	v_ldexp_f64 v[18:19], v[18:19], 32
	s_delay_alu instid0(VALU_DEP_1) | instskip(NEXT) | instid1(VALU_DEP_1)
	v_add_f64 v[18:19], v[18:19], v[20:21]
	v_mul_f64 v[15:16], v[15:16], v[18:19]
	v_dual_mov_b32 v19, v4 :: v_dual_mov_b32 v18, v3
	s_delay_alu instid0(VALU_DEP_1)
	v_fma_f64 v[3:4], v[11:12], v[18:19], -v[15:16]
	v_dual_mov_b32 v15, v18 :: v_dual_mov_b32 v16, v19
	s_and_not1_b32 exec_lo, exec_lo, s14
	s_cbranch_execnz .LBB3_18
; %bb.19:
	s_or_b32 exec_lo, exec_lo, s14
.LBB3_20:
	s_delay_alu instid0(SALU_CYCLE_1)
	s_or_b32 exec_lo, exec_lo, s13
.LBB3_21:
	s_and_not1_saveexec_b32 s4, s12
; %bb.22:
	v_dual_mov_b32 v3, v11 :: v_dual_mov_b32 v4, v12
; %bb.23:
	s_or_b32 exec_lo, exec_lo, s4
.LBB3_24:
	s_delay_alu instid0(SALU_CYCLE_1)
	s_or_b32 exec_lo, exec_lo, s11
.LBB3_25:
	s_delay_alu instid0(SALU_CYCLE_1)
	s_or_b32 exec_lo, exec_lo, s3
	s_waitcnt vmcnt(0)
	v_trunc_f64_e32 v[13:14], v[5:6]
	v_cmp_class_f64_e64 vcc_lo, v[5:6], 0x1f8
	v_mov_b32_e32 v5, 0
	v_mov_b32_e32 v6, 0
	s_mov_b32 s3, exec_lo
	s_delay_alu instid0(VALU_DEP_4) | instskip(NEXT) | instid1(VALU_DEP_1)
	v_ldexp_f64 v[15:16], v[13:14], 0xffffffe0
	v_floor_f64_e32 v[15:16], v[15:16]
	s_delay_alu instid0(VALU_DEP_1) | instskip(SKIP_1) | instid1(VALU_DEP_2)
	v_fma_f64 v[13:14], 0xc1f00000, v[15:16], v[13:14]
	v_cvt_i32_f64_e32 v15, v[15:16]
	v_cvt_u32_f64_e32 v13, v[13:14]
	s_delay_alu instid0(VALU_DEP_1) | instskip(NEXT) | instid1(VALU_DEP_1)
	v_dual_cndmask_b32 v14, -1, v15 :: v_dual_cndmask_b32 v13, -1, v13
	v_cmpx_lt_i64_e32 -1, v[13:14]
	s_cbranch_execz .LBB3_37
; %bb.26:
	v_mov_b32_e32 v5, 0
	v_mov_b32_e32 v6, 0x3ff00000
	s_mov_b32 s11, exec_lo
	v_cmpx_lt_i64_e32 0, v[13:14]
	s_cbranch_execz .LBB3_36
; %bb.27:
                                        ; implicit-def: $vgpr5_vgpr6
	s_mov_b32 s4, exec_lo
	v_cmpx_ne_u64_e32 1, v[13:14]
	s_xor_b32 s12, exec_lo, s4
	s_cbranch_execz .LBB3_33
; %bb.28:
	v_mov_b32_e32 v5, 0
	v_mov_b32_e32 v6, 0x7ff80000
	s_mov_b32 s13, exec_lo
	v_cmpx_gt_u64_e32 0x201, v[13:14]
	s_cbranch_execz .LBB3_32
; %bb.29:
	v_mov_b32_e32 v15, 0
	v_lshlrev_b64 v[13:14], 1, v[13:14]
	v_dual_mov_b32 v16, 0x3ff00000 :: v_dual_mov_b32 v5, v11
	v_mov_b32_e32 v6, v12
	s_mov_b64 s[4:5], 2
	s_mov_b32 s14, 0
	.p2align	6
.LBB3_30:                               ; =>This Inner Loop Header: Depth=1
	v_cvt_f64_u32_e32 v[18:19], s5
	v_cvt_f64_u32_e32 v[20:21], s4
	s_add_u32 s4, s4, 2
	s_addc_u32 s5, s5, 0
	s_delay_alu instid0(SALU_CYCLE_1) | instskip(SKIP_1) | instid1(VALU_DEP_3)
	v_cmp_ge_u64_e32 vcc_lo, s[4:5], v[13:14]
	s_or_b32 s14, vcc_lo, s14
	v_ldexp_f64 v[18:19], v[18:19], 32
	s_delay_alu instid0(VALU_DEP_1) | instskip(NEXT) | instid1(VALU_DEP_1)
	v_add_f64 v[18:19], v[18:19], v[20:21]
	v_mul_f64 v[15:16], v[15:16], v[18:19]
	v_dual_mov_b32 v19, v6 :: v_dual_mov_b32 v18, v5
	s_delay_alu instid0(VALU_DEP_1)
	v_fma_f64 v[5:6], v[11:12], v[18:19], -v[15:16]
	v_dual_mov_b32 v15, v18 :: v_dual_mov_b32 v16, v19
	s_and_not1_b32 exec_lo, exec_lo, s14
	s_cbranch_execnz .LBB3_30
; %bb.31:
	s_or_b32 exec_lo, exec_lo, s14
.LBB3_32:
	s_delay_alu instid0(SALU_CYCLE_1)
	s_or_b32 exec_lo, exec_lo, s13
.LBB3_33:
	s_and_not1_saveexec_b32 s4, s12
; %bb.34:
	v_dual_mov_b32 v5, v11 :: v_dual_mov_b32 v6, v12
; %bb.35:
	s_or_b32 exec_lo, exec_lo, s4
.LBB3_36:
	s_delay_alu instid0(SALU_CYCLE_1)
	s_or_b32 exec_lo, exec_lo, s11
.LBB3_37:
	s_delay_alu instid0(SALU_CYCLE_1)
	s_or_b32 exec_lo, exec_lo, s3
	v_trunc_f64_e32 v[13:14], v[7:8]
	v_cmp_class_f64_e64 vcc_lo, v[7:8], 0x1f8
	v_mov_b32_e32 v7, 0
	v_mov_b32_e32 v8, 0
	s_mov_b32 s3, exec_lo
	s_delay_alu instid0(VALU_DEP_4) | instskip(NEXT) | instid1(VALU_DEP_1)
	v_ldexp_f64 v[15:16], v[13:14], 0xffffffe0
	v_floor_f64_e32 v[15:16], v[15:16]
	s_delay_alu instid0(VALU_DEP_1) | instskip(SKIP_1) | instid1(VALU_DEP_2)
	v_fma_f64 v[13:14], 0xc1f00000, v[15:16], v[13:14]
	v_cvt_i32_f64_e32 v15, v[15:16]
	v_cvt_u32_f64_e32 v13, v[13:14]
	s_delay_alu instid0(VALU_DEP_1) | instskip(NEXT) | instid1(VALU_DEP_1)
	v_dual_cndmask_b32 v14, -1, v15 :: v_dual_cndmask_b32 v13, -1, v13
	v_cmpx_lt_i64_e32 -1, v[13:14]
	s_cbranch_execz .LBB3_49
; %bb.38:
	v_mov_b32_e32 v7, 0
	v_mov_b32_e32 v8, 0x3ff00000
	s_mov_b32 s11, exec_lo
	v_cmpx_lt_i64_e32 0, v[13:14]
	s_cbranch_execz .LBB3_48
; %bb.39:
	s_mov_b32 s4, exec_lo
	v_cmpx_ne_u64_e32 1, v[13:14]
	s_xor_b32 s12, exec_lo, s4
	s_cbranch_execz .LBB3_45
; %bb.40:
	v_mov_b32_e32 v7, 0
	v_mov_b32_e32 v8, 0x7ff80000
	s_mov_b32 s13, exec_lo
	v_cmpx_gt_u64_e32 0x201, v[13:14]
	s_cbranch_execz .LBB3_44
; %bb.41:
	v_mov_b32_e32 v15, 0
	v_lshlrev_b64 v[13:14], 1, v[13:14]
	v_dual_mov_b32 v16, 0x3ff00000 :: v_dual_mov_b32 v7, v11
	v_mov_b32_e32 v8, v12
	s_mov_b64 s[4:5], 2
	s_mov_b32 s14, 0
	.p2align	6
.LBB3_42:                               ; =>This Inner Loop Header: Depth=1
	v_cvt_f64_u32_e32 v[18:19], s5
	v_cvt_f64_u32_e32 v[20:21], s4
	s_add_u32 s4, s4, 2
	s_addc_u32 s5, s5, 0
	s_delay_alu instid0(SALU_CYCLE_1) | instskip(SKIP_1) | instid1(VALU_DEP_3)
	v_cmp_ge_u64_e32 vcc_lo, s[4:5], v[13:14]
	s_or_b32 s14, vcc_lo, s14
	v_ldexp_f64 v[18:19], v[18:19], 32
	s_delay_alu instid0(VALU_DEP_1) | instskip(NEXT) | instid1(VALU_DEP_1)
	v_add_f64 v[18:19], v[18:19], v[20:21]
	v_mul_f64 v[15:16], v[15:16], v[18:19]
	v_dual_mov_b32 v19, v8 :: v_dual_mov_b32 v18, v7
	s_delay_alu instid0(VALU_DEP_1)
	v_fma_f64 v[7:8], v[11:12], v[18:19], -v[15:16]
	v_dual_mov_b32 v15, v18 :: v_dual_mov_b32 v16, v19
	s_and_not1_b32 exec_lo, exec_lo, s14
	s_cbranch_execnz .LBB3_42
; %bb.43:
	s_or_b32 exec_lo, exec_lo, s14
.LBB3_44:
	s_delay_alu instid0(SALU_CYCLE_1)
	s_or_b32 exec_lo, exec_lo, s13
                                        ; implicit-def: $vgpr11_vgpr12
.LBB3_45:
	s_and_not1_saveexec_b32 s4, s12
; %bb.46:
	v_dual_mov_b32 v7, v11 :: v_dual_mov_b32 v8, v12
; %bb.47:
	s_or_b32 exec_lo, exec_lo, s4
.LBB3_48:
	s_delay_alu instid0(SALU_CYCLE_1)
	s_or_b32 exec_lo, exec_lo, s11
.LBB3_49:
	s_delay_alu instid0(SALU_CYCLE_1) | instskip(SKIP_3) | instid1(VALU_DEP_1)
	s_or_b32 exec_lo, exec_lo, s3
	s_add_u32 s4, s6, s0
	s_addc_u32 s5, s7, s1
	v_add_co_u32 v11, s0, s4, v17
	v_add_co_ci_u32_e64 v12, null, s5, 0, s0
	s_mov_b32 s0, 0
	s_delay_alu instid0(VALU_DEP_2) | instskip(NEXT) | instid1(VALU_DEP_2)
	v_add_co_u32 v11, vcc_lo, 0x1000, v11
	v_add_co_ci_u32_e32 v12, vcc_lo, 0, v12, vcc_lo
	s_clause 0x1
	global_store_b128 v17, v[1:4], s[4:5]
	global_store_b128 v[11:12], v[5:8], off
.LBB3_50:
	s_and_b32 vcc_lo, exec_lo, s0
	s_cbranch_vccz .LBB3_107
; %bb.51:
	v_dual_mov_b32 v16, 0 :: v_dual_mov_b32 v1, v0
	v_mov_b32_e32 v17, 0
	v_cmp_gt_i32_e32 vcc_lo, s10, v0
	v_or_b32_e32 v11, s2, v0
	v_or_b32_e32 v20, 0x100, v0
	s_delay_alu instid0(VALU_DEP_4)
	v_dual_mov_b32 v19, v17 :: v_dual_mov_b32 v18, v16
	s_and_saveexec_b32 s1, vcc_lo
	s_cbranch_execz .LBB3_53
; %bb.52:
	v_mov_b32_e32 v12, 0
	s_delay_alu instid0(VALU_DEP_1) | instskip(NEXT) | instid1(VALU_DEP_1)
	v_lshlrev_b64 v[1:2], 3, v[11:12]
	v_add_co_u32 v1, s0, s8, v1
	s_delay_alu instid0(VALU_DEP_1)
	v_add_co_ci_u32_e64 v2, s0, s9, v2, s0
	global_load_b64 v[18:19], v[1:2], off
	v_or_b32_e32 v1, 0x100, v0
.LBB3_53:
	s_or_b32 exec_lo, exec_lo, s1
	s_delay_alu instid0(SALU_CYCLE_1) | instskip(NEXT) | instid1(VALU_DEP_1)
	s_mov_b32 s1, exec_lo
	v_cmpx_gt_i32_e64 s10, v1
	s_cbranch_execz .LBB3_55
; %bb.54:
	v_dual_mov_b32 v3, 0 :: v_dual_add_nc_u32 v2, s2, v1
	v_add_nc_u32_e32 v1, 0x100, v1
	s_delay_alu instid0(VALU_DEP_2) | instskip(NEXT) | instid1(VALU_DEP_1)
	v_lshlrev_b64 v[2:3], 3, v[2:3]
	v_add_co_u32 v2, s0, s8, v2
	s_delay_alu instid0(VALU_DEP_1)
	v_add_co_ci_u32_e64 v3, s0, s9, v3, s0
	global_load_b64 v[16:17], v[2:3], off
.LBB3_55:
	s_or_b32 exec_lo, exec_lo, s1
	v_mov_b32_e32 v12, 0
	v_mov_b32_e32 v13, 0
	s_mov_b32 s1, exec_lo
	s_delay_alu instid0(VALU_DEP_1)
	v_dual_mov_b32 v15, v13 :: v_dual_mov_b32 v14, v12
	v_cmpx_gt_i32_e64 s10, v1
	s_cbranch_execnz .LBB3_59
; %bb.56:
	s_or_b32 exec_lo, exec_lo, s1
	s_delay_alu instid0(SALU_CYCLE_1)
	s_mov_b32 s1, exec_lo
	v_cmpx_gt_i32_e64 s10, v1
	s_cbranch_execnz .LBB3_60
.LBB3_57:
	s_or_b32 exec_lo, exec_lo, s1
                                        ; implicit-def: $vgpr1_vgpr2_vgpr3_vgpr4_vgpr5_vgpr6_vgpr7_vgpr8
	s_and_saveexec_b32 s1, vcc_lo
	s_cbranch_execnz .LBB3_61
.LBB3_58:
	s_or_b32 exec_lo, exec_lo, s1
	s_delay_alu instid0(SALU_CYCLE_1)
	s_mov_b32 s1, exec_lo
	v_cmpx_gt_i32_e64 s10, v20
	s_cbranch_execnz .LBB3_74
	s_branch .LBB3_87
.LBB3_59:
	v_dual_mov_b32 v3, 0 :: v_dual_add_nc_u32 v2, s2, v1
	v_add_nc_u32_e32 v1, 0x100, v1
	s_delay_alu instid0(VALU_DEP_2) | instskip(NEXT) | instid1(VALU_DEP_1)
	v_lshlrev_b64 v[2:3], 3, v[2:3]
	v_add_co_u32 v2, s0, s8, v2
	s_delay_alu instid0(VALU_DEP_1) | instskip(SKIP_2) | instid1(SALU_CYCLE_1)
	v_add_co_ci_u32_e64 v3, s0, s9, v3, s0
	global_load_b64 v[14:15], v[2:3], off
	s_or_b32 exec_lo, exec_lo, s1
	s_mov_b32 s1, exec_lo
	v_cmpx_gt_i32_e64 s10, v1
	s_cbranch_execz .LBB3_57
.LBB3_60:
	v_dual_mov_b32 v2, 0 :: v_dual_add_nc_u32 v1, s2, v1
	s_delay_alu instid0(VALU_DEP_1) | instskip(NEXT) | instid1(VALU_DEP_1)
	v_lshlrev_b64 v[1:2], 3, v[1:2]
	v_add_co_u32 v1, s0, s8, v1
	s_delay_alu instid0(VALU_DEP_1)
	v_add_co_ci_u32_e64 v2, s0, s9, v2, s0
	global_load_b64 v[12:13], v[1:2], off
	s_or_b32 exec_lo, exec_lo, s1
                                        ; implicit-def: $vgpr1_vgpr2_vgpr3_vgpr4_vgpr5_vgpr6_vgpr7_vgpr8
	s_and_saveexec_b32 s1, vcc_lo
	s_cbranch_execz .LBB3_58
.LBB3_61:
	s_waitcnt vmcnt(0)
	v_trunc_f64_e32 v[1:2], v[18:19]
	v_cmp_class_f64_e64 s0, v[18:19], 0x1f8
	s_mov_b32 s3, exec_lo
	s_delay_alu instid0(VALU_DEP_2) | instskip(NEXT) | instid1(VALU_DEP_1)
	v_ldexp_f64 v[3:4], v[1:2], 0xffffffe0
	v_floor_f64_e32 v[3:4], v[3:4]
	s_delay_alu instid0(VALU_DEP_1) | instskip(SKIP_1) | instid1(VALU_DEP_2)
	v_fma_f64 v[1:2], 0xc1f00000, v[3:4], v[1:2]
	v_cvt_i32_f64_e32 v3, v[3:4]
	v_cvt_u32_f64_e32 v1, v[1:2]
	s_delay_alu instid0(VALU_DEP_2) | instskip(NEXT) | instid1(VALU_DEP_2)
	v_cndmask_b32_e64 v4, -1, v3, s0
	v_cndmask_b32_e64 v3, -1, v1, s0
	v_mov_b32_e32 v1, 0
	v_mov_b32_e32 v2, 0
	s_delay_alu instid0(VALU_DEP_3)
	v_cmpx_lt_i64_e32 -1, v[3:4]
	s_cbranch_execz .LBB3_73
; %bb.62:
	v_mov_b32_e32 v1, 0
	v_mov_b32_e32 v2, 0x3ff00000
	s_mov_b32 s8, exec_lo
	v_cmpx_lt_i64_e32 0, v[3:4]
	s_cbranch_execz .LBB3_72
; %bb.63:
                                        ; implicit-def: $vgpr1_vgpr2
	s_mov_b32 s4, exec_lo
	v_cmpx_ne_u64_e32 1, v[3:4]
	s_xor_b32 s9, exec_lo, s4
	s_cbranch_execz .LBB3_69
; %bb.64:
	v_mov_b32_e32 v1, 0
	v_mov_b32_e32 v2, 0x7ff80000
	s_mov_b32 s11, exec_lo
	v_cmpx_gt_u64_e32 0x201, v[3:4]
	s_cbranch_execz .LBB3_68
; %bb.65:
	v_mov_b32_e32 v5, 0
	v_lshlrev_b64 v[3:4], 1, v[3:4]
	v_dual_mov_b32 v6, 0x3ff00000 :: v_dual_mov_b32 v1, v9
	v_mov_b32_e32 v2, v10
	s_mov_b64 s[4:5], 2
	s_mov_b32 s12, 0
	.p2align	6
.LBB3_66:                               ; =>This Inner Loop Header: Depth=1
	v_cvt_f64_u32_e32 v[7:8], s5
	v_cvt_f64_u32_e32 v[18:19], s4
	s_add_u32 s4, s4, 2
	s_addc_u32 s5, s5, 0
	s_delay_alu instid0(SALU_CYCLE_1) | instskip(NEXT) | instid1(VALU_DEP_1)
	v_cmp_ge_u64_e64 s0, s[4:5], v[3:4]
	s_or_b32 s12, s0, s12
	s_delay_alu instid0(VALU_DEP_3) | instskip(NEXT) | instid1(VALU_DEP_1)
	v_ldexp_f64 v[7:8], v[7:8], 32
	v_add_f64 v[7:8], v[7:8], v[18:19]
	s_delay_alu instid0(VALU_DEP_1) | instskip(SKIP_1) | instid1(VALU_DEP_1)
	v_mul_f64 v[5:6], v[5:6], v[7:8]
	v_dual_mov_b32 v8, v2 :: v_dual_mov_b32 v7, v1
	v_fma_f64 v[1:2], v[9:10], v[7:8], -v[5:6]
	v_dual_mov_b32 v5, v7 :: v_dual_mov_b32 v6, v8
	s_and_not1_b32 exec_lo, exec_lo, s12
	s_cbranch_execnz .LBB3_66
; %bb.67:
	s_or_b32 exec_lo, exec_lo, s12
.LBB3_68:
	s_delay_alu instid0(SALU_CYCLE_1)
	s_or_b32 exec_lo, exec_lo, s11
.LBB3_69:
	s_and_not1_saveexec_b32 s0, s9
; %bb.70:
	v_dual_mov_b32 v1, v9 :: v_dual_mov_b32 v2, v10
; %bb.71:
	s_or_b32 exec_lo, exec_lo, s0
.LBB3_72:
	s_delay_alu instid0(SALU_CYCLE_1)
	s_or_b32 exec_lo, exec_lo, s8
.LBB3_73:
	s_delay_alu instid0(SALU_CYCLE_1) | instskip(NEXT) | instid1(SALU_CYCLE_1)
	s_or_b32 exec_lo, exec_lo, s3
	s_or_b32 exec_lo, exec_lo, s1
	s_delay_alu instid0(SALU_CYCLE_1)
	s_mov_b32 s1, exec_lo
	v_cmpx_gt_i32_e64 s10, v20
	s_cbranch_execz .LBB3_87
.LBB3_74:
	s_waitcnt vmcnt(0)
	v_trunc_f64_e32 v[3:4], v[16:17]
	v_cmp_class_f64_e64 s0, v[16:17], 0x1f8
	s_mov_b32 s3, exec_lo
	s_delay_alu instid0(VALU_DEP_2) | instskip(NEXT) | instid1(VALU_DEP_1)
	v_ldexp_f64 v[18:19], v[3:4], 0xffffffe0
	v_floor_f64_e32 v[18:19], v[18:19]
	s_delay_alu instid0(VALU_DEP_1) | instskip(SKIP_1) | instid1(VALU_DEP_2)
	v_fma_f64 v[3:4], 0xc1f00000, v[18:19], v[3:4]
	v_cvt_i32_f64_e32 v18, v[18:19]
	v_cvt_u32_f64_e32 v3, v[3:4]
	s_delay_alu instid0(VALU_DEP_2) | instskip(NEXT) | instid1(VALU_DEP_2)
	v_cndmask_b32_e64 v17, -1, v18, s0
	v_cndmask_b32_e64 v16, -1, v3, s0
	v_mov_b32_e32 v3, 0
	v_mov_b32_e32 v4, 0
	s_delay_alu instid0(VALU_DEP_3)
	v_cmpx_lt_i64_e32 -1, v[16:17]
	s_cbranch_execz .LBB3_86
; %bb.75:
	v_mov_b32_e32 v3, 0
	v_mov_b32_e32 v4, 0x3ff00000
	s_mov_b32 s8, exec_lo
	v_cmpx_lt_i64_e32 0, v[16:17]
	s_cbranch_execz .LBB3_85
; %bb.76:
	s_mov_b32 s4, exec_lo
	v_cmpx_ne_u64_e32 1, v[16:17]
	s_xor_b32 s9, exec_lo, s4
	s_cbranch_execz .LBB3_82
; %bb.77:
	v_mov_b32_e32 v3, 0
	v_mov_b32_e32 v4, 0x7ff80000
	s_mov_b32 s11, exec_lo
	v_cmpx_gt_u64_e32 0x201, v[16:17]
	s_cbranch_execz .LBB3_81
; %bb.78:
	v_lshlrev_b64 v[16:17], 1, v[16:17]
	v_dual_mov_b32 v18, 0 :: v_dual_mov_b32 v3, v9
	v_dual_mov_b32 v19, 0x3ff00000 :: v_dual_mov_b32 v4, v10
	s_mov_b64 s[4:5], 2
	s_mov_b32 s12, 0
	.p2align	6
.LBB3_79:                               ; =>This Inner Loop Header: Depth=1
	v_cvt_f64_u32_e32 v[21:22], s5
	v_cvt_f64_u32_e32 v[23:24], s4
	s_add_u32 s4, s4, 2
	s_addc_u32 s5, s5, 0
	s_delay_alu instid0(SALU_CYCLE_1) | instskip(NEXT) | instid1(VALU_DEP_1)
	v_cmp_ge_u64_e64 s0, s[4:5], v[16:17]
	s_or_b32 s12, s0, s12
	s_delay_alu instid0(VALU_DEP_3) | instskip(NEXT) | instid1(VALU_DEP_1)
	v_ldexp_f64 v[21:22], v[21:22], 32
	v_add_f64 v[21:22], v[21:22], v[23:24]
	s_delay_alu instid0(VALU_DEP_1) | instskip(SKIP_1) | instid1(VALU_DEP_1)
	v_mul_f64 v[18:19], v[18:19], v[21:22]
	v_dual_mov_b32 v22, v4 :: v_dual_mov_b32 v21, v3
	v_fma_f64 v[3:4], v[9:10], v[21:22], -v[18:19]
	v_dual_mov_b32 v18, v21 :: v_dual_mov_b32 v19, v22
	s_and_not1_b32 exec_lo, exec_lo, s12
	s_cbranch_execnz .LBB3_79
; %bb.80:
	s_or_b32 exec_lo, exec_lo, s12
.LBB3_81:
	s_delay_alu instid0(SALU_CYCLE_1)
	s_or_b32 exec_lo, exec_lo, s11
.LBB3_82:
	s_and_not1_saveexec_b32 s0, s9
; %bb.83:
	v_dual_mov_b32 v3, v9 :: v_dual_mov_b32 v4, v10
; %bb.84:
	s_or_b32 exec_lo, exec_lo, s0
.LBB3_85:
	s_delay_alu instid0(SALU_CYCLE_1)
	s_or_b32 exec_lo, exec_lo, s8
.LBB3_86:
	s_delay_alu instid0(SALU_CYCLE_1)
	s_or_b32 exec_lo, exec_lo, s3
.LBB3_87:
	s_delay_alu instid0(SALU_CYCLE_1) | instskip(SKIP_3) | instid1(VALU_DEP_1)
	s_or_b32 exec_lo, exec_lo, s1
	s_waitcnt vmcnt(0)
	v_or_b32_e32 v16, 0x200, v0
	s_mov_b32 s1, exec_lo
	v_cmpx_gt_i32_e64 s10, v16
	s_cbranch_execz .LBB3_101
; %bb.88:
	v_trunc_f64_e32 v[5:6], v[14:15]
	v_cmp_class_f64_e64 s0, v[14:15], 0x1f8
	s_mov_b32 s3, exec_lo
	s_delay_alu instid0(VALU_DEP_2) | instskip(NEXT) | instid1(VALU_DEP_1)
	v_ldexp_f64 v[16:17], v[5:6], 0xffffffe0
	v_floor_f64_e32 v[16:17], v[16:17]
	s_delay_alu instid0(VALU_DEP_1) | instskip(SKIP_1) | instid1(VALU_DEP_2)
	v_fma_f64 v[5:6], 0xc1f00000, v[16:17], v[5:6]
	v_cvt_i32_f64_e32 v16, v[16:17]
	v_cvt_u32_f64_e32 v5, v[5:6]
	s_delay_alu instid0(VALU_DEP_2) | instskip(NEXT) | instid1(VALU_DEP_2)
	v_cndmask_b32_e64 v15, -1, v16, s0
	v_cndmask_b32_e64 v14, -1, v5, s0
	v_mov_b32_e32 v5, 0
	v_mov_b32_e32 v6, 0
	s_delay_alu instid0(VALU_DEP_3)
	v_cmpx_lt_i64_e32 -1, v[14:15]
	s_cbranch_execz .LBB3_100
; %bb.89:
	v_mov_b32_e32 v5, 0
	v_mov_b32_e32 v6, 0x3ff00000
	s_mov_b32 s8, exec_lo
	v_cmpx_lt_i64_e32 0, v[14:15]
	s_cbranch_execz .LBB3_99
; %bb.90:
	s_mov_b32 s4, exec_lo
	v_cmpx_ne_u64_e32 1, v[14:15]
	s_xor_b32 s9, exec_lo, s4
	s_cbranch_execz .LBB3_96
; %bb.91:
	v_mov_b32_e32 v5, 0
	v_mov_b32_e32 v6, 0x7ff80000
	s_mov_b32 s11, exec_lo
	v_cmpx_gt_u64_e32 0x201, v[14:15]
	s_cbranch_execz .LBB3_95
; %bb.92:
	v_lshlrev_b64 v[14:15], 1, v[14:15]
	v_dual_mov_b32 v16, 0 :: v_dual_mov_b32 v5, v9
	v_dual_mov_b32 v17, 0x3ff00000 :: v_dual_mov_b32 v6, v10
	s_mov_b64 s[4:5], 2
	s_mov_b32 s12, 0
	.p2align	6
.LBB3_93:                               ; =>This Inner Loop Header: Depth=1
	v_cvt_f64_u32_e32 v[18:19], s5
	v_cvt_f64_u32_e32 v[21:22], s4
	s_add_u32 s4, s4, 2
	s_addc_u32 s5, s5, 0
	s_delay_alu instid0(SALU_CYCLE_1) | instskip(NEXT) | instid1(VALU_DEP_1)
	v_cmp_ge_u64_e64 s0, s[4:5], v[14:15]
	s_or_b32 s12, s0, s12
	s_delay_alu instid0(VALU_DEP_3) | instskip(NEXT) | instid1(VALU_DEP_1)
	v_ldexp_f64 v[18:19], v[18:19], 32
	v_add_f64 v[18:19], v[18:19], v[21:22]
	s_delay_alu instid0(VALU_DEP_1) | instskip(SKIP_1) | instid1(VALU_DEP_1)
	v_mul_f64 v[16:17], v[16:17], v[18:19]
	v_dual_mov_b32 v19, v6 :: v_dual_mov_b32 v18, v5
	v_fma_f64 v[5:6], v[9:10], v[18:19], -v[16:17]
	v_dual_mov_b32 v16, v18 :: v_dual_mov_b32 v17, v19
	s_and_not1_b32 exec_lo, exec_lo, s12
	s_cbranch_execnz .LBB3_93
; %bb.94:
	s_or_b32 exec_lo, exec_lo, s12
.LBB3_95:
	s_delay_alu instid0(SALU_CYCLE_1)
	s_or_b32 exec_lo, exec_lo, s11
.LBB3_96:
	s_and_not1_saveexec_b32 s0, s9
; %bb.97:
	v_dual_mov_b32 v5, v9 :: v_dual_mov_b32 v6, v10
; %bb.98:
	s_or_b32 exec_lo, exec_lo, s0
.LBB3_99:
	s_delay_alu instid0(SALU_CYCLE_1)
	s_or_b32 exec_lo, exec_lo, s8
.LBB3_100:
	s_delay_alu instid0(SALU_CYCLE_1)
	s_or_b32 exec_lo, exec_lo, s3
.LBB3_101:
	s_delay_alu instid0(SALU_CYCLE_1) | instskip(SKIP_2) | instid1(VALU_DEP_1)
	s_or_b32 exec_lo, exec_lo, s1
	v_or_b32_e32 v14, 0x300, v0
	s_mov_b32 s1, exec_lo
	v_cmpx_gt_i32_e64 s10, v14
	s_cbranch_execnz .LBB3_108
; %bb.102:
	s_or_b32 exec_lo, exec_lo, s1
	s_and_saveexec_b32 s0, vcc_lo
	s_delay_alu instid0(SALU_CYCLE_1)
	s_xor_b32 s0, exec_lo, s0
	s_cbranch_execnz .LBB3_121
.LBB3_103:
	s_or_b32 exec_lo, exec_lo, s0
	s_delay_alu instid0(SALU_CYCLE_1)
	s_mov_b32 s0, exec_lo
	v_cmpx_gt_i32_e64 s10, v0
	s_cbranch_execnz .LBB3_122
.LBB3_104:
	s_or_b32 exec_lo, exec_lo, s0
	s_delay_alu instid0(SALU_CYCLE_1)
	s_mov_b32 s0, exec_lo
	v_cmpx_gt_i32_e64 s10, v0
	s_cbranch_execnz .LBB3_123
.LBB3_105:
	s_or_b32 exec_lo, exec_lo, s0
	s_delay_alu instid0(SALU_CYCLE_1)
	s_mov_b32 s0, exec_lo
	v_cmpx_gt_i32_e64 s10, v0
	s_cbranch_execz .LBB3_107
.LBB3_106:
	v_dual_mov_b32 v1, 0 :: v_dual_add_nc_u32 v0, s2, v0
	s_delay_alu instid0(VALU_DEP_1) | instskip(NEXT) | instid1(VALU_DEP_1)
	v_lshlrev_b64 v[0:1], 3, v[0:1]
	v_add_co_u32 v0, vcc_lo, s6, v0
	s_delay_alu instid0(VALU_DEP_2)
	v_add_co_ci_u32_e32 v1, vcc_lo, s7, v1, vcc_lo
	global_store_b64 v[0:1], v[7:8], off
.LBB3_107:
	s_nop 0
	s_sendmsg sendmsg(MSG_DEALLOC_VGPRS)
	s_endpgm
.LBB3_108:
	v_trunc_f64_e32 v[7:8], v[12:13]
	v_cmp_class_f64_e64 s0, v[12:13], 0x1f8
	s_mov_b32 s3, exec_lo
	s_delay_alu instid0(VALU_DEP_2) | instskip(NEXT) | instid1(VALU_DEP_1)
	v_ldexp_f64 v[14:15], v[7:8], 0xffffffe0
	v_floor_f64_e32 v[14:15], v[14:15]
	s_delay_alu instid0(VALU_DEP_1) | instskip(SKIP_1) | instid1(VALU_DEP_2)
	v_fma_f64 v[7:8], 0xc1f00000, v[14:15], v[7:8]
	v_cvt_i32_f64_e32 v14, v[14:15]
	v_cvt_u32_f64_e32 v7, v[7:8]
	s_delay_alu instid0(VALU_DEP_2) | instskip(NEXT) | instid1(VALU_DEP_2)
	v_cndmask_b32_e64 v13, -1, v14, s0
	v_cndmask_b32_e64 v12, -1, v7, s0
	v_mov_b32_e32 v7, 0
	v_mov_b32_e32 v8, 0
	s_delay_alu instid0(VALU_DEP_3)
	v_cmpx_lt_i64_e32 -1, v[12:13]
	s_cbranch_execz .LBB3_120
; %bb.109:
	v_mov_b32_e32 v7, 0
	v_mov_b32_e32 v8, 0x3ff00000
	s_mov_b32 s8, exec_lo
	v_cmpx_lt_i64_e32 0, v[12:13]
	s_cbranch_execz .LBB3_119
; %bb.110:
	s_mov_b32 s4, exec_lo
	v_cmpx_ne_u64_e32 1, v[12:13]
	s_xor_b32 s9, exec_lo, s4
	s_cbranch_execz .LBB3_116
; %bb.111:
	v_mov_b32_e32 v7, 0
	v_mov_b32_e32 v8, 0x7ff80000
	s_mov_b32 s11, exec_lo
	v_cmpx_gt_u64_e32 0x201, v[12:13]
	s_cbranch_execz .LBB3_115
; %bb.112:
	v_lshlrev_b64 v[12:13], 1, v[12:13]
	v_dual_mov_b32 v14, 0 :: v_dual_mov_b32 v7, v9
	v_dual_mov_b32 v15, 0x3ff00000 :: v_dual_mov_b32 v8, v10
	s_mov_b64 s[4:5], 2
	s_mov_b32 s12, 0
	.p2align	6
.LBB3_113:                              ; =>This Inner Loop Header: Depth=1
	v_cvt_f64_u32_e32 v[16:17], s5
	v_cvt_f64_u32_e32 v[18:19], s4
	s_add_u32 s4, s4, 2
	s_addc_u32 s5, s5, 0
	s_delay_alu instid0(SALU_CYCLE_1) | instskip(NEXT) | instid1(VALU_DEP_1)
	v_cmp_ge_u64_e64 s0, s[4:5], v[12:13]
	s_or_b32 s12, s0, s12
	s_delay_alu instid0(VALU_DEP_3) | instskip(NEXT) | instid1(VALU_DEP_1)
	v_ldexp_f64 v[16:17], v[16:17], 32
	v_add_f64 v[16:17], v[16:17], v[18:19]
	s_delay_alu instid0(VALU_DEP_1) | instskip(SKIP_1) | instid1(VALU_DEP_1)
	v_mul_f64 v[14:15], v[14:15], v[16:17]
	v_dual_mov_b32 v17, v8 :: v_dual_mov_b32 v16, v7
	v_fma_f64 v[7:8], v[9:10], v[16:17], -v[14:15]
	v_dual_mov_b32 v14, v16 :: v_dual_mov_b32 v15, v17
	s_and_not1_b32 exec_lo, exec_lo, s12
	s_cbranch_execnz .LBB3_113
; %bb.114:
	s_or_b32 exec_lo, exec_lo, s12
.LBB3_115:
	s_delay_alu instid0(SALU_CYCLE_1)
	s_or_b32 exec_lo, exec_lo, s11
                                        ; implicit-def: $vgpr9_vgpr10
.LBB3_116:
	s_and_not1_saveexec_b32 s0, s9
; %bb.117:
	v_dual_mov_b32 v7, v9 :: v_dual_mov_b32 v8, v10
; %bb.118:
	s_or_b32 exec_lo, exec_lo, s0
.LBB3_119:
	s_delay_alu instid0(SALU_CYCLE_1)
	s_or_b32 exec_lo, exec_lo, s8
.LBB3_120:
	s_delay_alu instid0(SALU_CYCLE_1) | instskip(NEXT) | instid1(SALU_CYCLE_1)
	s_or_b32 exec_lo, exec_lo, s3
	s_or_b32 exec_lo, exec_lo, s1
	s_and_saveexec_b32 s0, vcc_lo
	s_delay_alu instid0(SALU_CYCLE_1)
	s_xor_b32 s0, exec_lo, s0
	s_cbranch_execz .LBB3_103
.LBB3_121:
	v_mov_b32_e32 v12, 0
	v_mov_b32_e32 v0, v20
	s_delay_alu instid0(VALU_DEP_2) | instskip(NEXT) | instid1(VALU_DEP_1)
	v_lshlrev_b64 v[9:10], 3, v[11:12]
	v_add_co_u32 v9, vcc_lo, s6, v9
	s_delay_alu instid0(VALU_DEP_2) | instskip(SKIP_2) | instid1(SALU_CYCLE_1)
	v_add_co_ci_u32_e32 v10, vcc_lo, s7, v10, vcc_lo
	global_store_b64 v[9:10], v[1:2], off
	s_or_b32 exec_lo, exec_lo, s0
	s_mov_b32 s0, exec_lo
	v_cmpx_gt_i32_e64 s10, v0
	s_cbranch_execz .LBB3_104
.LBB3_122:
	v_dual_mov_b32 v2, 0 :: v_dual_add_nc_u32 v1, s2, v0
	v_add_nc_u32_e32 v0, 0x100, v0
	s_delay_alu instid0(VALU_DEP_2) | instskip(NEXT) | instid1(VALU_DEP_1)
	v_lshlrev_b64 v[1:2], 3, v[1:2]
	v_add_co_u32 v1, vcc_lo, s6, v1
	s_delay_alu instid0(VALU_DEP_2) | instskip(SKIP_2) | instid1(SALU_CYCLE_1)
	v_add_co_ci_u32_e32 v2, vcc_lo, s7, v2, vcc_lo
	global_store_b64 v[1:2], v[3:4], off
	s_or_b32 exec_lo, exec_lo, s0
	s_mov_b32 s0, exec_lo
	v_cmpx_gt_i32_e64 s10, v0
	s_cbranch_execz .LBB3_105
.LBB3_123:
	v_dual_mov_b32 v2, 0 :: v_dual_add_nc_u32 v1, s2, v0
	v_add_nc_u32_e32 v0, 0x100, v0
	s_delay_alu instid0(VALU_DEP_2) | instskip(NEXT) | instid1(VALU_DEP_1)
	v_lshlrev_b64 v[1:2], 3, v[1:2]
	v_add_co_u32 v1, vcc_lo, s6, v1
	s_delay_alu instid0(VALU_DEP_2) | instskip(SKIP_2) | instid1(SALU_CYCLE_1)
	v_add_co_ci_u32_e32 v2, vcc_lo, s7, v2, vcc_lo
	global_store_b64 v[1:2], v[5:6], off
	s_or_b32 exec_lo, exec_lo, s0
	s_mov_b32 s0, exec_lo
	v_cmpx_gt_i32_e64 s10, v0
	s_cbranch_execnz .LBB3_106
	s_branch .LBB3_107
	.section	.rodata,"a",@progbits
	.p2align	6, 0x0
	.amdhsa_kernel _ZN2at6native29vectorized_elementwise_kernelILi2ENS0_13AUnaryFunctorIdddZZZNS0_12_GLOBAL__N_132hermite_polynomial_h_kernel_cudaERNS_18TensorIteratorBaseEENKUlvE_clEvENKUlvE_clEvEUlddE_EESt5arrayIPcLm2EEEEviT0_T1_
		.amdhsa_group_segment_fixed_size 0
		.amdhsa_private_segment_fixed_size 0
		.amdhsa_kernarg_size 40
		.amdhsa_user_sgpr_count 15
		.amdhsa_user_sgpr_dispatch_ptr 0
		.amdhsa_user_sgpr_queue_ptr 0
		.amdhsa_user_sgpr_kernarg_segment_ptr 1
		.amdhsa_user_sgpr_dispatch_id 0
		.amdhsa_user_sgpr_private_segment_size 0
		.amdhsa_wavefront_size32 1
		.amdhsa_uses_dynamic_stack 0
		.amdhsa_enable_private_segment 0
		.amdhsa_system_sgpr_workgroup_id_x 1
		.amdhsa_system_sgpr_workgroup_id_y 0
		.amdhsa_system_sgpr_workgroup_id_z 0
		.amdhsa_system_sgpr_workgroup_info 0
		.amdhsa_system_vgpr_workitem_id 0
		.amdhsa_next_free_vgpr 25
		.amdhsa_next_free_sgpr 16
		.amdhsa_reserve_vcc 1
		.amdhsa_float_round_mode_32 0
		.amdhsa_float_round_mode_16_64 0
		.amdhsa_float_denorm_mode_32 3
		.amdhsa_float_denorm_mode_16_64 3
		.amdhsa_dx10_clamp 1
		.amdhsa_ieee_mode 1
		.amdhsa_fp16_overflow 0
		.amdhsa_workgroup_processor_mode 1
		.amdhsa_memory_ordered 1
		.amdhsa_forward_progress 0
		.amdhsa_shared_vgpr_count 0
		.amdhsa_exception_fp_ieee_invalid_op 0
		.amdhsa_exception_fp_denorm_src 0
		.amdhsa_exception_fp_ieee_div_zero 0
		.amdhsa_exception_fp_ieee_overflow 0
		.amdhsa_exception_fp_ieee_underflow 0
		.amdhsa_exception_fp_ieee_inexact 0
		.amdhsa_exception_int_div_zero 0
	.end_amdhsa_kernel
	.section	.text._ZN2at6native29vectorized_elementwise_kernelILi2ENS0_13AUnaryFunctorIdddZZZNS0_12_GLOBAL__N_132hermite_polynomial_h_kernel_cudaERNS_18TensorIteratorBaseEENKUlvE_clEvENKUlvE_clEvEUlddE_EESt5arrayIPcLm2EEEEviT0_T1_,"axG",@progbits,_ZN2at6native29vectorized_elementwise_kernelILi2ENS0_13AUnaryFunctorIdddZZZNS0_12_GLOBAL__N_132hermite_polynomial_h_kernel_cudaERNS_18TensorIteratorBaseEENKUlvE_clEvENKUlvE_clEvEUlddE_EESt5arrayIPcLm2EEEEviT0_T1_,comdat
.Lfunc_end3:
	.size	_ZN2at6native29vectorized_elementwise_kernelILi2ENS0_13AUnaryFunctorIdddZZZNS0_12_GLOBAL__N_132hermite_polynomial_h_kernel_cudaERNS_18TensorIteratorBaseEENKUlvE_clEvENKUlvE_clEvEUlddE_EESt5arrayIPcLm2EEEEviT0_T1_, .Lfunc_end3-_ZN2at6native29vectorized_elementwise_kernelILi2ENS0_13AUnaryFunctorIdddZZZNS0_12_GLOBAL__N_132hermite_polynomial_h_kernel_cudaERNS_18TensorIteratorBaseEENKUlvE_clEvENKUlvE_clEvEUlddE_EESt5arrayIPcLm2EEEEviT0_T1_
                                        ; -- End function
	.section	.AMDGPU.csdata,"",@progbits
; Kernel info:
; codeLenInByte = 3848
; NumSgprs: 18
; NumVgprs: 25
; ScratchSize: 0
; MemoryBound: 0
; FloatMode: 240
; IeeeMode: 1
; LDSByteSize: 0 bytes/workgroup (compile time only)
; SGPRBlocks: 2
; VGPRBlocks: 3
; NumSGPRsForWavesPerEU: 18
; NumVGPRsForWavesPerEU: 25
; Occupancy: 16
; WaveLimiterHint : 1
; COMPUTE_PGM_RSRC2:SCRATCH_EN: 0
; COMPUTE_PGM_RSRC2:USER_SGPR: 15
; COMPUTE_PGM_RSRC2:TRAP_HANDLER: 0
; COMPUTE_PGM_RSRC2:TGID_X_EN: 1
; COMPUTE_PGM_RSRC2:TGID_Y_EN: 0
; COMPUTE_PGM_RSRC2:TGID_Z_EN: 0
; COMPUTE_PGM_RSRC2:TIDIG_COMP_CNT: 0
	.section	.text._ZN2at6native27unrolled_elementwise_kernelINS0_13AUnaryFunctorIdddZZZNS0_12_GLOBAL__N_132hermite_polynomial_h_kernel_cudaERNS_18TensorIteratorBaseEENKUlvE_clEvENKUlvE_clEvEUlddE_EESt5arrayIPcLm2EELi4E23TrivialOffsetCalculatorILi1EjESE_NS0_6memory15LoadWithoutCastENSF_16StoreWithoutCastEEEviT_T0_T2_T3_T4_T5_,"axG",@progbits,_ZN2at6native27unrolled_elementwise_kernelINS0_13AUnaryFunctorIdddZZZNS0_12_GLOBAL__N_132hermite_polynomial_h_kernel_cudaERNS_18TensorIteratorBaseEENKUlvE_clEvENKUlvE_clEvEUlddE_EESt5arrayIPcLm2EELi4E23TrivialOffsetCalculatorILi1EjESE_NS0_6memory15LoadWithoutCastENSF_16StoreWithoutCastEEEviT_T0_T2_T3_T4_T5_,comdat
	.globl	_ZN2at6native27unrolled_elementwise_kernelINS0_13AUnaryFunctorIdddZZZNS0_12_GLOBAL__N_132hermite_polynomial_h_kernel_cudaERNS_18TensorIteratorBaseEENKUlvE_clEvENKUlvE_clEvEUlddE_EESt5arrayIPcLm2EELi4E23TrivialOffsetCalculatorILi1EjESE_NS0_6memory15LoadWithoutCastENSF_16StoreWithoutCastEEEviT_T0_T2_T3_T4_T5_ ; -- Begin function _ZN2at6native27unrolled_elementwise_kernelINS0_13AUnaryFunctorIdddZZZNS0_12_GLOBAL__N_132hermite_polynomial_h_kernel_cudaERNS_18TensorIteratorBaseEENKUlvE_clEvENKUlvE_clEvEUlddE_EESt5arrayIPcLm2EELi4E23TrivialOffsetCalculatorILi1EjESE_NS0_6memory15LoadWithoutCastENSF_16StoreWithoutCastEEEviT_T0_T2_T3_T4_T5_
	.p2align	8
	.type	_ZN2at6native27unrolled_elementwise_kernelINS0_13AUnaryFunctorIdddZZZNS0_12_GLOBAL__N_132hermite_polynomial_h_kernel_cudaERNS_18TensorIteratorBaseEENKUlvE_clEvENKUlvE_clEvEUlddE_EESt5arrayIPcLm2EELi4E23TrivialOffsetCalculatorILi1EjESE_NS0_6memory15LoadWithoutCastENSF_16StoreWithoutCastEEEviT_T0_T2_T3_T4_T5_,@function
_ZN2at6native27unrolled_elementwise_kernelINS0_13AUnaryFunctorIdddZZZNS0_12_GLOBAL__N_132hermite_polynomial_h_kernel_cudaERNS_18TensorIteratorBaseEENKUlvE_clEvENKUlvE_clEvEUlddE_EESt5arrayIPcLm2EELi4E23TrivialOffsetCalculatorILi1EjESE_NS0_6memory15LoadWithoutCastENSF_16StoreWithoutCastEEEviT_T0_T2_T3_T4_T5_: ; @_ZN2at6native27unrolled_elementwise_kernelINS0_13AUnaryFunctorIdddZZZNS0_12_GLOBAL__N_132hermite_polynomial_h_kernel_cudaERNS_18TensorIteratorBaseEENKUlvE_clEvENKUlvE_clEvEUlddE_EESt5arrayIPcLm2EELi4E23TrivialOffsetCalculatorILi1EjESE_NS0_6memory15LoadWithoutCastENSF_16StoreWithoutCastEEEviT_T0_T2_T3_T4_T5_
; %bb.0:
	s_clause 0x1
	s_load_b32 s2, s[0:1], 0x0
	s_load_b64 s[8:9], s[0:1], 0x20
	v_dual_mov_b32 v16, 0 :: v_dual_mov_b32 v1, v0
	v_mov_b32_e32 v17, 0
	s_lshl_b32 s10, s15, 10
	v_or_b32_e32 v20, 0x100, v0
	v_or_b32_e32 v9, s10, v0
	s_delay_alu instid0(VALU_DEP_3) | instskip(SKIP_2) | instid1(SALU_CYCLE_1)
	v_dual_mov_b32 v19, v17 :: v_dual_mov_b32 v18, v16
	s_waitcnt lgkmcnt(0)
	s_sub_i32 s11, s2, s10
	v_cmp_gt_i32_e32 vcc_lo, s11, v0
	s_and_saveexec_b32 s3, vcc_lo
	s_cbranch_execz .LBB4_2
; %bb.1:
	v_mov_b32_e32 v10, 0
	s_delay_alu instid0(VALU_DEP_1) | instskip(NEXT) | instid1(VALU_DEP_1)
	v_lshlrev_b64 v[1:2], 3, v[9:10]
	v_add_co_u32 v1, s2, s8, v1
	s_delay_alu instid0(VALU_DEP_1)
	v_add_co_ci_u32_e64 v2, s2, s9, v2, s2
	global_load_b64 v[18:19], v[1:2], off
	v_or_b32_e32 v1, 0x100, v0
.LBB4_2:
	s_or_b32 exec_lo, exec_lo, s3
	s_load_b128 s[4:7], s[0:1], 0x10
	s_mov_b32 s1, exec_lo
	s_delay_alu instid0(VALU_DEP_1)
	v_cmpx_gt_i32_e64 s11, v1
	s_cbranch_execz .LBB4_4
; %bb.3:
	v_dual_mov_b32 v3, 0 :: v_dual_add_nc_u32 v2, s10, v1
	v_add_nc_u32_e32 v1, 0x100, v1
	s_delay_alu instid0(VALU_DEP_2) | instskip(NEXT) | instid1(VALU_DEP_1)
	v_lshlrev_b64 v[2:3], 3, v[2:3]
	v_add_co_u32 v2, s0, s8, v2
	s_delay_alu instid0(VALU_DEP_1)
	v_add_co_ci_u32_e64 v3, s0, s9, v3, s0
	global_load_b64 v[16:17], v[2:3], off
.LBB4_4:
	s_or_b32 exec_lo, exec_lo, s1
	v_mov_b32_e32 v12, 0
	v_mov_b32_e32 v13, 0
	s_mov_b32 s1, exec_lo
	s_delay_alu instid0(VALU_DEP_1)
	v_dual_mov_b32 v15, v13 :: v_dual_mov_b32 v14, v12
	v_cmpx_gt_i32_e64 s11, v1
	s_cbranch_execz .LBB4_6
; %bb.5:
	v_dual_mov_b32 v3, 0 :: v_dual_add_nc_u32 v2, s10, v1
	v_add_nc_u32_e32 v1, 0x100, v1
	s_delay_alu instid0(VALU_DEP_2) | instskip(NEXT) | instid1(VALU_DEP_1)
	v_lshlrev_b64 v[2:3], 3, v[2:3]
	v_add_co_u32 v2, s0, s8, v2
	s_delay_alu instid0(VALU_DEP_1) | instskip(SKIP_2) | instid1(SALU_CYCLE_1)
	v_add_co_ci_u32_e64 v3, s0, s9, v3, s0
	global_load_b64 v[14:15], v[2:3], off
	s_or_b32 exec_lo, exec_lo, s1
	s_mov_b32 s1, exec_lo
	v_cmpx_gt_i32_e64 s11, v1
	s_cbranch_execz .LBB4_8
	s_branch .LBB4_7
.LBB4_6:
	s_or_b32 exec_lo, exec_lo, s1
	s_delay_alu instid0(SALU_CYCLE_1)
	s_mov_b32 s1, exec_lo
	v_cmpx_gt_i32_e64 s11, v1
	s_cbranch_execz .LBB4_8
.LBB4_7:
	v_dual_mov_b32 v2, 0 :: v_dual_add_nc_u32 v1, s10, v1
	s_delay_alu instid0(VALU_DEP_1) | instskip(NEXT) | instid1(VALU_DEP_1)
	v_lshlrev_b64 v[1:2], 3, v[1:2]
	v_add_co_u32 v1, s0, s8, v1
	s_delay_alu instid0(VALU_DEP_1)
	v_add_co_ci_u32_e64 v2, s0, s9, v2, s0
	global_load_b64 v[12:13], v[1:2], off
.LBB4_8:
	s_or_b32 exec_lo, exec_lo, s1
	s_waitcnt lgkmcnt(0)
	v_add_f64 v[10:11], s[4:5], s[4:5]
                                        ; implicit-def: $vgpr1_vgpr2_vgpr3_vgpr4_vgpr5_vgpr6_vgpr7_vgpr8
	s_and_saveexec_b32 s1, vcc_lo
	s_cbranch_execz .LBB4_22
; %bb.9:
	s_waitcnt vmcnt(0)
	v_trunc_f64_e32 v[1:2], v[18:19]
	v_cmp_class_f64_e64 s0, v[18:19], 0x1f8
	s_mov_b32 s4, exec_lo
	s_delay_alu instid0(VALU_DEP_2) | instskip(NEXT) | instid1(VALU_DEP_1)
	v_ldexp_f64 v[3:4], v[1:2], 0xffffffe0
	v_floor_f64_e32 v[3:4], v[3:4]
	s_delay_alu instid0(VALU_DEP_1) | instskip(SKIP_1) | instid1(VALU_DEP_2)
	v_fma_f64 v[1:2], 0xc1f00000, v[3:4], v[1:2]
	v_cvt_i32_f64_e32 v3, v[3:4]
	v_cvt_u32_f64_e32 v1, v[1:2]
	s_delay_alu instid0(VALU_DEP_2) | instskip(NEXT) | instid1(VALU_DEP_2)
	v_cndmask_b32_e64 v4, -1, v3, s0
	v_cndmask_b32_e64 v3, -1, v1, s0
	v_mov_b32_e32 v1, 0
	v_mov_b32_e32 v2, 0
	s_delay_alu instid0(VALU_DEP_3)
	v_cmpx_lt_i64_e32 -1, v[3:4]
	s_cbranch_execz .LBB4_21
; %bb.10:
	v_mov_b32_e32 v1, 0
	v_mov_b32_e32 v2, 0x3ff00000
	s_mov_b32 s5, exec_lo
	v_cmpx_lt_i64_e32 0, v[3:4]
	s_cbranch_execz .LBB4_20
; %bb.11:
                                        ; implicit-def: $vgpr1_vgpr2
	s_mov_b32 s2, exec_lo
	v_cmpx_ne_u64_e32 1, v[3:4]
	s_xor_b32 s8, exec_lo, s2
	s_cbranch_execz .LBB4_17
; %bb.12:
	v_mov_b32_e32 v1, 0
	v_mov_b32_e32 v2, 0x7ff80000
	s_mov_b32 s9, exec_lo
	v_cmpx_gt_u64_e32 0x201, v[3:4]
	s_cbranch_execz .LBB4_16
; %bb.13:
	v_mov_b32_e32 v5, 0
	v_lshlrev_b64 v[3:4], 1, v[3:4]
	v_dual_mov_b32 v6, 0x3ff00000 :: v_dual_mov_b32 v1, v10
	v_mov_b32_e32 v2, v11
	s_mov_b64 s[2:3], 2
	s_mov_b32 s12, 0
	.p2align	6
.LBB4_14:                               ; =>This Inner Loop Header: Depth=1
	v_cvt_f64_u32_e32 v[7:8], s3
	v_cvt_f64_u32_e32 v[18:19], s2
	s_add_u32 s2, s2, 2
	s_addc_u32 s3, s3, 0
	s_delay_alu instid0(SALU_CYCLE_1) | instskip(NEXT) | instid1(VALU_DEP_1)
	v_cmp_ge_u64_e64 s0, s[2:3], v[3:4]
	s_or_b32 s12, s0, s12
	s_delay_alu instid0(VALU_DEP_3) | instskip(NEXT) | instid1(VALU_DEP_1)
	v_ldexp_f64 v[7:8], v[7:8], 32
	v_add_f64 v[7:8], v[7:8], v[18:19]
	s_delay_alu instid0(VALU_DEP_1) | instskip(SKIP_1) | instid1(VALU_DEP_1)
	v_mul_f64 v[5:6], v[5:6], v[7:8]
	v_dual_mov_b32 v8, v2 :: v_dual_mov_b32 v7, v1
	v_fma_f64 v[1:2], v[10:11], v[7:8], -v[5:6]
	v_dual_mov_b32 v5, v7 :: v_dual_mov_b32 v6, v8
	s_and_not1_b32 exec_lo, exec_lo, s12
	s_cbranch_execnz .LBB4_14
; %bb.15:
	s_or_b32 exec_lo, exec_lo, s12
.LBB4_16:
	s_delay_alu instid0(SALU_CYCLE_1)
	s_or_b32 exec_lo, exec_lo, s9
.LBB4_17:
	s_and_not1_saveexec_b32 s0, s8
; %bb.18:
	v_dual_mov_b32 v1, v10 :: v_dual_mov_b32 v2, v11
; %bb.19:
	s_or_b32 exec_lo, exec_lo, s0
.LBB4_20:
	s_delay_alu instid0(SALU_CYCLE_1)
	s_or_b32 exec_lo, exec_lo, s5
.LBB4_21:
	s_delay_alu instid0(SALU_CYCLE_1) | instskip(NEXT) | instid1(SALU_CYCLE_1)
	s_or_b32 exec_lo, exec_lo, s4
	s_or_b32 exec_lo, exec_lo, s1
	s_delay_alu instid0(SALU_CYCLE_1)
	s_mov_b32 s1, exec_lo
	v_cmpx_gt_i32_e64 s11, v20
	s_cbranch_execz .LBB4_36
	s_branch .LBB4_23
.LBB4_22:
	s_or_b32 exec_lo, exec_lo, s1
	s_delay_alu instid0(SALU_CYCLE_1)
	s_mov_b32 s1, exec_lo
	v_cmpx_gt_i32_e64 s11, v20
	s_cbranch_execz .LBB4_36
.LBB4_23:
	s_waitcnt vmcnt(0)
	v_trunc_f64_e32 v[3:4], v[16:17]
	v_cmp_class_f64_e64 s0, v[16:17], 0x1f8
	s_mov_b32 s4, exec_lo
	s_delay_alu instid0(VALU_DEP_2) | instskip(NEXT) | instid1(VALU_DEP_1)
	v_ldexp_f64 v[18:19], v[3:4], 0xffffffe0
	v_floor_f64_e32 v[18:19], v[18:19]
	s_delay_alu instid0(VALU_DEP_1) | instskip(SKIP_1) | instid1(VALU_DEP_2)
	v_fma_f64 v[3:4], 0xc1f00000, v[18:19], v[3:4]
	v_cvt_i32_f64_e32 v18, v[18:19]
	v_cvt_u32_f64_e32 v3, v[3:4]
	s_delay_alu instid0(VALU_DEP_2) | instskip(NEXT) | instid1(VALU_DEP_2)
	v_cndmask_b32_e64 v17, -1, v18, s0
	v_cndmask_b32_e64 v16, -1, v3, s0
	v_mov_b32_e32 v3, 0
	v_mov_b32_e32 v4, 0
	s_delay_alu instid0(VALU_DEP_3)
	v_cmpx_lt_i64_e32 -1, v[16:17]
	s_cbranch_execz .LBB4_35
; %bb.24:
	v_mov_b32_e32 v3, 0
	v_mov_b32_e32 v4, 0x3ff00000
	s_mov_b32 s5, exec_lo
	v_cmpx_lt_i64_e32 0, v[16:17]
	s_cbranch_execz .LBB4_34
; %bb.25:
	s_mov_b32 s2, exec_lo
	v_cmpx_ne_u64_e32 1, v[16:17]
	s_xor_b32 s8, exec_lo, s2
	s_cbranch_execz .LBB4_31
; %bb.26:
	v_mov_b32_e32 v3, 0
	v_mov_b32_e32 v4, 0x7ff80000
	s_mov_b32 s9, exec_lo
	v_cmpx_gt_u64_e32 0x201, v[16:17]
	s_cbranch_execz .LBB4_30
; %bb.27:
	v_lshlrev_b64 v[16:17], 1, v[16:17]
	v_dual_mov_b32 v18, 0 :: v_dual_mov_b32 v3, v10
	v_dual_mov_b32 v19, 0x3ff00000 :: v_dual_mov_b32 v4, v11
	s_mov_b64 s[2:3], 2
	s_mov_b32 s12, 0
	.p2align	6
.LBB4_28:                               ; =>This Inner Loop Header: Depth=1
	v_cvt_f64_u32_e32 v[21:22], s3
	v_cvt_f64_u32_e32 v[23:24], s2
	s_add_u32 s2, s2, 2
	s_addc_u32 s3, s3, 0
	s_delay_alu instid0(SALU_CYCLE_1) | instskip(NEXT) | instid1(VALU_DEP_1)
	v_cmp_ge_u64_e64 s0, s[2:3], v[16:17]
	s_or_b32 s12, s0, s12
	s_delay_alu instid0(VALU_DEP_3) | instskip(NEXT) | instid1(VALU_DEP_1)
	v_ldexp_f64 v[21:22], v[21:22], 32
	v_add_f64 v[21:22], v[21:22], v[23:24]
	s_delay_alu instid0(VALU_DEP_1) | instskip(SKIP_1) | instid1(VALU_DEP_1)
	v_mul_f64 v[18:19], v[18:19], v[21:22]
	v_dual_mov_b32 v22, v4 :: v_dual_mov_b32 v21, v3
	v_fma_f64 v[3:4], v[10:11], v[21:22], -v[18:19]
	v_dual_mov_b32 v18, v21 :: v_dual_mov_b32 v19, v22
	s_and_not1_b32 exec_lo, exec_lo, s12
	s_cbranch_execnz .LBB4_28
; %bb.29:
	s_or_b32 exec_lo, exec_lo, s12
.LBB4_30:
	s_delay_alu instid0(SALU_CYCLE_1)
	s_or_b32 exec_lo, exec_lo, s9
.LBB4_31:
	s_and_not1_saveexec_b32 s0, s8
; %bb.32:
	v_dual_mov_b32 v3, v10 :: v_dual_mov_b32 v4, v11
; %bb.33:
	s_or_b32 exec_lo, exec_lo, s0
.LBB4_34:
	s_delay_alu instid0(SALU_CYCLE_1)
	s_or_b32 exec_lo, exec_lo, s5
.LBB4_35:
	s_delay_alu instid0(SALU_CYCLE_1)
	s_or_b32 exec_lo, exec_lo, s4
.LBB4_36:
	s_delay_alu instid0(SALU_CYCLE_1) | instskip(SKIP_3) | instid1(VALU_DEP_1)
	s_or_b32 exec_lo, exec_lo, s1
	s_waitcnt vmcnt(0)
	v_or_b32_e32 v16, 0x200, v0
	s_mov_b32 s1, exec_lo
	v_cmpx_gt_i32_e64 s11, v16
	s_cbranch_execz .LBB4_50
; %bb.37:
	v_trunc_f64_e32 v[5:6], v[14:15]
	v_cmp_class_f64_e64 s0, v[14:15], 0x1f8
	s_mov_b32 s4, exec_lo
	s_delay_alu instid0(VALU_DEP_2) | instskip(NEXT) | instid1(VALU_DEP_1)
	v_ldexp_f64 v[16:17], v[5:6], 0xffffffe0
	v_floor_f64_e32 v[16:17], v[16:17]
	s_delay_alu instid0(VALU_DEP_1) | instskip(SKIP_1) | instid1(VALU_DEP_2)
	v_fma_f64 v[5:6], 0xc1f00000, v[16:17], v[5:6]
	v_cvt_i32_f64_e32 v16, v[16:17]
	v_cvt_u32_f64_e32 v5, v[5:6]
	s_delay_alu instid0(VALU_DEP_2) | instskip(NEXT) | instid1(VALU_DEP_2)
	v_cndmask_b32_e64 v15, -1, v16, s0
	v_cndmask_b32_e64 v14, -1, v5, s0
	v_mov_b32_e32 v5, 0
	v_mov_b32_e32 v6, 0
	s_delay_alu instid0(VALU_DEP_3)
	v_cmpx_lt_i64_e32 -1, v[14:15]
	s_cbranch_execz .LBB4_49
; %bb.38:
	v_mov_b32_e32 v5, 0
	v_mov_b32_e32 v6, 0x3ff00000
	s_mov_b32 s5, exec_lo
	v_cmpx_lt_i64_e32 0, v[14:15]
	s_cbranch_execz .LBB4_48
; %bb.39:
	s_mov_b32 s2, exec_lo
	v_cmpx_ne_u64_e32 1, v[14:15]
	s_xor_b32 s8, exec_lo, s2
	s_cbranch_execz .LBB4_45
; %bb.40:
	v_mov_b32_e32 v5, 0
	v_mov_b32_e32 v6, 0x7ff80000
	s_mov_b32 s9, exec_lo
	v_cmpx_gt_u64_e32 0x201, v[14:15]
	s_cbranch_execz .LBB4_44
; %bb.41:
	v_lshlrev_b64 v[14:15], 1, v[14:15]
	v_dual_mov_b32 v16, 0 :: v_dual_mov_b32 v5, v10
	v_dual_mov_b32 v17, 0x3ff00000 :: v_dual_mov_b32 v6, v11
	s_mov_b64 s[2:3], 2
	s_mov_b32 s12, 0
	.p2align	6
.LBB4_42:                               ; =>This Inner Loop Header: Depth=1
	v_cvt_f64_u32_e32 v[18:19], s3
	v_cvt_f64_u32_e32 v[21:22], s2
	s_add_u32 s2, s2, 2
	s_addc_u32 s3, s3, 0
	s_delay_alu instid0(SALU_CYCLE_1) | instskip(NEXT) | instid1(VALU_DEP_1)
	v_cmp_ge_u64_e64 s0, s[2:3], v[14:15]
	s_or_b32 s12, s0, s12
	s_delay_alu instid0(VALU_DEP_3) | instskip(NEXT) | instid1(VALU_DEP_1)
	v_ldexp_f64 v[18:19], v[18:19], 32
	v_add_f64 v[18:19], v[18:19], v[21:22]
	s_delay_alu instid0(VALU_DEP_1) | instskip(SKIP_1) | instid1(VALU_DEP_1)
	v_mul_f64 v[16:17], v[16:17], v[18:19]
	v_dual_mov_b32 v19, v6 :: v_dual_mov_b32 v18, v5
	v_fma_f64 v[5:6], v[10:11], v[18:19], -v[16:17]
	v_dual_mov_b32 v16, v18 :: v_dual_mov_b32 v17, v19
	s_and_not1_b32 exec_lo, exec_lo, s12
	s_cbranch_execnz .LBB4_42
; %bb.43:
	s_or_b32 exec_lo, exec_lo, s12
.LBB4_44:
	s_delay_alu instid0(SALU_CYCLE_1)
	s_or_b32 exec_lo, exec_lo, s9
.LBB4_45:
	s_and_not1_saveexec_b32 s0, s8
; %bb.46:
	v_dual_mov_b32 v5, v10 :: v_dual_mov_b32 v6, v11
; %bb.47:
	s_or_b32 exec_lo, exec_lo, s0
.LBB4_48:
	s_delay_alu instid0(SALU_CYCLE_1)
	s_or_b32 exec_lo, exec_lo, s5
.LBB4_49:
	s_delay_alu instid0(SALU_CYCLE_1)
	s_or_b32 exec_lo, exec_lo, s4
.LBB4_50:
	s_delay_alu instid0(SALU_CYCLE_1) | instskip(SKIP_2) | instid1(VALU_DEP_1)
	s_or_b32 exec_lo, exec_lo, s1
	v_or_b32_e32 v14, 0x300, v0
	s_mov_b32 s1, exec_lo
	v_cmpx_gt_i32_e64 s11, v14
	s_cbranch_execz .LBB4_68
; %bb.51:
	v_trunc_f64_e32 v[7:8], v[12:13]
	v_cmp_class_f64_e64 s0, v[12:13], 0x1f8
	s_mov_b32 s4, exec_lo
	s_delay_alu instid0(VALU_DEP_2) | instskip(NEXT) | instid1(VALU_DEP_1)
	v_ldexp_f64 v[14:15], v[7:8], 0xffffffe0
	v_floor_f64_e32 v[14:15], v[14:15]
	s_delay_alu instid0(VALU_DEP_1) | instskip(SKIP_1) | instid1(VALU_DEP_2)
	v_fma_f64 v[7:8], 0xc1f00000, v[14:15], v[7:8]
	v_cvt_i32_f64_e32 v14, v[14:15]
	v_cvt_u32_f64_e32 v7, v[7:8]
	s_delay_alu instid0(VALU_DEP_2) | instskip(NEXT) | instid1(VALU_DEP_2)
	v_cndmask_b32_e64 v13, -1, v14, s0
	v_cndmask_b32_e64 v12, -1, v7, s0
	v_mov_b32_e32 v7, 0
	v_mov_b32_e32 v8, 0
	s_delay_alu instid0(VALU_DEP_3)
	v_cmpx_lt_i64_e32 -1, v[12:13]
	s_cbranch_execz .LBB4_63
; %bb.52:
	v_mov_b32_e32 v7, 0
	v_mov_b32_e32 v8, 0x3ff00000
	s_mov_b32 s5, exec_lo
	v_cmpx_lt_i64_e32 0, v[12:13]
	s_cbranch_execz .LBB4_62
; %bb.53:
	s_mov_b32 s2, exec_lo
	v_cmpx_ne_u64_e32 1, v[12:13]
	s_xor_b32 s8, exec_lo, s2
	s_cbranch_execz .LBB4_59
; %bb.54:
	v_mov_b32_e32 v7, 0
	v_mov_b32_e32 v8, 0x7ff80000
	s_mov_b32 s9, exec_lo
	v_cmpx_gt_u64_e32 0x201, v[12:13]
	s_cbranch_execz .LBB4_58
; %bb.55:
	v_lshlrev_b64 v[12:13], 1, v[12:13]
	v_dual_mov_b32 v14, 0 :: v_dual_mov_b32 v7, v10
	v_dual_mov_b32 v15, 0x3ff00000 :: v_dual_mov_b32 v8, v11
	s_mov_b64 s[2:3], 2
	s_mov_b32 s12, 0
	.p2align	6
.LBB4_56:                               ; =>This Inner Loop Header: Depth=1
	v_cvt_f64_u32_e32 v[16:17], s3
	v_cvt_f64_u32_e32 v[18:19], s2
	s_add_u32 s2, s2, 2
	s_addc_u32 s3, s3, 0
	s_delay_alu instid0(SALU_CYCLE_1) | instskip(NEXT) | instid1(VALU_DEP_1)
	v_cmp_ge_u64_e64 s0, s[2:3], v[12:13]
	s_or_b32 s12, s0, s12
	s_delay_alu instid0(VALU_DEP_3) | instskip(NEXT) | instid1(VALU_DEP_1)
	v_ldexp_f64 v[16:17], v[16:17], 32
	v_add_f64 v[16:17], v[16:17], v[18:19]
	s_delay_alu instid0(VALU_DEP_1) | instskip(SKIP_1) | instid1(VALU_DEP_1)
	v_mul_f64 v[14:15], v[14:15], v[16:17]
	v_dual_mov_b32 v17, v8 :: v_dual_mov_b32 v16, v7
	v_fma_f64 v[7:8], v[10:11], v[16:17], -v[14:15]
	v_dual_mov_b32 v14, v16 :: v_dual_mov_b32 v15, v17
	s_and_not1_b32 exec_lo, exec_lo, s12
	s_cbranch_execnz .LBB4_56
; %bb.57:
	s_or_b32 exec_lo, exec_lo, s12
.LBB4_58:
	s_delay_alu instid0(SALU_CYCLE_1)
	s_or_b32 exec_lo, exec_lo, s9
                                        ; implicit-def: $vgpr10_vgpr11
.LBB4_59:
	s_and_not1_saveexec_b32 s0, s8
; %bb.60:
	v_dual_mov_b32 v7, v10 :: v_dual_mov_b32 v8, v11
; %bb.61:
	s_or_b32 exec_lo, exec_lo, s0
.LBB4_62:
	s_delay_alu instid0(SALU_CYCLE_1)
	s_or_b32 exec_lo, exec_lo, s5
.LBB4_63:
	s_delay_alu instid0(SALU_CYCLE_1) | instskip(NEXT) | instid1(SALU_CYCLE_1)
	s_or_b32 exec_lo, exec_lo, s4
	s_or_b32 exec_lo, exec_lo, s1
	s_and_saveexec_b32 s0, vcc_lo
	s_delay_alu instid0(SALU_CYCLE_1)
	s_xor_b32 s0, exec_lo, s0
	s_cbranch_execnz .LBB4_69
.LBB4_64:
	s_or_b32 exec_lo, exec_lo, s0
	s_delay_alu instid0(SALU_CYCLE_1)
	s_mov_b32 s0, exec_lo
	v_cmpx_gt_i32_e64 s11, v0
	s_cbranch_execz .LBB4_70
.LBB4_65:
	v_dual_mov_b32 v2, 0 :: v_dual_add_nc_u32 v1, s10, v0
	v_add_nc_u32_e32 v0, 0x100, v0
	s_delay_alu instid0(VALU_DEP_2) | instskip(NEXT) | instid1(VALU_DEP_1)
	v_lshlrev_b64 v[1:2], 3, v[1:2]
	v_add_co_u32 v1, vcc_lo, s6, v1
	s_delay_alu instid0(VALU_DEP_2) | instskip(SKIP_2) | instid1(SALU_CYCLE_1)
	v_add_co_ci_u32_e32 v2, vcc_lo, s7, v2, vcc_lo
	global_store_b64 v[1:2], v[3:4], off
	s_or_b32 exec_lo, exec_lo, s0
	s_mov_b32 s0, exec_lo
	v_cmpx_gt_i32_e64 s11, v0
	s_cbranch_execnz .LBB4_71
.LBB4_66:
	s_or_b32 exec_lo, exec_lo, s0
	s_delay_alu instid0(SALU_CYCLE_1)
	s_mov_b32 s0, exec_lo
	v_cmpx_gt_i32_e64 s11, v0
	s_cbranch_execz .LBB4_72
.LBB4_67:
	v_dual_mov_b32 v1, 0 :: v_dual_add_nc_u32 v0, s10, v0
	s_delay_alu instid0(VALU_DEP_1) | instskip(NEXT) | instid1(VALU_DEP_1)
	v_lshlrev_b64 v[0:1], 3, v[0:1]
	v_add_co_u32 v0, vcc_lo, s6, v0
	s_delay_alu instid0(VALU_DEP_2)
	v_add_co_ci_u32_e32 v1, vcc_lo, s7, v1, vcc_lo
	global_store_b64 v[0:1], v[7:8], off
	s_nop 0
	s_sendmsg sendmsg(MSG_DEALLOC_VGPRS)
	s_endpgm
.LBB4_68:
	s_or_b32 exec_lo, exec_lo, s1
	s_and_saveexec_b32 s0, vcc_lo
	s_delay_alu instid0(SALU_CYCLE_1)
	s_xor_b32 s0, exec_lo, s0
	s_cbranch_execz .LBB4_64
.LBB4_69:
	v_mov_b32_e32 v10, 0
	v_mov_b32_e32 v0, v20
	s_delay_alu instid0(VALU_DEP_2) | instskip(NEXT) | instid1(VALU_DEP_1)
	v_lshlrev_b64 v[9:10], 3, v[9:10]
	v_add_co_u32 v9, vcc_lo, s6, v9
	s_delay_alu instid0(VALU_DEP_2) | instskip(SKIP_2) | instid1(SALU_CYCLE_1)
	v_add_co_ci_u32_e32 v10, vcc_lo, s7, v10, vcc_lo
	global_store_b64 v[9:10], v[1:2], off
	s_or_b32 exec_lo, exec_lo, s0
	s_mov_b32 s0, exec_lo
	v_cmpx_gt_i32_e64 s11, v0
	s_cbranch_execnz .LBB4_65
.LBB4_70:
	s_or_b32 exec_lo, exec_lo, s0
	s_delay_alu instid0(SALU_CYCLE_1)
	s_mov_b32 s0, exec_lo
	v_cmpx_gt_i32_e64 s11, v0
	s_cbranch_execz .LBB4_66
.LBB4_71:
	v_dual_mov_b32 v2, 0 :: v_dual_add_nc_u32 v1, s10, v0
	v_add_nc_u32_e32 v0, 0x100, v0
	s_delay_alu instid0(VALU_DEP_2) | instskip(NEXT) | instid1(VALU_DEP_1)
	v_lshlrev_b64 v[1:2], 3, v[1:2]
	v_add_co_u32 v1, vcc_lo, s6, v1
	s_delay_alu instid0(VALU_DEP_2) | instskip(SKIP_2) | instid1(SALU_CYCLE_1)
	v_add_co_ci_u32_e32 v2, vcc_lo, s7, v2, vcc_lo
	global_store_b64 v[1:2], v[5:6], off
	s_or_b32 exec_lo, exec_lo, s0
	s_mov_b32 s0, exec_lo
	v_cmpx_gt_i32_e64 s11, v0
	s_cbranch_execnz .LBB4_67
.LBB4_72:
	s_nop 0
	s_sendmsg sendmsg(MSG_DEALLOC_VGPRS)
	s_endpgm
	.section	.rodata,"a",@progbits
	.p2align	6, 0x0
	.amdhsa_kernel _ZN2at6native27unrolled_elementwise_kernelINS0_13AUnaryFunctorIdddZZZNS0_12_GLOBAL__N_132hermite_polynomial_h_kernel_cudaERNS_18TensorIteratorBaseEENKUlvE_clEvENKUlvE_clEvEUlddE_EESt5arrayIPcLm2EELi4E23TrivialOffsetCalculatorILi1EjESE_NS0_6memory15LoadWithoutCastENSF_16StoreWithoutCastEEEviT_T0_T2_T3_T4_T5_
		.amdhsa_group_segment_fixed_size 0
		.amdhsa_private_segment_fixed_size 0
		.amdhsa_kernarg_size 44
		.amdhsa_user_sgpr_count 15
		.amdhsa_user_sgpr_dispatch_ptr 0
		.amdhsa_user_sgpr_queue_ptr 0
		.amdhsa_user_sgpr_kernarg_segment_ptr 1
		.amdhsa_user_sgpr_dispatch_id 0
		.amdhsa_user_sgpr_private_segment_size 0
		.amdhsa_wavefront_size32 1
		.amdhsa_uses_dynamic_stack 0
		.amdhsa_enable_private_segment 0
		.amdhsa_system_sgpr_workgroup_id_x 1
		.amdhsa_system_sgpr_workgroup_id_y 0
		.amdhsa_system_sgpr_workgroup_id_z 0
		.amdhsa_system_sgpr_workgroup_info 0
		.amdhsa_system_vgpr_workitem_id 0
		.amdhsa_next_free_vgpr 25
		.amdhsa_next_free_sgpr 16
		.amdhsa_reserve_vcc 1
		.amdhsa_float_round_mode_32 0
		.amdhsa_float_round_mode_16_64 0
		.amdhsa_float_denorm_mode_32 3
		.amdhsa_float_denorm_mode_16_64 3
		.amdhsa_dx10_clamp 1
		.amdhsa_ieee_mode 1
		.amdhsa_fp16_overflow 0
		.amdhsa_workgroup_processor_mode 1
		.amdhsa_memory_ordered 1
		.amdhsa_forward_progress 0
		.amdhsa_shared_vgpr_count 0
		.amdhsa_exception_fp_ieee_invalid_op 0
		.amdhsa_exception_fp_denorm_src 0
		.amdhsa_exception_fp_ieee_div_zero 0
		.amdhsa_exception_fp_ieee_overflow 0
		.amdhsa_exception_fp_ieee_underflow 0
		.amdhsa_exception_fp_ieee_inexact 0
		.amdhsa_exception_int_div_zero 0
	.end_amdhsa_kernel
	.section	.text._ZN2at6native27unrolled_elementwise_kernelINS0_13AUnaryFunctorIdddZZZNS0_12_GLOBAL__N_132hermite_polynomial_h_kernel_cudaERNS_18TensorIteratorBaseEENKUlvE_clEvENKUlvE_clEvEUlddE_EESt5arrayIPcLm2EELi4E23TrivialOffsetCalculatorILi1EjESE_NS0_6memory15LoadWithoutCastENSF_16StoreWithoutCastEEEviT_T0_T2_T3_T4_T5_,"axG",@progbits,_ZN2at6native27unrolled_elementwise_kernelINS0_13AUnaryFunctorIdddZZZNS0_12_GLOBAL__N_132hermite_polynomial_h_kernel_cudaERNS_18TensorIteratorBaseEENKUlvE_clEvENKUlvE_clEvEUlddE_EESt5arrayIPcLm2EELi4E23TrivialOffsetCalculatorILi1EjESE_NS0_6memory15LoadWithoutCastENSF_16StoreWithoutCastEEEviT_T0_T2_T3_T4_T5_,comdat
.Lfunc_end4:
	.size	_ZN2at6native27unrolled_elementwise_kernelINS0_13AUnaryFunctorIdddZZZNS0_12_GLOBAL__N_132hermite_polynomial_h_kernel_cudaERNS_18TensorIteratorBaseEENKUlvE_clEvENKUlvE_clEvEUlddE_EESt5arrayIPcLm2EELi4E23TrivialOffsetCalculatorILi1EjESE_NS0_6memory15LoadWithoutCastENSF_16StoreWithoutCastEEEviT_T0_T2_T3_T4_T5_, .Lfunc_end4-_ZN2at6native27unrolled_elementwise_kernelINS0_13AUnaryFunctorIdddZZZNS0_12_GLOBAL__N_132hermite_polynomial_h_kernel_cudaERNS_18TensorIteratorBaseEENKUlvE_clEvENKUlvE_clEvEUlddE_EESt5arrayIPcLm2EELi4E23TrivialOffsetCalculatorILi1EjESE_NS0_6memory15LoadWithoutCastENSF_16StoreWithoutCastEEEviT_T0_T2_T3_T4_T5_
                                        ; -- End function
	.section	.AMDGPU.csdata,"",@progbits
; Kernel info:
; codeLenInByte = 2344
; NumSgprs: 18
; NumVgprs: 25
; ScratchSize: 0
; MemoryBound: 0
; FloatMode: 240
; IeeeMode: 1
; LDSByteSize: 0 bytes/workgroup (compile time only)
; SGPRBlocks: 2
; VGPRBlocks: 3
; NumSGPRsForWavesPerEU: 18
; NumVGPRsForWavesPerEU: 25
; Occupancy: 16
; WaveLimiterHint : 0
; COMPUTE_PGM_RSRC2:SCRATCH_EN: 0
; COMPUTE_PGM_RSRC2:USER_SGPR: 15
; COMPUTE_PGM_RSRC2:TRAP_HANDLER: 0
; COMPUTE_PGM_RSRC2:TGID_X_EN: 1
; COMPUTE_PGM_RSRC2:TGID_Y_EN: 0
; COMPUTE_PGM_RSRC2:TGID_Z_EN: 0
; COMPUTE_PGM_RSRC2:TIDIG_COMP_CNT: 0
	.section	.text._ZN2at6native32elementwise_kernel_manual_unrollILi128ELi4EZNS0_22gpu_kernel_impl_nocastINS0_13AUnaryFunctorIdddZZZNS0_12_GLOBAL__N_132hermite_polynomial_h_kernel_cudaERNS_18TensorIteratorBaseEENKUlvE_clEvENKUlvE_clEvEUlddE_EEEEvS6_RKT_EUlibE_EEviT1_,"axG",@progbits,_ZN2at6native32elementwise_kernel_manual_unrollILi128ELi4EZNS0_22gpu_kernel_impl_nocastINS0_13AUnaryFunctorIdddZZZNS0_12_GLOBAL__N_132hermite_polynomial_h_kernel_cudaERNS_18TensorIteratorBaseEENKUlvE_clEvENKUlvE_clEvEUlddE_EEEEvS6_RKT_EUlibE_EEviT1_,comdat
	.globl	_ZN2at6native32elementwise_kernel_manual_unrollILi128ELi4EZNS0_22gpu_kernel_impl_nocastINS0_13AUnaryFunctorIdddZZZNS0_12_GLOBAL__N_132hermite_polynomial_h_kernel_cudaERNS_18TensorIteratorBaseEENKUlvE_clEvENKUlvE_clEvEUlddE_EEEEvS6_RKT_EUlibE_EEviT1_ ; -- Begin function _ZN2at6native32elementwise_kernel_manual_unrollILi128ELi4EZNS0_22gpu_kernel_impl_nocastINS0_13AUnaryFunctorIdddZZZNS0_12_GLOBAL__N_132hermite_polynomial_h_kernel_cudaERNS_18TensorIteratorBaseEENKUlvE_clEvENKUlvE_clEvEUlddE_EEEEvS6_RKT_EUlibE_EEviT1_
	.p2align	8
	.type	_ZN2at6native32elementwise_kernel_manual_unrollILi128ELi4EZNS0_22gpu_kernel_impl_nocastINS0_13AUnaryFunctorIdddZZZNS0_12_GLOBAL__N_132hermite_polynomial_h_kernel_cudaERNS_18TensorIteratorBaseEENKUlvE_clEvENKUlvE_clEvEUlddE_EEEEvS6_RKT_EUlibE_EEviT1_,@function
_ZN2at6native32elementwise_kernel_manual_unrollILi128ELi4EZNS0_22gpu_kernel_impl_nocastINS0_13AUnaryFunctorIdddZZZNS0_12_GLOBAL__N_132hermite_polynomial_h_kernel_cudaERNS_18TensorIteratorBaseEENKUlvE_clEvENKUlvE_clEvEUlddE_EEEEvS6_RKT_EUlibE_EEviT1_: ; @_ZN2at6native32elementwise_kernel_manual_unrollILi128ELi4EZNS0_22gpu_kernel_impl_nocastINS0_13AUnaryFunctorIdddZZZNS0_12_GLOBAL__N_132hermite_polynomial_h_kernel_cudaERNS_18TensorIteratorBaseEENKUlvE_clEvENKUlvE_clEvEUlddE_EEEEvS6_RKT_EUlibE_EEviT1_
; %bb.0:
	s_clause 0x1
	s_load_b32 s22, s[0:1], 0x8
	s_load_b32 s27, s[0:1], 0x0
	v_lshl_or_b32 v9, s15, 9, v0
	s_or_b32 s0, s0, 8
	s_mov_b32 s2, exec_lo
	s_delay_alu instid0(VALU_DEP_1) | instskip(SKIP_2) | instid1(SALU_CYCLE_1)
	v_or_b32_e32 v8, 0x180, v9
	s_waitcnt lgkmcnt(0)
	s_add_i32 s23, s22, -1
	s_cmp_gt_u32 s23, 1
	s_cselect_b32 s24, -1, 0
	v_cmpx_le_i32_e64 s27, v8
	s_xor_b32 s25, exec_lo, s2
	s_cbranch_execz .LBB5_7
; %bb.1:
	s_load_b64 s[2:3], s[0:1], 0x160
	s_cmp_lg_u32 s22, 0
	s_mov_b32 s30, exec_lo
	s_cselect_b32 s29, -1, 0
	s_add_u32 s16, s0, 0xc4
	s_addc_u32 s17, s1, 0
	s_min_u32 s28, s23, 15
	s_cmp_gt_u32 s22, 1
	s_cselect_b32 s26, -1, 0
	s_waitcnt lgkmcnt(0)
	v_add_f64 v[0:1], s[2:3], s[2:3]
	s_clause 0x3
	s_load_b128 s[12:15], s[0:1], 0x4
	s_load_b64 s[2:3], s[0:1], 0x14
	s_load_b128 s[8:11], s[0:1], 0xc4
	s_load_b128 s[4:7], s[0:1], 0x148
	v_cmpx_gt_i32_e64 s27, v9
	s_cbranch_execz .LBB5_14
; %bb.2:
	s_and_not1_b32 vcc_lo, exec_lo, s24
	s_cbranch_vccnz .LBB5_21
; %bb.3:
	v_dual_mov_b32 v2, 0 :: v_dual_mov_b32 v3, 0
	s_and_not1_b32 vcc_lo, exec_lo, s29
	s_mov_b32 s31, 0
	s_cbranch_vccnz .LBB5_121
; %bb.4:
	v_mov_b32_e32 v2, 0
	s_add_i32 s34, s28, 1
	s_cmp_eq_u32 s23, 2
	s_mov_b32 s33, 0
	s_cbranch_scc1 .LBB5_117
; %bb.5:
	v_dual_mov_b32 v3, 0 :: v_dual_mov_b32 v2, 0
	v_mov_b32_e32 v4, v9
	s_and_b32 s33, s34, 28
	s_mov_b32 s35, 0
	s_mov_b64 s[18:19], s[16:17]
	s_mov_b64 s[20:21], s[0:1]
.LBB5_6:                                ; =>This Inner Loop Header: Depth=1
	s_clause 0x1
	s_load_b256 s[36:43], s[20:21], 0x4
	s_load_b128 s[52:55], s[20:21], 0x24
	s_load_b256 s[44:51], s[18:19], 0x0
	s_add_u32 s20, s20, 48
	s_addc_u32 s21, s21, 0
	s_add_i32 s35, s35, 4
	s_add_u32 s18, s18, 32
	s_addc_u32 s19, s19, 0
	s_cmp_lg_u32 s33, s35
	s_waitcnt lgkmcnt(0)
	v_mul_hi_u32 v5, s37, v4
	s_delay_alu instid0(VALU_DEP_1) | instskip(NEXT) | instid1(VALU_DEP_1)
	v_add_nc_u32_e32 v5, v4, v5
	v_lshrrev_b32_e32 v5, s38, v5
	s_delay_alu instid0(VALU_DEP_1) | instskip(SKIP_1) | instid1(VALU_DEP_2)
	v_mul_hi_u32 v6, s40, v5
	v_mul_lo_u32 v8, v5, s36
	v_add_nc_u32_e32 v6, v5, v6
	s_delay_alu instid0(VALU_DEP_2) | instskip(NEXT) | instid1(VALU_DEP_2)
	v_sub_nc_u32_e32 v4, v4, v8
	v_lshrrev_b32_e32 v6, s41, v6
	s_delay_alu instid0(VALU_DEP_2) | instskip(SKIP_1) | instid1(VALU_DEP_3)
	v_mul_lo_u32 v8, v4, s44
	v_mul_lo_u32 v11, v4, s45
	v_mul_hi_u32 v7, s43, v6
	s_delay_alu instid0(VALU_DEP_1) | instskip(NEXT) | instid1(VALU_DEP_1)
	v_add_nc_u32_e32 v7, v6, v7
	v_lshrrev_b32_e32 v7, s52, v7
	s_delay_alu instid0(VALU_DEP_1) | instskip(SKIP_1) | instid1(VALU_DEP_2)
	v_mul_hi_u32 v10, s54, v7
	v_mul_lo_u32 v12, v7, s42
	v_add_nc_u32_e32 v4, v7, v10
	v_mul_lo_u32 v10, v6, s39
	s_delay_alu instid0(VALU_DEP_3) | instskip(NEXT) | instid1(VALU_DEP_3)
	v_sub_nc_u32_e32 v6, v6, v12
	v_lshrrev_b32_e32 v4, s55, v4
	s_delay_alu instid0(VALU_DEP_2) | instskip(SKIP_2) | instid1(VALU_DEP_4)
	v_mul_lo_u32 v12, v6, s48
	v_mul_lo_u32 v6, v6, s49
	v_sub_nc_u32_e32 v5, v5, v10
	v_mul_lo_u32 v13, v4, s53
	s_delay_alu instid0(VALU_DEP_2) | instskip(SKIP_1) | instid1(VALU_DEP_3)
	v_mul_lo_u32 v10, v5, s46
	v_mul_lo_u32 v5, v5, s47
	v_sub_nc_u32_e32 v7, v7, v13
	s_delay_alu instid0(VALU_DEP_3) | instskip(NEXT) | instid1(VALU_DEP_2)
	v_add3_u32 v2, v8, v2, v10
	v_mul_lo_u32 v13, v7, s50
	v_mul_lo_u32 v7, v7, s51
	v_add3_u32 v3, v11, v3, v5
	s_delay_alu instid0(VALU_DEP_3) | instskip(NEXT) | instid1(VALU_DEP_2)
	v_add3_u32 v2, v12, v2, v13
	v_add3_u32 v3, v6, v3, v7
	s_cbranch_scc1 .LBB5_6
	s_branch .LBB5_118
.LBB5_7:
	s_and_not1_saveexec_b32 s2, s25
	s_cbranch_execz .LBB5_166
.LBB5_8:
	v_cndmask_b32_e64 v6, 0, 1, s24
	s_and_not1_b32 vcc_lo, exec_lo, s24
	s_cbranch_vccnz .LBB5_20
; %bb.9:
	v_mov_b32_e32 v0, 0
	v_mov_b32_e32 v2, 0
	s_cmp_lg_u32 s22, 0
	s_mov_b32 s6, 0
	s_cbranch_scc0 .LBB5_26
; %bb.10:
	s_min_u32 s7, s23, 15
	v_mov_b32_e32 v0, 0
	s_add_i32 s7, s7, 1
	s_cmp_eq_u32 s23, 2
	s_mov_b32 s8, 0
	s_cbranch_scc1 .LBB5_23
; %bb.11:
	v_dual_mov_b32 v2, 0 :: v_dual_mov_b32 v1, v9
	v_mov_b32_e32 v0, 0
	s_add_u32 s2, s0, 0xc4
	s_addc_u32 s3, s1, 0
	s_and_b32 s8, s7, 28
	s_mov_b32 s9, 0
	s_mov_b64 s[4:5], s[0:1]
.LBB5_12:                               ; =>This Inner Loop Header: Depth=1
	s_clause 0x1
	s_load_b256 s[12:19], s[4:5], 0x4
	s_load_b128 s[36:39], s[4:5], 0x24
	s_load_b256 s[24:31], s[2:3], 0x0
	s_add_u32 s4, s4, 48
	s_addc_u32 s5, s5, 0
	s_add_i32 s9, s9, 4
	s_add_u32 s2, s2, 32
	s_addc_u32 s3, s3, 0
	s_cmp_lg_u32 s8, s9
	s_waitcnt lgkmcnt(0)
	v_mul_hi_u32 v3, s13, v1
	s_delay_alu instid0(VALU_DEP_1) | instskip(NEXT) | instid1(VALU_DEP_1)
	v_add_nc_u32_e32 v3, v1, v3
	v_lshrrev_b32_e32 v3, s14, v3
	s_delay_alu instid0(VALU_DEP_1) | instskip(SKIP_1) | instid1(VALU_DEP_2)
	v_mul_hi_u32 v4, s16, v3
	v_mul_lo_u32 v7, v3, s12
	v_add_nc_u32_e32 v4, v3, v4
	s_delay_alu instid0(VALU_DEP_2) | instskip(NEXT) | instid1(VALU_DEP_2)
	v_sub_nc_u32_e32 v1, v1, v7
	v_lshrrev_b32_e32 v4, s17, v4
	s_delay_alu instid0(VALU_DEP_2) | instskip(SKIP_1) | instid1(VALU_DEP_3)
	v_mul_lo_u32 v7, v1, s24
	v_mul_lo_u32 v11, v1, s25
	v_mul_hi_u32 v5, s19, v4
	s_delay_alu instid0(VALU_DEP_1) | instskip(NEXT) | instid1(VALU_DEP_1)
	v_add_nc_u32_e32 v5, v4, v5
	v_lshrrev_b32_e32 v5, s36, v5
	s_delay_alu instid0(VALU_DEP_1) | instskip(SKIP_1) | instid1(VALU_DEP_2)
	v_mul_hi_u32 v10, s38, v5
	v_mul_lo_u32 v12, v5, s18
	v_add_nc_u32_e32 v1, v5, v10
	v_mul_lo_u32 v10, v4, s15
	s_delay_alu instid0(VALU_DEP_3) | instskip(NEXT) | instid1(VALU_DEP_3)
	v_sub_nc_u32_e32 v4, v4, v12
	v_lshrrev_b32_e32 v1, s39, v1
	s_delay_alu instid0(VALU_DEP_2) | instskip(SKIP_2) | instid1(VALU_DEP_4)
	v_mul_lo_u32 v12, v4, s28
	v_mul_lo_u32 v4, v4, s29
	v_sub_nc_u32_e32 v3, v3, v10
	v_mul_lo_u32 v13, v1, s37
	s_delay_alu instid0(VALU_DEP_2) | instskip(SKIP_1) | instid1(VALU_DEP_3)
	v_mul_lo_u32 v10, v3, s26
	v_mul_lo_u32 v3, v3, s27
	v_sub_nc_u32_e32 v5, v5, v13
	s_delay_alu instid0(VALU_DEP_3) | instskip(NEXT) | instid1(VALU_DEP_2)
	v_add3_u32 v0, v7, v0, v10
	v_mul_lo_u32 v13, v5, s30
	v_mul_lo_u32 v5, v5, s31
	v_add3_u32 v2, v11, v2, v3
	s_delay_alu instid0(VALU_DEP_3) | instskip(NEXT) | instid1(VALU_DEP_2)
	v_add3_u32 v0, v12, v0, v13
	v_add3_u32 v2, v4, v2, v5
	s_cbranch_scc1 .LBB5_12
; %bb.13:
	s_and_b32 s7, s7, 3
	s_delay_alu instid0(SALU_CYCLE_1)
	s_cmp_eq_u32 s7, 0
	s_cbranch_scc0 .LBB5_24
	s_branch .LBB5_26
.LBB5_14:
	s_or_b32 exec_lo, exec_lo, s30
	s_delay_alu instid0(SALU_CYCLE_1)
	s_mov_b32 s30, exec_lo
	v_cmpx_gt_i32_e64 s27, v9
	s_cbranch_execz .LBB5_137
.LBB5_15:
	s_and_not1_b32 vcc_lo, exec_lo, s24
	s_cbranch_vccnz .LBB5_22
; %bb.16:
	v_dual_mov_b32 v2, 0 :: v_dual_mov_b32 v3, 0
	s_and_not1_b32 vcc_lo, exec_lo, s29
	s_mov_b32 s31, 0
	s_cbranch_vccnz .LBB5_148
; %bb.17:
	v_mov_b32_e32 v2, 0
	s_add_i32 s34, s28, 1
	s_cmp_eq_u32 s23, 2
	s_mov_b32 s33, 0
	s_cbranch_scc1 .LBB5_144
; %bb.18:
	v_dual_mov_b32 v3, 0 :: v_dual_mov_b32 v2, 0
	v_mov_b32_e32 v4, v9
	s_and_b32 s33, s34, 28
	s_mov_b32 s35, 0
	s_mov_b64 s[18:19], s[16:17]
	s_mov_b64 s[20:21], s[0:1]
.LBB5_19:                               ; =>This Inner Loop Header: Depth=1
	s_clause 0x1
	s_load_b256 s[36:43], s[20:21], 0x4
	s_load_b128 s[52:55], s[20:21], 0x24
	s_load_b256 s[44:51], s[18:19], 0x0
	s_add_u32 s20, s20, 48
	s_addc_u32 s21, s21, 0
	s_add_i32 s35, s35, 4
	s_add_u32 s18, s18, 32
	s_addc_u32 s19, s19, 0
	s_cmp_eq_u32 s33, s35
	s_waitcnt lgkmcnt(0)
	v_mul_hi_u32 v5, s37, v4
	s_delay_alu instid0(VALU_DEP_1) | instskip(NEXT) | instid1(VALU_DEP_1)
	v_add_nc_u32_e32 v5, v4, v5
	v_lshrrev_b32_e32 v5, s38, v5
	s_delay_alu instid0(VALU_DEP_1) | instskip(SKIP_1) | instid1(VALU_DEP_2)
	v_mul_hi_u32 v6, s40, v5
	v_mul_lo_u32 v8, v5, s36
	v_add_nc_u32_e32 v6, v5, v6
	s_delay_alu instid0(VALU_DEP_2) | instskip(NEXT) | instid1(VALU_DEP_2)
	v_sub_nc_u32_e32 v4, v4, v8
	v_lshrrev_b32_e32 v6, s41, v6
	s_delay_alu instid0(VALU_DEP_2) | instskip(SKIP_1) | instid1(VALU_DEP_3)
	v_mul_lo_u32 v8, v4, s44
	v_mul_lo_u32 v11, v4, s45
	v_mul_hi_u32 v7, s43, v6
	s_delay_alu instid0(VALU_DEP_1) | instskip(NEXT) | instid1(VALU_DEP_1)
	v_add_nc_u32_e32 v7, v6, v7
	v_lshrrev_b32_e32 v7, s52, v7
	s_delay_alu instid0(VALU_DEP_1) | instskip(SKIP_1) | instid1(VALU_DEP_2)
	v_mul_hi_u32 v10, s54, v7
	v_mul_lo_u32 v12, v7, s42
	v_add_nc_u32_e32 v4, v7, v10
	v_mul_lo_u32 v10, v6, s39
	s_delay_alu instid0(VALU_DEP_3) | instskip(NEXT) | instid1(VALU_DEP_3)
	v_sub_nc_u32_e32 v6, v6, v12
	v_lshrrev_b32_e32 v4, s55, v4
	s_delay_alu instid0(VALU_DEP_2) | instskip(SKIP_2) | instid1(VALU_DEP_4)
	v_mul_lo_u32 v12, v6, s48
	v_mul_lo_u32 v6, v6, s49
	v_sub_nc_u32_e32 v5, v5, v10
	v_mul_lo_u32 v13, v4, s53
	s_delay_alu instid0(VALU_DEP_2) | instskip(SKIP_1) | instid1(VALU_DEP_3)
	v_mul_lo_u32 v10, v5, s46
	v_mul_lo_u32 v5, v5, s47
	v_sub_nc_u32_e32 v7, v7, v13
	s_delay_alu instid0(VALU_DEP_3) | instskip(NEXT) | instid1(VALU_DEP_2)
	v_add3_u32 v2, v8, v2, v10
	v_mul_lo_u32 v13, v7, s50
	v_mul_lo_u32 v7, v7, s51
	v_add3_u32 v3, v11, v3, v5
	s_delay_alu instid0(VALU_DEP_3) | instskip(NEXT) | instid1(VALU_DEP_2)
	v_add3_u32 v2, v12, v2, v13
	v_add3_u32 v3, v6, v3, v7
	s_cbranch_scc0 .LBB5_19
	s_branch .LBB5_145
.LBB5_20:
	s_mov_b32 s6, -1
                                        ; implicit-def: $vgpr0
                                        ; implicit-def: $vgpr2
	s_branch .LBB5_26
.LBB5_21:
	s_mov_b32 s31, -1
                                        ; implicit-def: $vgpr2
                                        ; implicit-def: $vgpr3
	s_branch .LBB5_121
.LBB5_22:
	s_mov_b32 s31, -1
                                        ; implicit-def: $vgpr2
                                        ; implicit-def: $vgpr3
	s_branch .LBB5_148
.LBB5_23:
	v_dual_mov_b32 v1, v9 :: v_dual_mov_b32 v2, 0
	s_and_b32 s7, s7, 3
	s_delay_alu instid0(SALU_CYCLE_1)
	s_cmp_eq_u32 s7, 0
	s_cbranch_scc1 .LBB5_26
.LBB5_24:
	s_lshl_b32 s2, s8, 3
	s_mul_i32 s4, s8, 12
	s_add_u32 s2, s2, s0
	s_addc_u32 s3, 0, s1
	s_add_u32 s2, s2, 0xc4
	s_addc_u32 s3, s3, 0
	;; [unrolled: 2-line block ×3, first 2 shown]
	.p2align	6
.LBB5_25:                               ; =>This Inner Loop Header: Depth=1
	s_clause 0x1
	s_load_b64 s[8:9], s[4:5], 0x4
	s_load_b32 s12, s[4:5], 0xc
	s_load_b64 s[10:11], s[2:3], 0x0
	s_add_u32 s4, s4, 12
	s_addc_u32 s5, s5, 0
	s_add_u32 s2, s2, 8
	s_addc_u32 s3, s3, 0
	s_add_i32 s7, s7, -1
	s_delay_alu instid0(SALU_CYCLE_1) | instskip(SKIP_2) | instid1(VALU_DEP_1)
	s_cmp_lg_u32 s7, 0
	s_waitcnt lgkmcnt(0)
	v_mul_hi_u32 v3, s9, v1
	v_add_nc_u32_e32 v3, v1, v3
	s_delay_alu instid0(VALU_DEP_1) | instskip(NEXT) | instid1(VALU_DEP_1)
	v_lshrrev_b32_e32 v7, s12, v3
	v_mul_lo_u32 v3, v7, s8
	s_delay_alu instid0(VALU_DEP_1) | instskip(NEXT) | instid1(VALU_DEP_1)
	v_sub_nc_u32_e32 v1, v1, v3
	v_mad_u64_u32 v[3:4], null, v1, s10, v[0:1]
	s_delay_alu instid0(VALU_DEP_1) | instskip(SKIP_2) | instid1(VALU_DEP_3)
	v_mad_u64_u32 v[4:5], null, v1, s11, v[2:3]
	v_mov_b32_e32 v1, v7
	v_mov_b32_e32 v0, v3
	;; [unrolled: 1-line block ×3, first 2 shown]
	s_cbranch_scc1 .LBB5_25
.LBB5_26:
	s_and_not1_b32 vcc_lo, exec_lo, s6
	s_cbranch_vccnz .LBB5_29
; %bb.27:
	s_clause 0x1
	s_load_b128 s[4:7], s[0:1], 0x4
	s_load_b64 s[2:3], s[0:1], 0xc4
	s_cmp_lt_u32 s22, 2
	s_waitcnt lgkmcnt(0)
	v_mul_hi_u32 v0, s5, v9
	s_delay_alu instid0(VALU_DEP_1) | instskip(NEXT) | instid1(VALU_DEP_1)
	v_add_nc_u32_e32 v0, v9, v0
	v_lshrrev_b32_e32 v1, s6, v0
	s_delay_alu instid0(VALU_DEP_1) | instskip(NEXT) | instid1(VALU_DEP_1)
	v_mul_lo_u32 v0, v1, s4
	v_sub_nc_u32_e32 v2, v9, v0
	s_delay_alu instid0(VALU_DEP_1)
	v_mul_lo_u32 v0, v2, s2
	v_mul_lo_u32 v2, v2, s3
	s_cbranch_scc1 .LBB5_29
; %bb.28:
	s_clause 0x1
	s_load_b128 s[4:7], s[0:1], 0x10
	s_load_b64 s[2:3], s[0:1], 0xcc
	s_waitcnt lgkmcnt(0)
	v_mul_hi_u32 v3, s5, v1
	s_delay_alu instid0(VALU_DEP_1) | instskip(NEXT) | instid1(VALU_DEP_1)
	v_add_nc_u32_e32 v3, v1, v3
	v_lshrrev_b32_e32 v3, s6, v3
	s_delay_alu instid0(VALU_DEP_1) | instskip(NEXT) | instid1(VALU_DEP_1)
	v_mul_lo_u32 v3, v3, s4
	v_sub_nc_u32_e32 v1, v1, v3
	s_delay_alu instid0(VALU_DEP_1) | instskip(NEXT) | instid1(VALU_DEP_1)
	v_mad_u64_u32 v[3:4], null, v1, s2, v[0:1]
	v_mad_u64_u32 v[4:5], null, v1, s3, v[2:3]
	v_mov_b32_e32 v0, v3
	s_delay_alu instid0(VALU_DEP_2)
	v_mov_b32_e32 v2, v4
.LBB5_29:
	v_cmp_ne_u32_e32 vcc_lo, 1, v6
	v_add_nc_u32_e32 v3, 0x80, v9
	s_cbranch_vccnz .LBB5_35
; %bb.30:
	v_dual_mov_b32 v1, 0 :: v_dual_mov_b32 v4, 0
	s_cmp_lg_u32 s22, 0
	s_mov_b32 s6, 0
	s_cbranch_scc0 .LBB5_39
; %bb.31:
	s_min_u32 s7, s23, 15
	v_mov_b32_e32 v1, 0
	s_add_i32 s7, s7, 1
	s_cmp_eq_u32 s23, 2
	s_mov_b32 s8, 0
	s_cbranch_scc1 .LBB5_36
; %bb.32:
	v_dual_mov_b32 v4, 0 :: v_dual_mov_b32 v1, 0
	v_mov_b32_e32 v5, v3
	s_add_u32 s2, s0, 0xc4
	s_addc_u32 s3, s1, 0
	s_and_b32 s8, s7, 28
	s_mov_b32 s9, 0
	s_mov_b64 s[4:5], s[0:1]
.LBB5_33:                               ; =>This Inner Loop Header: Depth=1
	s_clause 0x1
	s_load_b256 s[12:19], s[4:5], 0x4
	s_load_b128 s[36:39], s[4:5], 0x24
	s_load_b256 s[24:31], s[2:3], 0x0
	s_add_u32 s4, s4, 48
	s_addc_u32 s5, s5, 0
	s_add_i32 s9, s9, 4
	s_add_u32 s2, s2, 32
	s_addc_u32 s3, s3, 0
	s_cmp_lg_u32 s8, s9
	s_waitcnt lgkmcnt(0)
	v_mul_hi_u32 v7, s13, v5
	s_delay_alu instid0(VALU_DEP_1) | instskip(NEXT) | instid1(VALU_DEP_1)
	v_add_nc_u32_e32 v7, v5, v7
	v_lshrrev_b32_e32 v7, s14, v7
	s_delay_alu instid0(VALU_DEP_1) | instskip(SKIP_1) | instid1(VALU_DEP_2)
	v_mul_hi_u32 v10, s16, v7
	v_mul_lo_u32 v12, v7, s12
	v_add_nc_u32_e32 v10, v7, v10
	s_delay_alu instid0(VALU_DEP_2) | instskip(NEXT) | instid1(VALU_DEP_2)
	v_sub_nc_u32_e32 v5, v5, v12
	v_lshrrev_b32_e32 v10, s17, v10
	s_delay_alu instid0(VALU_DEP_2) | instskip(SKIP_1) | instid1(VALU_DEP_3)
	v_mul_lo_u32 v12, v5, s24
	v_mul_lo_u32 v14, v5, s25
	v_mul_hi_u32 v11, s19, v10
	s_delay_alu instid0(VALU_DEP_1) | instskip(NEXT) | instid1(VALU_DEP_1)
	v_add_nc_u32_e32 v11, v10, v11
	v_lshrrev_b32_e32 v11, s36, v11
	s_delay_alu instid0(VALU_DEP_1) | instskip(SKIP_1) | instid1(VALU_DEP_2)
	v_mul_hi_u32 v13, s38, v11
	v_mul_lo_u32 v15, v11, s18
	v_add_nc_u32_e32 v5, v11, v13
	v_mul_lo_u32 v13, v10, s15
	s_delay_alu instid0(VALU_DEP_3) | instskip(NEXT) | instid1(VALU_DEP_3)
	v_sub_nc_u32_e32 v10, v10, v15
	v_lshrrev_b32_e32 v5, s39, v5
	s_delay_alu instid0(VALU_DEP_2) | instskip(SKIP_2) | instid1(VALU_DEP_4)
	v_mul_lo_u32 v15, v10, s28
	v_mul_lo_u32 v10, v10, s29
	v_sub_nc_u32_e32 v7, v7, v13
	v_mul_lo_u32 v16, v5, s37
	s_delay_alu instid0(VALU_DEP_2) | instskip(SKIP_1) | instid1(VALU_DEP_3)
	v_mul_lo_u32 v13, v7, s26
	v_mul_lo_u32 v7, v7, s27
	v_sub_nc_u32_e32 v11, v11, v16
	s_delay_alu instid0(VALU_DEP_3) | instskip(NEXT) | instid1(VALU_DEP_2)
	v_add3_u32 v1, v12, v1, v13
	v_mul_lo_u32 v16, v11, s30
	v_mul_lo_u32 v11, v11, s31
	v_add3_u32 v4, v14, v4, v7
	s_delay_alu instid0(VALU_DEP_3) | instskip(NEXT) | instid1(VALU_DEP_2)
	v_add3_u32 v1, v15, v1, v16
	v_add3_u32 v4, v10, v4, v11
	s_cbranch_scc1 .LBB5_33
; %bb.34:
	s_and_b32 s7, s7, 3
	s_delay_alu instid0(SALU_CYCLE_1)
	s_cmp_eq_u32 s7, 0
	s_cbranch_scc0 .LBB5_37
	s_branch .LBB5_39
.LBB5_35:
	s_mov_b32 s6, -1
                                        ; implicit-def: $vgpr1
                                        ; implicit-def: $vgpr4
	s_branch .LBB5_39
.LBB5_36:
	v_dual_mov_b32 v5, v3 :: v_dual_mov_b32 v4, 0
	s_and_b32 s7, s7, 3
	s_delay_alu instid0(SALU_CYCLE_1)
	s_cmp_eq_u32 s7, 0
	s_cbranch_scc1 .LBB5_39
.LBB5_37:
	s_lshl_b32 s2, s8, 3
	s_mul_i32 s4, s8, 12
	s_add_u32 s2, s2, s0
	s_addc_u32 s3, 0, s1
	s_add_u32 s2, s2, 0xc4
	s_addc_u32 s3, s3, 0
	;; [unrolled: 2-line block ×3, first 2 shown]
	.p2align	6
.LBB5_38:                               ; =>This Inner Loop Header: Depth=1
	s_clause 0x1
	s_load_b64 s[8:9], s[4:5], 0x4
	s_load_b32 s12, s[4:5], 0xc
	s_load_b64 s[10:11], s[2:3], 0x0
	s_add_u32 s4, s4, 12
	s_addc_u32 s5, s5, 0
	s_add_u32 s2, s2, 8
	s_addc_u32 s3, s3, 0
	s_add_i32 s7, s7, -1
	s_delay_alu instid0(SALU_CYCLE_1) | instskip(SKIP_2) | instid1(VALU_DEP_1)
	s_cmp_lg_u32 s7, 0
	s_waitcnt lgkmcnt(0)
	v_mul_hi_u32 v7, s9, v5
	v_add_nc_u32_e32 v7, v5, v7
	s_delay_alu instid0(VALU_DEP_1) | instskip(NEXT) | instid1(VALU_DEP_1)
	v_lshrrev_b32_e32 v7, s12, v7
	v_mul_lo_u32 v10, v7, s8
	s_delay_alu instid0(VALU_DEP_1) | instskip(NEXT) | instid1(VALU_DEP_1)
	v_sub_nc_u32_e32 v5, v5, v10
	v_mad_u64_u32 v[10:11], null, v5, s10, v[1:2]
	v_mad_u64_u32 v[11:12], null, v5, s11, v[4:5]
	v_mov_b32_e32 v5, v7
	s_delay_alu instid0(VALU_DEP_2)
	v_dual_mov_b32 v1, v10 :: v_dual_mov_b32 v4, v11
	s_cbranch_scc1 .LBB5_38
.LBB5_39:
	s_and_not1_b32 vcc_lo, exec_lo, s6
	s_cbranch_vccnz .LBB5_42
; %bb.40:
	s_clause 0x1
	s_load_b128 s[4:7], s[0:1], 0x4
	s_load_b64 s[2:3], s[0:1], 0xc4
	s_cmp_lt_u32 s22, 2
	s_waitcnt lgkmcnt(0)
	v_mul_hi_u32 v1, s5, v3
	s_delay_alu instid0(VALU_DEP_1) | instskip(NEXT) | instid1(VALU_DEP_1)
	v_add_nc_u32_e32 v1, v3, v1
	v_lshrrev_b32_e32 v5, s6, v1
	s_delay_alu instid0(VALU_DEP_1) | instskip(NEXT) | instid1(VALU_DEP_1)
	v_mul_lo_u32 v1, v5, s4
	v_sub_nc_u32_e32 v3, v3, v1
	s_delay_alu instid0(VALU_DEP_1)
	v_mul_lo_u32 v1, v3, s2
	v_mul_lo_u32 v4, v3, s3
	s_cbranch_scc1 .LBB5_42
; %bb.41:
	s_clause 0x1
	s_load_b128 s[4:7], s[0:1], 0x10
	s_load_b64 s[2:3], s[0:1], 0xcc
	s_waitcnt lgkmcnt(0)
	v_mul_hi_u32 v3, s5, v5
	s_delay_alu instid0(VALU_DEP_1) | instskip(NEXT) | instid1(VALU_DEP_1)
	v_add_nc_u32_e32 v3, v5, v3
	v_lshrrev_b32_e32 v3, s6, v3
	s_delay_alu instid0(VALU_DEP_1) | instskip(NEXT) | instid1(VALU_DEP_1)
	v_mul_lo_u32 v3, v3, s4
	v_sub_nc_u32_e32 v3, v5, v3
	s_delay_alu instid0(VALU_DEP_1) | instskip(SKIP_1) | instid1(VALU_DEP_1)
	v_mad_u64_u32 v[10:11], null, v3, s2, v[1:2]
	v_mad_u64_u32 v[11:12], null, v3, s3, v[4:5]
	v_dual_mov_b32 v1, v10 :: v_dual_mov_b32 v4, v11
.LBB5_42:
	v_cmp_ne_u32_e32 vcc_lo, 1, v6
	v_add_nc_u32_e32 v7, 0x100, v9
	s_cbranch_vccnz .LBB5_48
; %bb.43:
	v_mov_b32_e32 v3, 0
	v_mov_b32_e32 v5, 0
	s_cmp_lg_u32 s22, 0
	s_mov_b32 s6, 0
	s_cbranch_scc0 .LBB5_52
; %bb.44:
	s_min_u32 s7, s23, 15
	v_mov_b32_e32 v3, 0
	s_add_i32 s7, s7, 1
	s_cmp_eq_u32 s23, 2
	s_mov_b32 s8, 0
	s_cbranch_scc1 .LBB5_49
; %bb.45:
	v_mov_b32_e32 v5, 0
	v_mov_b32_e32 v3, 0
	;; [unrolled: 1-line block ×3, first 2 shown]
	s_add_u32 s2, s0, 0xc4
	s_addc_u32 s3, s1, 0
	s_and_b32 s8, s7, 28
	s_mov_b32 s9, 0
	s_mov_b64 s[4:5], s[0:1]
.LBB5_46:                               ; =>This Inner Loop Header: Depth=1
	s_clause 0x1
	s_load_b256 s[12:19], s[4:5], 0x4
	s_load_b128 s[36:39], s[4:5], 0x24
	s_load_b256 s[24:31], s[2:3], 0x0
	s_add_u32 s4, s4, 48
	s_addc_u32 s5, s5, 0
	s_add_i32 s9, s9, 4
	s_add_u32 s2, s2, 32
	s_addc_u32 s3, s3, 0
	s_cmp_lg_u32 s8, s9
	s_waitcnt lgkmcnt(0)
	v_mul_hi_u32 v10, s13, v9
	s_delay_alu instid0(VALU_DEP_1) | instskip(NEXT) | instid1(VALU_DEP_1)
	v_add_nc_u32_e32 v10, v9, v10
	v_lshrrev_b32_e32 v10, s14, v10
	s_delay_alu instid0(VALU_DEP_1) | instskip(SKIP_1) | instid1(VALU_DEP_2)
	v_mul_hi_u32 v11, s16, v10
	v_mul_lo_u32 v13, v10, s12
	v_add_nc_u32_e32 v11, v10, v11
	s_delay_alu instid0(VALU_DEP_2) | instskip(NEXT) | instid1(VALU_DEP_2)
	v_sub_nc_u32_e32 v9, v9, v13
	v_lshrrev_b32_e32 v11, s17, v11
	s_delay_alu instid0(VALU_DEP_2) | instskip(SKIP_1) | instid1(VALU_DEP_3)
	v_mul_lo_u32 v13, v9, s24
	v_mul_lo_u32 v15, v9, s25
	v_mul_hi_u32 v12, s19, v11
	s_delay_alu instid0(VALU_DEP_1) | instskip(NEXT) | instid1(VALU_DEP_1)
	v_add_nc_u32_e32 v12, v11, v12
	v_lshrrev_b32_e32 v12, s36, v12
	s_delay_alu instid0(VALU_DEP_1) | instskip(SKIP_1) | instid1(VALU_DEP_2)
	v_mul_hi_u32 v14, s38, v12
	v_mul_lo_u32 v16, v12, s18
	v_add_nc_u32_e32 v9, v12, v14
	v_mul_lo_u32 v14, v11, s15
	s_delay_alu instid0(VALU_DEP_3) | instskip(NEXT) | instid1(VALU_DEP_3)
	v_sub_nc_u32_e32 v11, v11, v16
	v_lshrrev_b32_e32 v9, s39, v9
	s_delay_alu instid0(VALU_DEP_2) | instskip(SKIP_2) | instid1(VALU_DEP_4)
	v_mul_lo_u32 v16, v11, s28
	v_mul_lo_u32 v11, v11, s29
	v_sub_nc_u32_e32 v10, v10, v14
	v_mul_lo_u32 v17, v9, s37
	s_delay_alu instid0(VALU_DEP_2) | instskip(SKIP_1) | instid1(VALU_DEP_3)
	v_mul_lo_u32 v14, v10, s26
	v_mul_lo_u32 v10, v10, s27
	v_sub_nc_u32_e32 v12, v12, v17
	s_delay_alu instid0(VALU_DEP_3) | instskip(NEXT) | instid1(VALU_DEP_2)
	v_add3_u32 v3, v13, v3, v14
	v_mul_lo_u32 v17, v12, s30
	v_mul_lo_u32 v12, v12, s31
	v_add3_u32 v5, v15, v5, v10
	s_delay_alu instid0(VALU_DEP_3) | instskip(NEXT) | instid1(VALU_DEP_2)
	v_add3_u32 v3, v16, v3, v17
	v_add3_u32 v5, v11, v5, v12
	s_cbranch_scc1 .LBB5_46
; %bb.47:
	s_and_b32 s7, s7, 3
	s_delay_alu instid0(SALU_CYCLE_1)
	s_cmp_eq_u32 s7, 0
	s_cbranch_scc0 .LBB5_50
	s_branch .LBB5_52
.LBB5_48:
	s_mov_b32 s6, -1
                                        ; implicit-def: $vgpr3
                                        ; implicit-def: $vgpr5
	s_branch .LBB5_52
.LBB5_49:
	v_mov_b32_e32 v9, v7
	v_mov_b32_e32 v5, 0
	s_and_b32 s7, s7, 3
	s_delay_alu instid0(SALU_CYCLE_1)
	s_cmp_eq_u32 s7, 0
	s_cbranch_scc1 .LBB5_52
.LBB5_50:
	s_lshl_b32 s2, s8, 3
	s_mul_i32 s4, s8, 12
	s_add_u32 s2, s2, s0
	s_addc_u32 s3, 0, s1
	s_add_u32 s2, s2, 0xc4
	s_addc_u32 s3, s3, 0
	;; [unrolled: 2-line block ×3, first 2 shown]
	.p2align	6
.LBB5_51:                               ; =>This Inner Loop Header: Depth=1
	s_clause 0x1
	s_load_b64 s[8:9], s[4:5], 0x4
	s_load_b32 s12, s[4:5], 0xc
	s_load_b64 s[10:11], s[2:3], 0x0
	s_add_u32 s4, s4, 12
	s_addc_u32 s5, s5, 0
	s_add_u32 s2, s2, 8
	s_addc_u32 s3, s3, 0
	s_add_i32 s7, s7, -1
	s_delay_alu instid0(SALU_CYCLE_1) | instskip(SKIP_2) | instid1(VALU_DEP_1)
	s_cmp_lg_u32 s7, 0
	s_waitcnt lgkmcnt(0)
	v_mul_hi_u32 v10, s9, v9
	v_add_nc_u32_e32 v10, v9, v10
	s_delay_alu instid0(VALU_DEP_1) | instskip(NEXT) | instid1(VALU_DEP_1)
	v_lshrrev_b32_e32 v13, s12, v10
	v_mul_lo_u32 v10, v13, s8
	s_delay_alu instid0(VALU_DEP_1) | instskip(NEXT) | instid1(VALU_DEP_1)
	v_sub_nc_u32_e32 v9, v9, v10
	v_mad_u64_u32 v[10:11], null, v9, s10, v[3:4]
	v_mad_u64_u32 v[11:12], null, v9, s11, v[5:6]
	v_mov_b32_e32 v9, v13
	s_delay_alu instid0(VALU_DEP_3) | instskip(NEXT) | instid1(VALU_DEP_3)
	v_mov_b32_e32 v3, v10
	v_mov_b32_e32 v5, v11
	s_cbranch_scc1 .LBB5_51
.LBB5_52:
	s_and_not1_b32 vcc_lo, exec_lo, s6
	s_cbranch_vccnz .LBB5_55
; %bb.53:
	s_clause 0x1
	s_load_b128 s[4:7], s[0:1], 0x4
	s_load_b64 s[2:3], s[0:1], 0xc4
	s_cmp_lt_u32 s22, 2
	s_waitcnt lgkmcnt(0)
	v_mul_hi_u32 v3, s5, v7
	s_delay_alu instid0(VALU_DEP_1) | instskip(NEXT) | instid1(VALU_DEP_1)
	v_add_nc_u32_e32 v3, v7, v3
	v_lshrrev_b32_e32 v9, s6, v3
	s_delay_alu instid0(VALU_DEP_1) | instskip(NEXT) | instid1(VALU_DEP_1)
	v_mul_lo_u32 v3, v9, s4
	v_sub_nc_u32_e32 v5, v7, v3
	s_delay_alu instid0(VALU_DEP_1)
	v_mul_lo_u32 v3, v5, s2
	v_mul_lo_u32 v5, v5, s3
	s_cbranch_scc1 .LBB5_55
; %bb.54:
	s_clause 0x1
	s_load_b128 s[4:7], s[0:1], 0x10
	s_load_b64 s[2:3], s[0:1], 0xcc
	s_waitcnt lgkmcnt(0)
	v_mul_hi_u32 v7, s5, v9
	s_delay_alu instid0(VALU_DEP_1) | instskip(NEXT) | instid1(VALU_DEP_1)
	v_add_nc_u32_e32 v7, v9, v7
	v_lshrrev_b32_e32 v7, s6, v7
	s_delay_alu instid0(VALU_DEP_1) | instskip(NEXT) | instid1(VALU_DEP_1)
	v_mul_lo_u32 v7, v7, s4
	v_sub_nc_u32_e32 v7, v9, v7
	s_delay_alu instid0(VALU_DEP_1) | instskip(SKIP_1) | instid1(VALU_DEP_2)
	v_mad_u64_u32 v[9:10], null, v7, s2, v[3:4]
	v_mad_u64_u32 v[10:11], null, v7, s3, v[5:6]
	v_mov_b32_e32 v3, v9
	s_delay_alu instid0(VALU_DEP_2)
	v_mov_b32_e32 v5, v10
.LBB5_55:
	v_cmp_ne_u32_e32 vcc_lo, 1, v6
	s_cbranch_vccnz .LBB5_61
; %bb.56:
	v_dual_mov_b32 v6, 0 :: v_dual_mov_b32 v7, 0
	s_cmp_lg_u32 s22, 0
	s_mov_b32 s6, 0
	s_cbranch_scc0 .LBB5_65
; %bb.57:
	s_min_u32 s7, s23, 15
	v_mov_b32_e32 v6, 0
	s_add_i32 s7, s7, 1
	s_cmp_eq_u32 s23, 2
	s_mov_b32 s8, 0
	s_cbranch_scc1 .LBB5_62
; %bb.58:
	v_dual_mov_b32 v7, 0 :: v_dual_mov_b32 v6, 0
	v_mov_b32_e32 v9, v8
	s_add_u32 s2, s0, 0xc4
	s_addc_u32 s3, s1, 0
	s_and_b32 s8, s7, 28
	s_mov_b32 s9, 0
	s_mov_b64 s[4:5], s[0:1]
.LBB5_59:                               ; =>This Inner Loop Header: Depth=1
	s_clause 0x1
	s_load_b256 s[12:19], s[4:5], 0x4
	s_load_b128 s[36:39], s[4:5], 0x24
	s_load_b256 s[24:31], s[2:3], 0x0
	s_add_u32 s4, s4, 48
	s_addc_u32 s5, s5, 0
	s_add_i32 s9, s9, 4
	s_add_u32 s2, s2, 32
	s_addc_u32 s3, s3, 0
	s_cmp_lg_u32 s8, s9
	s_waitcnt lgkmcnt(0)
	v_mul_hi_u32 v10, s13, v9
	s_delay_alu instid0(VALU_DEP_1) | instskip(NEXT) | instid1(VALU_DEP_1)
	v_add_nc_u32_e32 v10, v9, v10
	v_lshrrev_b32_e32 v10, s14, v10
	s_delay_alu instid0(VALU_DEP_1) | instskip(SKIP_1) | instid1(VALU_DEP_2)
	v_mul_hi_u32 v11, s16, v10
	v_mul_lo_u32 v13, v10, s12
	v_add_nc_u32_e32 v11, v10, v11
	s_delay_alu instid0(VALU_DEP_2) | instskip(NEXT) | instid1(VALU_DEP_2)
	v_sub_nc_u32_e32 v9, v9, v13
	v_lshrrev_b32_e32 v11, s17, v11
	s_delay_alu instid0(VALU_DEP_2) | instskip(SKIP_1) | instid1(VALU_DEP_3)
	v_mul_lo_u32 v13, v9, s24
	v_mul_lo_u32 v15, v9, s25
	v_mul_hi_u32 v12, s19, v11
	s_delay_alu instid0(VALU_DEP_1) | instskip(NEXT) | instid1(VALU_DEP_1)
	v_add_nc_u32_e32 v12, v11, v12
	v_lshrrev_b32_e32 v12, s36, v12
	s_delay_alu instid0(VALU_DEP_1) | instskip(SKIP_1) | instid1(VALU_DEP_2)
	v_mul_hi_u32 v14, s38, v12
	v_mul_lo_u32 v16, v12, s18
	v_add_nc_u32_e32 v9, v12, v14
	v_mul_lo_u32 v14, v11, s15
	s_delay_alu instid0(VALU_DEP_3) | instskip(NEXT) | instid1(VALU_DEP_3)
	v_sub_nc_u32_e32 v11, v11, v16
	v_lshrrev_b32_e32 v9, s39, v9
	s_delay_alu instid0(VALU_DEP_2) | instskip(SKIP_2) | instid1(VALU_DEP_4)
	v_mul_lo_u32 v16, v11, s28
	v_mul_lo_u32 v11, v11, s29
	v_sub_nc_u32_e32 v10, v10, v14
	v_mul_lo_u32 v17, v9, s37
	s_delay_alu instid0(VALU_DEP_2) | instskip(SKIP_1) | instid1(VALU_DEP_3)
	v_mul_lo_u32 v14, v10, s26
	v_mul_lo_u32 v10, v10, s27
	v_sub_nc_u32_e32 v12, v12, v17
	s_delay_alu instid0(VALU_DEP_3) | instskip(NEXT) | instid1(VALU_DEP_2)
	v_add3_u32 v6, v13, v6, v14
	v_mul_lo_u32 v17, v12, s30
	v_mul_lo_u32 v12, v12, s31
	v_add3_u32 v7, v15, v7, v10
	s_delay_alu instid0(VALU_DEP_3) | instskip(NEXT) | instid1(VALU_DEP_2)
	v_add3_u32 v6, v16, v6, v17
	v_add3_u32 v7, v11, v7, v12
	s_cbranch_scc1 .LBB5_59
; %bb.60:
	s_and_b32 s7, s7, 3
	s_delay_alu instid0(SALU_CYCLE_1)
	s_cmp_eq_u32 s7, 0
	s_cbranch_scc0 .LBB5_63
	s_branch .LBB5_65
.LBB5_61:
	s_mov_b32 s6, -1
                                        ; implicit-def: $vgpr6
                                        ; implicit-def: $vgpr7
	s_branch .LBB5_65
.LBB5_62:
	v_mov_b32_e32 v9, v8
	v_mov_b32_e32 v7, 0
	s_and_b32 s7, s7, 3
	s_delay_alu instid0(SALU_CYCLE_1)
	s_cmp_eq_u32 s7, 0
	s_cbranch_scc1 .LBB5_65
.LBB5_63:
	s_lshl_b32 s2, s8, 3
	s_mul_i32 s4, s8, 12
	s_add_u32 s2, s2, s0
	s_addc_u32 s3, 0, s1
	s_add_u32 s2, s2, 0xc4
	s_addc_u32 s3, s3, 0
	;; [unrolled: 2-line block ×3, first 2 shown]
	.p2align	6
.LBB5_64:                               ; =>This Inner Loop Header: Depth=1
	s_clause 0x1
	s_load_b64 s[8:9], s[4:5], 0x4
	s_load_b32 s12, s[4:5], 0xc
	s_load_b64 s[10:11], s[2:3], 0x0
	s_add_u32 s4, s4, 12
	s_addc_u32 s5, s5, 0
	s_add_u32 s2, s2, 8
	s_addc_u32 s3, s3, 0
	s_add_i32 s7, s7, -1
	s_delay_alu instid0(SALU_CYCLE_1) | instskip(SKIP_2) | instid1(VALU_DEP_1)
	s_cmp_lg_u32 s7, 0
	s_waitcnt lgkmcnt(0)
	v_mul_hi_u32 v10, s9, v9
	v_add_nc_u32_e32 v10, v9, v10
	s_delay_alu instid0(VALU_DEP_1) | instskip(NEXT) | instid1(VALU_DEP_1)
	v_lshrrev_b32_e32 v13, s12, v10
	v_mul_lo_u32 v10, v13, s8
	s_delay_alu instid0(VALU_DEP_1) | instskip(NEXT) | instid1(VALU_DEP_1)
	v_sub_nc_u32_e32 v9, v9, v10
	v_mad_u64_u32 v[10:11], null, v9, s10, v[6:7]
	v_mad_u64_u32 v[11:12], null, v9, s11, v[7:8]
	s_delay_alu instid0(VALU_DEP_2) | instskip(NEXT) | instid1(VALU_DEP_2)
	v_dual_mov_b32 v9, v13 :: v_dual_mov_b32 v6, v10
	v_mov_b32_e32 v7, v11
	s_cbranch_scc1 .LBB5_64
.LBB5_65:
	s_and_not1_b32 vcc_lo, exec_lo, s6
	s_cbranch_vccnz .LBB5_68
; %bb.66:
	s_clause 0x1
	s_load_b128 s[4:7], s[0:1], 0x4
	s_load_b64 s[2:3], s[0:1], 0xc4
	s_cmp_lt_u32 s22, 2
	s_waitcnt lgkmcnt(0)
	v_mul_hi_u32 v6, s5, v8
	s_delay_alu instid0(VALU_DEP_1) | instskip(NEXT) | instid1(VALU_DEP_1)
	v_add_nc_u32_e32 v6, v8, v6
	v_lshrrev_b32_e32 v9, s6, v6
	s_delay_alu instid0(VALU_DEP_1) | instskip(NEXT) | instid1(VALU_DEP_1)
	v_mul_lo_u32 v6, v9, s4
	v_sub_nc_u32_e32 v7, v8, v6
	s_delay_alu instid0(VALU_DEP_1)
	v_mul_lo_u32 v6, v7, s2
	v_mul_lo_u32 v7, v7, s3
	s_cbranch_scc1 .LBB5_68
; %bb.67:
	s_clause 0x1
	s_load_b128 s[4:7], s[0:1], 0x10
	s_load_b64 s[2:3], s[0:1], 0xcc
	s_waitcnt lgkmcnt(0)
	v_mul_hi_u32 v8, s5, v9
	s_delay_alu instid0(VALU_DEP_1) | instskip(NEXT) | instid1(VALU_DEP_1)
	v_add_nc_u32_e32 v8, v9, v8
	v_lshrrev_b32_e32 v8, s6, v8
	s_delay_alu instid0(VALU_DEP_1) | instskip(NEXT) | instid1(VALU_DEP_1)
	v_mul_lo_u32 v8, v8, s4
	v_sub_nc_u32_e32 v11, v9, v8
	s_delay_alu instid0(VALU_DEP_1) | instskip(NEXT) | instid1(VALU_DEP_1)
	v_mad_u64_u32 v[8:9], null, v11, s2, v[6:7]
	v_mad_u64_u32 v[9:10], null, v11, s3, v[7:8]
	s_delay_alu instid0(VALU_DEP_1)
	v_dual_mov_b32 v6, v8 :: v_dual_mov_b32 v7, v9
.LBB5_68:
	s_clause 0x1
	s_load_b128 s[4:7], s[0:1], 0x148
	s_load_b64 s[0:1], s[0:1], 0x160
	s_mov_b32 s8, exec_lo
	s_waitcnt lgkmcnt(0)
	global_load_b64 v[8:9], v2, s[6:7]
	s_waitcnt vmcnt(0)
	v_trunc_f64_e32 v[10:11], v[8:9]
	v_cmp_class_f64_e64 vcc_lo, v[8:9], 0x1f8
	v_mov_b32_e32 v8, 0
	v_mov_b32_e32 v9, 0
	s_delay_alu instid0(VALU_DEP_4) | instskip(NEXT) | instid1(VALU_DEP_1)
	v_ldexp_f64 v[12:13], v[10:11], 0xffffffe0
	v_floor_f64_e32 v[12:13], v[12:13]
	s_delay_alu instid0(VALU_DEP_1) | instskip(SKIP_1) | instid1(VALU_DEP_2)
	v_fma_f64 v[10:11], 0xc1f00000, v[12:13], v[10:11]
	v_cvt_i32_f64_e32 v2, v[12:13]
	v_cvt_u32_f64_e32 v10, v[10:11]
	s_delay_alu instid0(VALU_DEP_2) | instskip(NEXT) | instid1(VALU_DEP_2)
	v_cndmask_b32_e32 v11, -1, v2, vcc_lo
	v_cndmask_b32_e32 v10, -1, v10, vcc_lo
	s_delay_alu instid0(VALU_DEP_1)
	v_cmpx_lt_i64_e32 -1, v[10:11]
	s_cbranch_execz .LBB5_80
; %bb.69:
	v_mov_b32_e32 v8, 0
	v_mov_b32_e32 v9, 0x3ff00000
	s_mov_b32 s9, exec_lo
	v_cmpx_lt_i64_e32 0, v[10:11]
	s_cbranch_execz .LBB5_79
; %bb.70:
                                        ; implicit-def: $vgpr8_vgpr9
	s_mov_b32 s2, exec_lo
	v_cmpx_ne_u64_e32 1, v[10:11]
	s_xor_b32 s10, exec_lo, s2
	s_cbranch_execz .LBB5_76
; %bb.71:
	v_mov_b32_e32 v8, 0
	v_mov_b32_e32 v9, 0x7ff80000
	s_mov_b32 s11, exec_lo
	v_cmpx_gt_u64_e32 0x201, v[10:11]
	s_cbranch_execz .LBB5_75
; %bb.72:
	v_add_f64 v[12:13], s[0:1], s[0:1]
	v_mov_b32_e32 v14, 0
	v_lshlrev_b64 v[10:11], 1, v[10:11]
	v_mov_b32_e32 v15, 0x3ff00000
	s_mov_b64 s[2:3], 2
	s_mov_b32 s12, 0
	s_delay_alu instid0(VALU_DEP_4)
	v_dual_mov_b32 v8, v12 :: v_dual_mov_b32 v9, v13
	.p2align	6
.LBB5_73:                               ; =>This Inner Loop Header: Depth=1
	v_cvt_f64_u32_e32 v[16:17], s3
	v_cvt_f64_u32_e32 v[18:19], s2
	s_add_u32 s2, s2, 2
	s_addc_u32 s3, s3, 0
	s_delay_alu instid0(SALU_CYCLE_1) | instskip(SKIP_1) | instid1(VALU_DEP_3)
	v_cmp_ge_u64_e32 vcc_lo, s[2:3], v[10:11]
	s_or_b32 s12, vcc_lo, s12
	v_ldexp_f64 v[16:17], v[16:17], 32
	s_delay_alu instid0(VALU_DEP_1) | instskip(NEXT) | instid1(VALU_DEP_1)
	v_add_f64 v[16:17], v[16:17], v[18:19]
	v_mul_f64 v[14:15], v[14:15], v[16:17]
	v_dual_mov_b32 v17, v9 :: v_dual_mov_b32 v16, v8
	s_delay_alu instid0(VALU_DEP_1)
	v_fma_f64 v[8:9], v[12:13], v[16:17], -v[14:15]
	v_dual_mov_b32 v14, v16 :: v_dual_mov_b32 v15, v17
	s_and_not1_b32 exec_lo, exec_lo, s12
	s_cbranch_execnz .LBB5_73
; %bb.74:
	s_or_b32 exec_lo, exec_lo, s12
.LBB5_75:
	s_delay_alu instid0(SALU_CYCLE_1)
	s_or_b32 exec_lo, exec_lo, s11
.LBB5_76:
	s_and_not1_saveexec_b32 s2, s10
; %bb.77:
	v_add_f64 v[8:9], s[0:1], s[0:1]
; %bb.78:
	s_or_b32 exec_lo, exec_lo, s2
.LBB5_79:
	s_delay_alu instid0(SALU_CYCLE_1)
	s_or_b32 exec_lo, exec_lo, s9
.LBB5_80:
	s_delay_alu instid0(SALU_CYCLE_1)
	s_or_b32 exec_lo, exec_lo, s8
	global_load_b64 v[10:11], v4, s[6:7]
	s_mov_b32 s8, exec_lo
	s_waitcnt vmcnt(0)
	v_trunc_f64_e32 v[12:13], v[10:11]
	v_cmp_class_f64_e64 vcc_lo, v[10:11], 0x1f8
	v_mov_b32_e32 v10, 0
	v_mov_b32_e32 v11, 0
	s_delay_alu instid0(VALU_DEP_4) | instskip(NEXT) | instid1(VALU_DEP_1)
	v_ldexp_f64 v[14:15], v[12:13], 0xffffffe0
	v_floor_f64_e32 v[14:15], v[14:15]
	s_delay_alu instid0(VALU_DEP_1) | instskip(SKIP_1) | instid1(VALU_DEP_2)
	v_fma_f64 v[12:13], 0xc1f00000, v[14:15], v[12:13]
	v_cvt_i32_f64_e32 v2, v[14:15]
	v_cvt_u32_f64_e32 v4, v[12:13]
	s_delay_alu instid0(VALU_DEP_1) | instskip(NEXT) | instid1(VALU_DEP_1)
	v_dual_cndmask_b32 v13, -1, v2 :: v_dual_cndmask_b32 v12, -1, v4
	v_cmpx_lt_i64_e32 -1, v[12:13]
	s_cbranch_execz .LBB5_92
; %bb.81:
	v_mov_b32_e32 v10, 0
	v_mov_b32_e32 v11, 0x3ff00000
	s_mov_b32 s9, exec_lo
	v_cmpx_lt_i64_e32 0, v[12:13]
	s_cbranch_execz .LBB5_91
; %bb.82:
                                        ; implicit-def: $vgpr10_vgpr11
	s_mov_b32 s2, exec_lo
	v_cmpx_ne_u64_e32 1, v[12:13]
	s_xor_b32 s10, exec_lo, s2
	s_cbranch_execz .LBB5_88
; %bb.83:
	v_mov_b32_e32 v10, 0
	v_mov_b32_e32 v11, 0x7ff80000
	s_mov_b32 s11, exec_lo
	v_cmpx_gt_u64_e32 0x201, v[12:13]
	s_cbranch_execz .LBB5_87
; %bb.84:
	v_add_f64 v[14:15], s[0:1], s[0:1]
	v_mov_b32_e32 v16, 0
	v_lshlrev_b64 v[12:13], 1, v[12:13]
	v_mov_b32_e32 v17, 0x3ff00000
	s_mov_b64 s[2:3], 2
	s_mov_b32 s12, 0
	s_delay_alu instid0(VALU_DEP_4)
	v_dual_mov_b32 v10, v14 :: v_dual_mov_b32 v11, v15
	.p2align	6
.LBB5_85:                               ; =>This Inner Loop Header: Depth=1
	v_cvt_f64_u32_e32 v[18:19], s3
	v_cvt_f64_u32_e32 v[20:21], s2
	s_add_u32 s2, s2, 2
	s_addc_u32 s3, s3, 0
	s_delay_alu instid0(SALU_CYCLE_1) | instskip(SKIP_1) | instid1(VALU_DEP_3)
	v_cmp_ge_u64_e32 vcc_lo, s[2:3], v[12:13]
	s_or_b32 s12, vcc_lo, s12
	v_ldexp_f64 v[18:19], v[18:19], 32
	s_delay_alu instid0(VALU_DEP_1) | instskip(NEXT) | instid1(VALU_DEP_1)
	v_add_f64 v[18:19], v[18:19], v[20:21]
	v_mul_f64 v[16:17], v[16:17], v[18:19]
	v_dual_mov_b32 v19, v11 :: v_dual_mov_b32 v18, v10
	s_delay_alu instid0(VALU_DEP_1)
	v_fma_f64 v[10:11], v[14:15], v[18:19], -v[16:17]
	v_dual_mov_b32 v16, v18 :: v_dual_mov_b32 v17, v19
	s_and_not1_b32 exec_lo, exec_lo, s12
	s_cbranch_execnz .LBB5_85
; %bb.86:
	s_or_b32 exec_lo, exec_lo, s12
.LBB5_87:
	s_delay_alu instid0(SALU_CYCLE_1)
	s_or_b32 exec_lo, exec_lo, s11
.LBB5_88:
	s_and_not1_saveexec_b32 s2, s10
; %bb.89:
	v_add_f64 v[10:11], s[0:1], s[0:1]
; %bb.90:
	s_or_b32 exec_lo, exec_lo, s2
.LBB5_91:
	s_delay_alu instid0(SALU_CYCLE_1)
	s_or_b32 exec_lo, exec_lo, s9
.LBB5_92:
	s_delay_alu instid0(SALU_CYCLE_1)
	s_or_b32 exec_lo, exec_lo, s8
	global_load_b64 v[4:5], v5, s[6:7]
	s_mov_b32 s8, exec_lo
	s_waitcnt vmcnt(0)
	v_trunc_f64_e32 v[12:13], v[4:5]
	v_cmp_class_f64_e64 vcc_lo, v[4:5], 0x1f8
	v_mov_b32_e32 v4, 0
	v_mov_b32_e32 v5, 0
	s_delay_alu instid0(VALU_DEP_4) | instskip(NEXT) | instid1(VALU_DEP_1)
	v_ldexp_f64 v[14:15], v[12:13], 0xffffffe0
	v_floor_f64_e32 v[14:15], v[14:15]
	s_delay_alu instid0(VALU_DEP_1) | instskip(SKIP_1) | instid1(VALU_DEP_2)
	v_fma_f64 v[12:13], 0xc1f00000, v[14:15], v[12:13]
	v_cvt_i32_f64_e32 v2, v[14:15]
	v_cvt_u32_f64_e32 v12, v[12:13]
	s_delay_alu instid0(VALU_DEP_1) | instskip(NEXT) | instid1(VALU_DEP_1)
	v_dual_cndmask_b32 v13, -1, v2 :: v_dual_cndmask_b32 v12, -1, v12
	v_cmpx_lt_i64_e32 -1, v[12:13]
	s_cbranch_execz .LBB5_104
; %bb.93:
	v_mov_b32_e32 v4, 0
	v_mov_b32_e32 v5, 0x3ff00000
	s_mov_b32 s9, exec_lo
	v_cmpx_lt_i64_e32 0, v[12:13]
	s_cbranch_execz .LBB5_103
; %bb.94:
                                        ; implicit-def: $vgpr4_vgpr5
	s_mov_b32 s2, exec_lo
	v_cmpx_ne_u64_e32 1, v[12:13]
	s_xor_b32 s10, exec_lo, s2
	s_cbranch_execz .LBB5_100
; %bb.95:
	v_mov_b32_e32 v4, 0
	v_mov_b32_e32 v5, 0x7ff80000
	s_mov_b32 s11, exec_lo
	v_cmpx_gt_u64_e32 0x201, v[12:13]
	s_cbranch_execz .LBB5_99
; %bb.96:
	v_add_f64 v[14:15], s[0:1], s[0:1]
	v_mov_b32_e32 v16, 0
	v_lshlrev_b64 v[12:13], 1, v[12:13]
	v_mov_b32_e32 v17, 0x3ff00000
	s_mov_b64 s[2:3], 2
	s_mov_b32 s12, 0
	s_delay_alu instid0(VALU_DEP_4)
	v_dual_mov_b32 v4, v14 :: v_dual_mov_b32 v5, v15
	.p2align	6
.LBB5_97:                               ; =>This Inner Loop Header: Depth=1
	v_cvt_f64_u32_e32 v[18:19], s3
	v_cvt_f64_u32_e32 v[20:21], s2
	s_add_u32 s2, s2, 2
	s_addc_u32 s3, s3, 0
	s_delay_alu instid0(SALU_CYCLE_1) | instskip(SKIP_1) | instid1(VALU_DEP_3)
	v_cmp_ge_u64_e32 vcc_lo, s[2:3], v[12:13]
	s_or_b32 s12, vcc_lo, s12
	v_ldexp_f64 v[18:19], v[18:19], 32
	s_delay_alu instid0(VALU_DEP_1) | instskip(NEXT) | instid1(VALU_DEP_1)
	v_add_f64 v[18:19], v[18:19], v[20:21]
	v_mul_f64 v[16:17], v[16:17], v[18:19]
	v_dual_mov_b32 v19, v5 :: v_dual_mov_b32 v18, v4
	s_delay_alu instid0(VALU_DEP_1)
	v_fma_f64 v[4:5], v[14:15], v[18:19], -v[16:17]
	v_dual_mov_b32 v16, v18 :: v_dual_mov_b32 v17, v19
	s_and_not1_b32 exec_lo, exec_lo, s12
	s_cbranch_execnz .LBB5_97
; %bb.98:
	s_or_b32 exec_lo, exec_lo, s12
.LBB5_99:
	s_delay_alu instid0(SALU_CYCLE_1)
	s_or_b32 exec_lo, exec_lo, s11
.LBB5_100:
	s_and_not1_saveexec_b32 s2, s10
; %bb.101:
	v_add_f64 v[4:5], s[0:1], s[0:1]
; %bb.102:
	s_or_b32 exec_lo, exec_lo, s2
.LBB5_103:
	s_delay_alu instid0(SALU_CYCLE_1)
	s_or_b32 exec_lo, exec_lo, s9
.LBB5_104:
	s_delay_alu instid0(SALU_CYCLE_1)
	s_or_b32 exec_lo, exec_lo, s8
	global_load_b64 v[12:13], v7, s[6:7]
	s_mov_b32 s6, exec_lo
	s_waitcnt vmcnt(0)
	v_trunc_f64_e32 v[14:15], v[12:13]
	v_cmp_class_f64_e64 vcc_lo, v[12:13], 0x1f8
	v_mov_b32_e32 v12, 0
	v_mov_b32_e32 v13, 0
	s_delay_alu instid0(VALU_DEP_4) | instskip(NEXT) | instid1(VALU_DEP_1)
	v_ldexp_f64 v[16:17], v[14:15], 0xffffffe0
	v_floor_f64_e32 v[16:17], v[16:17]
	s_delay_alu instid0(VALU_DEP_1) | instskip(SKIP_1) | instid1(VALU_DEP_2)
	v_fma_f64 v[14:15], 0xc1f00000, v[16:17], v[14:15]
	v_cvt_i32_f64_e32 v2, v[16:17]
	v_cvt_u32_f64_e32 v7, v[14:15]
	s_delay_alu instid0(VALU_DEP_1) | instskip(NEXT) | instid1(VALU_DEP_1)
	v_dual_cndmask_b32 v15, -1, v2 :: v_dual_cndmask_b32 v14, -1, v7
	v_cmpx_lt_i64_e32 -1, v[14:15]
	s_cbranch_execz .LBB5_116
; %bb.105:
	v_mov_b32_e32 v12, 0
	v_mov_b32_e32 v13, 0x3ff00000
	s_mov_b32 s7, exec_lo
	v_cmpx_lt_i64_e32 0, v[14:15]
	s_cbranch_execz .LBB5_115
; %bb.106:
                                        ; implicit-def: $vgpr12_vgpr13
	s_mov_b32 s2, exec_lo
	v_cmpx_ne_u64_e32 1, v[14:15]
	s_xor_b32 s8, exec_lo, s2
	s_cbranch_execz .LBB5_112
; %bb.107:
	v_mov_b32_e32 v12, 0
	v_mov_b32_e32 v13, 0x7ff80000
	s_mov_b32 s9, exec_lo
	v_cmpx_gt_u64_e32 0x201, v[14:15]
	s_cbranch_execz .LBB5_111
; %bb.108:
	v_add_f64 v[16:17], s[0:1], s[0:1]
	v_mov_b32_e32 v18, 0
	v_lshlrev_b64 v[14:15], 1, v[14:15]
	v_mov_b32_e32 v19, 0x3ff00000
	s_mov_b64 s[2:3], 2
	s_mov_b32 s10, 0
	s_delay_alu instid0(VALU_DEP_4)
	v_dual_mov_b32 v12, v16 :: v_dual_mov_b32 v13, v17
	.p2align	6
.LBB5_109:                              ; =>This Inner Loop Header: Depth=1
	v_cvt_f64_u32_e32 v[20:21], s3
	v_cvt_f64_u32_e32 v[22:23], s2
	s_add_u32 s2, s2, 2
	s_addc_u32 s3, s3, 0
	s_delay_alu instid0(SALU_CYCLE_1) | instskip(SKIP_1) | instid1(VALU_DEP_3)
	v_cmp_ge_u64_e32 vcc_lo, s[2:3], v[14:15]
	s_or_b32 s10, vcc_lo, s10
	v_ldexp_f64 v[20:21], v[20:21], 32
	s_delay_alu instid0(VALU_DEP_1) | instskip(NEXT) | instid1(VALU_DEP_1)
	v_add_f64 v[20:21], v[20:21], v[22:23]
	v_mul_f64 v[18:19], v[18:19], v[20:21]
	v_dual_mov_b32 v21, v13 :: v_dual_mov_b32 v20, v12
	s_delay_alu instid0(VALU_DEP_1)
	v_fma_f64 v[12:13], v[16:17], v[20:21], -v[18:19]
	v_dual_mov_b32 v18, v20 :: v_dual_mov_b32 v19, v21
	s_and_not1_b32 exec_lo, exec_lo, s10
	s_cbranch_execnz .LBB5_109
; %bb.110:
	s_or_b32 exec_lo, exec_lo, s10
.LBB5_111:
	s_delay_alu instid0(SALU_CYCLE_1)
	s_or_b32 exec_lo, exec_lo, s9
.LBB5_112:
	s_and_not1_saveexec_b32 s2, s8
; %bb.113:
	v_add_f64 v[12:13], s[0:1], s[0:1]
; %bb.114:
	s_or_b32 exec_lo, exec_lo, s2
.LBB5_115:
	s_delay_alu instid0(SALU_CYCLE_1)
	s_or_b32 exec_lo, exec_lo, s7
.LBB5_116:
	s_delay_alu instid0(SALU_CYCLE_1)
	s_or_b32 exec_lo, exec_lo, s6
	s_clause 0x3
	global_store_b64 v0, v[8:9], s[4:5]
	global_store_b64 v1, v[10:11], s[4:5]
	;; [unrolled: 1-line block ×4, first 2 shown]
	s_nop 0
	s_sendmsg sendmsg(MSG_DEALLOC_VGPRS)
	s_endpgm
.LBB5_117:
	v_dual_mov_b32 v4, v9 :: v_dual_mov_b32 v3, 0
.LBB5_118:
	s_and_b32 s34, s34, 3
	s_delay_alu instid0(SALU_CYCLE_1)
	s_cmp_eq_u32 s34, 0
	s_cbranch_scc1 .LBB5_121
; %bb.119:
	s_lshl_b32 s18, s33, 3
	s_mul_i32 s20, s33, 12
	s_add_u32 s18, s18, s0
	s_addc_u32 s19, s1, 0
	s_add_u32 s18, s18, 0xc4
	s_addc_u32 s19, s19, 0
	;; [unrolled: 2-line block ×3, first 2 shown]
	.p2align	6
.LBB5_120:                              ; =>This Inner Loop Header: Depth=1
	s_clause 0x1
	s_load_b64 s[36:37], s[20:21], 0x4
	s_load_b32 s33, s[20:21], 0xc
	s_load_b64 s[38:39], s[18:19], 0x0
	s_add_u32 s20, s20, 12
	s_addc_u32 s21, s21, 0
	s_add_u32 s18, s18, 8
	s_addc_u32 s19, s19, 0
	s_add_i32 s34, s34, -1
	s_delay_alu instid0(SALU_CYCLE_1) | instskip(SKIP_2) | instid1(VALU_DEP_1)
	s_cmp_lg_u32 s34, 0
	s_waitcnt lgkmcnt(0)
	v_mul_hi_u32 v5, s37, v4
	v_add_nc_u32_e32 v5, v4, v5
	s_delay_alu instid0(VALU_DEP_1) | instskip(NEXT) | instid1(VALU_DEP_1)
	v_lshrrev_b32_e32 v8, s33, v5
	v_mul_lo_u32 v5, v8, s36
	s_delay_alu instid0(VALU_DEP_1) | instskip(NEXT) | instid1(VALU_DEP_1)
	v_sub_nc_u32_e32 v4, v4, v5
	v_mad_u64_u32 v[5:6], null, v4, s38, v[2:3]
	v_mad_u64_u32 v[6:7], null, v4, s39, v[3:4]
	v_mov_b32_e32 v4, v8
	s_delay_alu instid0(VALU_DEP_2)
	v_dual_mov_b32 v2, v5 :: v_dual_mov_b32 v3, v6
	s_cbranch_scc1 .LBB5_120
.LBB5_121:
	s_and_not1_b32 vcc_lo, exec_lo, s31
	s_cbranch_vccnz .LBB5_124
; %bb.122:
	s_waitcnt lgkmcnt(0)
	v_mul_hi_u32 v2, s13, v9
	s_and_not1_b32 vcc_lo, exec_lo, s26
	s_delay_alu instid0(VALU_DEP_1) | instskip(NEXT) | instid1(VALU_DEP_1)
	v_add_nc_u32_e32 v2, v9, v2
	v_lshrrev_b32_e32 v4, s14, v2
	s_delay_alu instid0(VALU_DEP_1) | instskip(NEXT) | instid1(VALU_DEP_1)
	v_mul_lo_u32 v2, v4, s12
	v_sub_nc_u32_e32 v3, v9, v2
	s_delay_alu instid0(VALU_DEP_1)
	v_mul_lo_u32 v2, v3, s8
	v_mul_lo_u32 v3, v3, s9
	s_cbranch_vccnz .LBB5_124
; %bb.123:
	v_mul_hi_u32 v5, s2, v4
	s_delay_alu instid0(VALU_DEP_1) | instskip(NEXT) | instid1(VALU_DEP_1)
	v_add_nc_u32_e32 v5, v4, v5
	v_lshrrev_b32_e32 v5, s3, v5
	s_delay_alu instid0(VALU_DEP_1) | instskip(NEXT) | instid1(VALU_DEP_1)
	v_mul_lo_u32 v5, v5, s15
	v_sub_nc_u32_e32 v7, v4, v5
	s_delay_alu instid0(VALU_DEP_1) | instskip(NEXT) | instid1(VALU_DEP_1)
	v_mad_u64_u32 v[4:5], null, v7, s10, v[2:3]
	v_mad_u64_u32 v[5:6], null, v7, s11, v[3:4]
	s_delay_alu instid0(VALU_DEP_1)
	v_dual_mov_b32 v2, v4 :: v_dual_mov_b32 v3, v5
.LBB5_124:
	s_waitcnt lgkmcnt(0)
	global_load_b64 v[3:4], v3, s[6:7]
	s_mov_b32 s20, exec_lo
	s_waitcnt vmcnt(0)
	v_trunc_f64_e32 v[5:6], v[3:4]
	v_cmp_class_f64_e64 vcc_lo, v[3:4], 0x1f8
	v_mov_b32_e32 v3, 0
	v_mov_b32_e32 v4, 0
	s_delay_alu instid0(VALU_DEP_4) | instskip(NEXT) | instid1(VALU_DEP_1)
	v_ldexp_f64 v[7:8], v[5:6], 0xffffffe0
	v_floor_f64_e32 v[7:8], v[7:8]
	s_delay_alu instid0(VALU_DEP_1) | instskip(SKIP_1) | instid1(VALU_DEP_2)
	v_fma_f64 v[5:6], 0xc1f00000, v[7:8], v[5:6]
	v_cvt_i32_f64_e32 v7, v[7:8]
	v_cvt_u32_f64_e32 v5, v[5:6]
	s_delay_alu instid0(VALU_DEP_1) | instskip(NEXT) | instid1(VALU_DEP_1)
	v_dual_cndmask_b32 v6, -1, v7 :: v_dual_cndmask_b32 v5, -1, v5
	v_cmpx_lt_i64_e32 -1, v[5:6]
	s_cbranch_execz .LBB5_136
; %bb.125:
	v_mov_b32_e32 v3, 0
	v_mov_b32_e32 v4, 0x3ff00000
	s_mov_b32 s21, exec_lo
	v_cmpx_lt_i64_e32 0, v[5:6]
	s_cbranch_execz .LBB5_135
; %bb.126:
                                        ; implicit-def: $vgpr3_vgpr4
	s_mov_b32 s18, exec_lo
	v_cmpx_ne_u64_e32 1, v[5:6]
	s_xor_b32 s31, exec_lo, s18
	s_cbranch_execz .LBB5_132
; %bb.127:
	v_mov_b32_e32 v3, 0
	v_mov_b32_e32 v4, 0x7ff80000
	s_mov_b32 s33, exec_lo
	v_cmpx_gt_u64_e32 0x201, v[5:6]
	s_cbranch_execz .LBB5_131
; %bb.128:
	v_lshlrev_b64 v[5:6], 1, v[5:6]
	v_dual_mov_b32 v7, 0 :: v_dual_mov_b32 v4, v1
	v_dual_mov_b32 v8, 0x3ff00000 :: v_dual_mov_b32 v3, v0
	s_mov_b64 s[18:19], 2
	s_mov_b32 s34, 0
	.p2align	6
.LBB5_129:                              ; =>This Inner Loop Header: Depth=1
	v_cvt_f64_u32_e32 v[10:11], s19
	v_cvt_f64_u32_e32 v[12:13], s18
	s_add_u32 s18, s18, 2
	s_addc_u32 s19, s19, 0
	s_delay_alu instid0(SALU_CYCLE_1) | instskip(SKIP_1) | instid1(VALU_DEP_3)
	v_cmp_ge_u64_e32 vcc_lo, s[18:19], v[5:6]
	s_or_b32 s34, vcc_lo, s34
	v_ldexp_f64 v[10:11], v[10:11], 32
	s_delay_alu instid0(VALU_DEP_1) | instskip(NEXT) | instid1(VALU_DEP_1)
	v_add_f64 v[10:11], v[10:11], v[12:13]
	v_mul_f64 v[7:8], v[7:8], v[10:11]
	v_dual_mov_b32 v11, v4 :: v_dual_mov_b32 v10, v3
	s_delay_alu instid0(VALU_DEP_1)
	v_fma_f64 v[3:4], v[0:1], v[10:11], -v[7:8]
	v_dual_mov_b32 v7, v10 :: v_dual_mov_b32 v8, v11
	s_and_not1_b32 exec_lo, exec_lo, s34
	s_cbranch_execnz .LBB5_129
; %bb.130:
	s_or_b32 exec_lo, exec_lo, s34
.LBB5_131:
	s_delay_alu instid0(SALU_CYCLE_1)
	s_or_b32 exec_lo, exec_lo, s33
.LBB5_132:
	s_and_not1_saveexec_b32 s18, s31
; %bb.133:
	v_dual_mov_b32 v4, v1 :: v_dual_mov_b32 v3, v0
; %bb.134:
	s_or_b32 exec_lo, exec_lo, s18
.LBB5_135:
	s_delay_alu instid0(SALU_CYCLE_1)
	s_or_b32 exec_lo, exec_lo, s21
.LBB5_136:
	s_delay_alu instid0(SALU_CYCLE_1) | instskip(SKIP_3) | instid1(SALU_CYCLE_1)
	s_or_b32 exec_lo, exec_lo, s20
	v_add_nc_u32_e32 v9, 0x80, v9
	global_store_b64 v2, v[3:4], s[4:5]
	s_or_b32 exec_lo, exec_lo, s30
	s_mov_b32 s30, exec_lo
	v_cmpx_gt_i32_e64 s27, v9
	s_cbranch_execnz .LBB5_15
.LBB5_137:
	s_or_b32 exec_lo, exec_lo, s30
	s_delay_alu instid0(SALU_CYCLE_1)
	s_mov_b32 s30, exec_lo
	v_cmpx_gt_i32_e64 s27, v9
	s_cbranch_execz .LBB5_164
.LBB5_138:
	s_and_not1_b32 vcc_lo, exec_lo, s24
	s_cbranch_vccnz .LBB5_143
; %bb.139:
	v_dual_mov_b32 v2, 0 :: v_dual_mov_b32 v3, 0
	s_and_not1_b32 vcc_lo, exec_lo, s29
	s_mov_b32 s31, 0
	s_cbranch_vccnz .LBB5_171
; %bb.140:
	v_mov_b32_e32 v2, 0
	s_add_i32 s34, s28, 1
	s_cmp_eq_u32 s23, 2
	s_mov_b32 s33, 0
	s_cbranch_scc1 .LBB5_167
; %bb.141:
	v_dual_mov_b32 v3, 0 :: v_dual_mov_b32 v2, 0
	v_mov_b32_e32 v4, v9
	s_and_b32 s33, s34, 28
	s_mov_b32 s35, 0
	s_mov_b64 s[18:19], s[16:17]
	s_mov_b64 s[20:21], s[0:1]
.LBB5_142:                              ; =>This Inner Loop Header: Depth=1
	s_clause 0x1
	s_load_b256 s[36:43], s[20:21], 0x4
	s_load_b128 s[52:55], s[20:21], 0x24
	s_load_b256 s[44:51], s[18:19], 0x0
	s_add_u32 s20, s20, 48
	s_addc_u32 s21, s21, 0
	s_add_i32 s35, s35, 4
	s_add_u32 s18, s18, 32
	s_addc_u32 s19, s19, 0
	s_cmp_eq_u32 s33, s35
	s_waitcnt lgkmcnt(0)
	v_mul_hi_u32 v5, s37, v4
	s_delay_alu instid0(VALU_DEP_1) | instskip(NEXT) | instid1(VALU_DEP_1)
	v_add_nc_u32_e32 v5, v4, v5
	v_lshrrev_b32_e32 v5, s38, v5
	s_delay_alu instid0(VALU_DEP_1) | instskip(SKIP_1) | instid1(VALU_DEP_2)
	v_mul_hi_u32 v6, s40, v5
	v_mul_lo_u32 v8, v5, s36
	v_add_nc_u32_e32 v6, v5, v6
	s_delay_alu instid0(VALU_DEP_2) | instskip(NEXT) | instid1(VALU_DEP_2)
	v_sub_nc_u32_e32 v4, v4, v8
	v_lshrrev_b32_e32 v6, s41, v6
	s_delay_alu instid0(VALU_DEP_2) | instskip(SKIP_1) | instid1(VALU_DEP_3)
	v_mul_lo_u32 v8, v4, s44
	v_mul_lo_u32 v11, v4, s45
	v_mul_hi_u32 v7, s43, v6
	s_delay_alu instid0(VALU_DEP_1) | instskip(NEXT) | instid1(VALU_DEP_1)
	v_add_nc_u32_e32 v7, v6, v7
	v_lshrrev_b32_e32 v7, s52, v7
	s_delay_alu instid0(VALU_DEP_1) | instskip(SKIP_1) | instid1(VALU_DEP_2)
	v_mul_hi_u32 v10, s54, v7
	v_mul_lo_u32 v12, v7, s42
	v_add_nc_u32_e32 v4, v7, v10
	v_mul_lo_u32 v10, v6, s39
	s_delay_alu instid0(VALU_DEP_3) | instskip(NEXT) | instid1(VALU_DEP_3)
	v_sub_nc_u32_e32 v6, v6, v12
	v_lshrrev_b32_e32 v4, s55, v4
	s_delay_alu instid0(VALU_DEP_2) | instskip(SKIP_2) | instid1(VALU_DEP_4)
	v_mul_lo_u32 v12, v6, s48
	v_mul_lo_u32 v6, v6, s49
	v_sub_nc_u32_e32 v5, v5, v10
	v_mul_lo_u32 v13, v4, s53
	s_delay_alu instid0(VALU_DEP_2) | instskip(SKIP_1) | instid1(VALU_DEP_3)
	v_mul_lo_u32 v10, v5, s46
	v_mul_lo_u32 v5, v5, s47
	v_sub_nc_u32_e32 v7, v7, v13
	s_delay_alu instid0(VALU_DEP_3) | instskip(NEXT) | instid1(VALU_DEP_2)
	v_add3_u32 v2, v8, v2, v10
	v_mul_lo_u32 v13, v7, s50
	v_mul_lo_u32 v7, v7, s51
	v_add3_u32 v3, v11, v3, v5
	s_delay_alu instid0(VALU_DEP_3) | instskip(NEXT) | instid1(VALU_DEP_2)
	v_add3_u32 v2, v12, v2, v13
	v_add3_u32 v3, v6, v3, v7
	s_cbranch_scc0 .LBB5_142
	s_branch .LBB5_168
.LBB5_143:
	s_mov_b32 s31, -1
                                        ; implicit-def: $vgpr2
                                        ; implicit-def: $vgpr3
	s_branch .LBB5_171
.LBB5_144:
	v_dual_mov_b32 v4, v9 :: v_dual_mov_b32 v3, 0
.LBB5_145:
	s_and_b32 s34, s34, 3
	s_delay_alu instid0(SALU_CYCLE_1)
	s_cmp_eq_u32 s34, 0
	s_cbranch_scc1 .LBB5_148
; %bb.146:
	s_lshl_b32 s18, s33, 3
	s_mul_i32 s20, s33, 12
	s_add_u32 s18, s18, s0
	s_addc_u32 s19, s1, 0
	s_add_u32 s18, s18, 0xc4
	s_addc_u32 s19, s19, 0
	;; [unrolled: 2-line block ×3, first 2 shown]
	.p2align	6
.LBB5_147:                              ; =>This Inner Loop Header: Depth=1
	s_clause 0x1
	s_load_b64 s[36:37], s[20:21], 0x4
	s_load_b32 s33, s[20:21], 0xc
	s_load_b64 s[38:39], s[18:19], 0x0
	s_add_u32 s20, s20, 12
	s_addc_u32 s21, s21, 0
	s_add_u32 s18, s18, 8
	s_addc_u32 s19, s19, 0
	s_add_i32 s34, s34, -1
	s_delay_alu instid0(SALU_CYCLE_1) | instskip(SKIP_2) | instid1(VALU_DEP_1)
	s_cmp_lg_u32 s34, 0
	s_waitcnt lgkmcnt(0)
	v_mul_hi_u32 v5, s37, v4
	v_add_nc_u32_e32 v5, v4, v5
	s_delay_alu instid0(VALU_DEP_1) | instskip(NEXT) | instid1(VALU_DEP_1)
	v_lshrrev_b32_e32 v8, s33, v5
	v_mul_lo_u32 v5, v8, s36
	s_delay_alu instid0(VALU_DEP_1) | instskip(NEXT) | instid1(VALU_DEP_1)
	v_sub_nc_u32_e32 v4, v4, v5
	v_mad_u64_u32 v[5:6], null, v4, s38, v[2:3]
	v_mad_u64_u32 v[6:7], null, v4, s39, v[3:4]
	v_mov_b32_e32 v4, v8
	s_delay_alu instid0(VALU_DEP_2)
	v_dual_mov_b32 v2, v5 :: v_dual_mov_b32 v3, v6
	s_cbranch_scc1 .LBB5_147
.LBB5_148:
	s_and_not1_b32 vcc_lo, exec_lo, s31
	s_cbranch_vccnz .LBB5_151
; %bb.149:
	s_waitcnt lgkmcnt(0)
	v_mul_hi_u32 v2, s13, v9
	s_and_not1_b32 vcc_lo, exec_lo, s26
	s_delay_alu instid0(VALU_DEP_1) | instskip(NEXT) | instid1(VALU_DEP_1)
	v_add_nc_u32_e32 v2, v9, v2
	v_lshrrev_b32_e32 v4, s14, v2
	s_delay_alu instid0(VALU_DEP_1) | instskip(NEXT) | instid1(VALU_DEP_1)
	v_mul_lo_u32 v2, v4, s12
	v_sub_nc_u32_e32 v3, v9, v2
	s_delay_alu instid0(VALU_DEP_1)
	v_mul_lo_u32 v2, v3, s8
	v_mul_lo_u32 v3, v3, s9
	s_cbranch_vccnz .LBB5_151
; %bb.150:
	v_mul_hi_u32 v5, s2, v4
	s_delay_alu instid0(VALU_DEP_1) | instskip(NEXT) | instid1(VALU_DEP_1)
	v_add_nc_u32_e32 v5, v4, v5
	v_lshrrev_b32_e32 v5, s3, v5
	s_delay_alu instid0(VALU_DEP_1) | instskip(NEXT) | instid1(VALU_DEP_1)
	v_mul_lo_u32 v5, v5, s15
	v_sub_nc_u32_e32 v7, v4, v5
	s_delay_alu instid0(VALU_DEP_1) | instskip(NEXT) | instid1(VALU_DEP_1)
	v_mad_u64_u32 v[4:5], null, v7, s10, v[2:3]
	v_mad_u64_u32 v[5:6], null, v7, s11, v[3:4]
	s_delay_alu instid0(VALU_DEP_1)
	v_dual_mov_b32 v2, v4 :: v_dual_mov_b32 v3, v5
.LBB5_151:
	s_waitcnt lgkmcnt(0)
	global_load_b64 v[3:4], v3, s[6:7]
	s_mov_b32 s20, exec_lo
	s_waitcnt vmcnt(0)
	v_trunc_f64_e32 v[5:6], v[3:4]
	v_cmp_class_f64_e64 vcc_lo, v[3:4], 0x1f8
	v_mov_b32_e32 v3, 0
	v_mov_b32_e32 v4, 0
	s_delay_alu instid0(VALU_DEP_4) | instskip(NEXT) | instid1(VALU_DEP_1)
	v_ldexp_f64 v[7:8], v[5:6], 0xffffffe0
	v_floor_f64_e32 v[7:8], v[7:8]
	s_delay_alu instid0(VALU_DEP_1) | instskip(SKIP_1) | instid1(VALU_DEP_2)
	v_fma_f64 v[5:6], 0xc1f00000, v[7:8], v[5:6]
	v_cvt_i32_f64_e32 v7, v[7:8]
	v_cvt_u32_f64_e32 v5, v[5:6]
	s_delay_alu instid0(VALU_DEP_1) | instskip(NEXT) | instid1(VALU_DEP_1)
	v_dual_cndmask_b32 v6, -1, v7 :: v_dual_cndmask_b32 v5, -1, v5
	v_cmpx_lt_i64_e32 -1, v[5:6]
	s_cbranch_execz .LBB5_163
; %bb.152:
	v_mov_b32_e32 v3, 0
	v_mov_b32_e32 v4, 0x3ff00000
	s_mov_b32 s21, exec_lo
	v_cmpx_lt_i64_e32 0, v[5:6]
	s_cbranch_execz .LBB5_162
; %bb.153:
                                        ; implicit-def: $vgpr3_vgpr4
	s_mov_b32 s18, exec_lo
	v_cmpx_ne_u64_e32 1, v[5:6]
	s_xor_b32 s31, exec_lo, s18
	s_cbranch_execz .LBB5_159
; %bb.154:
	v_mov_b32_e32 v3, 0
	v_mov_b32_e32 v4, 0x7ff80000
	s_mov_b32 s33, exec_lo
	v_cmpx_gt_u64_e32 0x201, v[5:6]
	s_cbranch_execz .LBB5_158
; %bb.155:
	v_lshlrev_b64 v[5:6], 1, v[5:6]
	v_dual_mov_b32 v7, 0 :: v_dual_mov_b32 v4, v1
	v_dual_mov_b32 v8, 0x3ff00000 :: v_dual_mov_b32 v3, v0
	s_mov_b64 s[18:19], 2
	s_mov_b32 s34, 0
	.p2align	6
.LBB5_156:                              ; =>This Inner Loop Header: Depth=1
	v_cvt_f64_u32_e32 v[10:11], s19
	v_cvt_f64_u32_e32 v[12:13], s18
	s_add_u32 s18, s18, 2
	s_addc_u32 s19, s19, 0
	s_delay_alu instid0(SALU_CYCLE_1) | instskip(SKIP_1) | instid1(VALU_DEP_3)
	v_cmp_ge_u64_e32 vcc_lo, s[18:19], v[5:6]
	s_or_b32 s34, vcc_lo, s34
	v_ldexp_f64 v[10:11], v[10:11], 32
	s_delay_alu instid0(VALU_DEP_1) | instskip(NEXT) | instid1(VALU_DEP_1)
	v_add_f64 v[10:11], v[10:11], v[12:13]
	v_mul_f64 v[7:8], v[7:8], v[10:11]
	v_dual_mov_b32 v11, v4 :: v_dual_mov_b32 v10, v3
	s_delay_alu instid0(VALU_DEP_1)
	v_fma_f64 v[3:4], v[0:1], v[10:11], -v[7:8]
	v_dual_mov_b32 v7, v10 :: v_dual_mov_b32 v8, v11
	s_and_not1_b32 exec_lo, exec_lo, s34
	s_cbranch_execnz .LBB5_156
; %bb.157:
	s_or_b32 exec_lo, exec_lo, s34
.LBB5_158:
	s_delay_alu instid0(SALU_CYCLE_1)
	s_or_b32 exec_lo, exec_lo, s33
.LBB5_159:
	s_and_not1_saveexec_b32 s18, s31
; %bb.160:
	v_dual_mov_b32 v4, v1 :: v_dual_mov_b32 v3, v0
; %bb.161:
	s_or_b32 exec_lo, exec_lo, s18
.LBB5_162:
	s_delay_alu instid0(SALU_CYCLE_1)
	s_or_b32 exec_lo, exec_lo, s21
.LBB5_163:
	s_delay_alu instid0(SALU_CYCLE_1) | instskip(SKIP_3) | instid1(SALU_CYCLE_1)
	s_or_b32 exec_lo, exec_lo, s20
	v_add_nc_u32_e32 v9, 0x80, v9
	global_store_b64 v2, v[3:4], s[4:5]
	s_or_b32 exec_lo, exec_lo, s30
	s_mov_b32 s30, exec_lo
	v_cmpx_gt_i32_e64 s27, v9
	s_cbranch_execnz .LBB5_138
.LBB5_164:
	s_or_b32 exec_lo, exec_lo, s30
	s_delay_alu instid0(SALU_CYCLE_1)
	s_mov_b32 s20, exec_lo
	v_cmpx_gt_i32_e64 s27, v9
	s_cbranch_execnz .LBB5_187
.LBB5_165:
	s_or_b32 exec_lo, exec_lo, s20
                                        ; implicit-def: $vgpr8
                                        ; implicit-def: $vgpr9
	s_waitcnt lgkmcnt(0)
	s_and_not1_saveexec_b32 s2, s25
	s_cbranch_execnz .LBB5_8
.LBB5_166:
	s_nop 0
	s_sendmsg sendmsg(MSG_DEALLOC_VGPRS)
	s_endpgm
.LBB5_167:
	v_dual_mov_b32 v4, v9 :: v_dual_mov_b32 v3, 0
.LBB5_168:
	s_and_b32 s34, s34, 3
	s_delay_alu instid0(SALU_CYCLE_1)
	s_cmp_eq_u32 s34, 0
	s_cbranch_scc1 .LBB5_171
; %bb.169:
	s_lshl_b32 s18, s33, 3
	s_mul_i32 s20, s33, 12
	s_add_u32 s18, s18, s0
	s_addc_u32 s19, s1, 0
	s_add_u32 s18, s18, 0xc4
	s_addc_u32 s19, s19, 0
	;; [unrolled: 2-line block ×3, first 2 shown]
	.p2align	6
.LBB5_170:                              ; =>This Inner Loop Header: Depth=1
	s_clause 0x1
	s_load_b64 s[36:37], s[20:21], 0x4
	s_load_b32 s33, s[20:21], 0xc
	s_load_b64 s[38:39], s[18:19], 0x0
	s_add_u32 s20, s20, 12
	s_addc_u32 s21, s21, 0
	s_add_u32 s18, s18, 8
	s_addc_u32 s19, s19, 0
	s_add_i32 s34, s34, -1
	s_delay_alu instid0(SALU_CYCLE_1) | instskip(SKIP_2) | instid1(VALU_DEP_1)
	s_cmp_lg_u32 s34, 0
	s_waitcnt lgkmcnt(0)
	v_mul_hi_u32 v5, s37, v4
	v_add_nc_u32_e32 v5, v4, v5
	s_delay_alu instid0(VALU_DEP_1) | instskip(NEXT) | instid1(VALU_DEP_1)
	v_lshrrev_b32_e32 v8, s33, v5
	v_mul_lo_u32 v5, v8, s36
	s_delay_alu instid0(VALU_DEP_1) | instskip(NEXT) | instid1(VALU_DEP_1)
	v_sub_nc_u32_e32 v4, v4, v5
	v_mad_u64_u32 v[5:6], null, v4, s38, v[2:3]
	v_mad_u64_u32 v[6:7], null, v4, s39, v[3:4]
	v_mov_b32_e32 v4, v8
	s_delay_alu instid0(VALU_DEP_2)
	v_dual_mov_b32 v2, v5 :: v_dual_mov_b32 v3, v6
	s_cbranch_scc1 .LBB5_170
.LBB5_171:
	s_and_not1_b32 vcc_lo, exec_lo, s31
	s_cbranch_vccnz .LBB5_174
; %bb.172:
	s_waitcnt lgkmcnt(0)
	v_mul_hi_u32 v2, s13, v9
	s_and_not1_b32 vcc_lo, exec_lo, s26
	s_delay_alu instid0(VALU_DEP_1) | instskip(NEXT) | instid1(VALU_DEP_1)
	v_add_nc_u32_e32 v2, v9, v2
	v_lshrrev_b32_e32 v4, s14, v2
	s_delay_alu instid0(VALU_DEP_1) | instskip(NEXT) | instid1(VALU_DEP_1)
	v_mul_lo_u32 v2, v4, s12
	v_sub_nc_u32_e32 v3, v9, v2
	s_delay_alu instid0(VALU_DEP_1)
	v_mul_lo_u32 v2, v3, s8
	v_mul_lo_u32 v3, v3, s9
	s_cbranch_vccnz .LBB5_174
; %bb.173:
	v_mul_hi_u32 v5, s2, v4
	s_delay_alu instid0(VALU_DEP_1) | instskip(NEXT) | instid1(VALU_DEP_1)
	v_add_nc_u32_e32 v5, v4, v5
	v_lshrrev_b32_e32 v5, s3, v5
	s_delay_alu instid0(VALU_DEP_1) | instskip(NEXT) | instid1(VALU_DEP_1)
	v_mul_lo_u32 v5, v5, s15
	v_sub_nc_u32_e32 v7, v4, v5
	s_delay_alu instid0(VALU_DEP_1) | instskip(NEXT) | instid1(VALU_DEP_1)
	v_mad_u64_u32 v[4:5], null, v7, s10, v[2:3]
	v_mad_u64_u32 v[5:6], null, v7, s11, v[3:4]
	s_delay_alu instid0(VALU_DEP_1)
	v_dual_mov_b32 v2, v4 :: v_dual_mov_b32 v3, v5
.LBB5_174:
	s_waitcnt lgkmcnt(0)
	global_load_b64 v[3:4], v3, s[6:7]
	s_mov_b32 s20, exec_lo
	s_waitcnt vmcnt(0)
	v_trunc_f64_e32 v[5:6], v[3:4]
	v_cmp_class_f64_e64 vcc_lo, v[3:4], 0x1f8
	v_mov_b32_e32 v3, 0
	v_mov_b32_e32 v4, 0
	s_delay_alu instid0(VALU_DEP_4) | instskip(NEXT) | instid1(VALU_DEP_1)
	v_ldexp_f64 v[7:8], v[5:6], 0xffffffe0
	v_floor_f64_e32 v[7:8], v[7:8]
	s_delay_alu instid0(VALU_DEP_1) | instskip(SKIP_1) | instid1(VALU_DEP_2)
	v_fma_f64 v[5:6], 0xc1f00000, v[7:8], v[5:6]
	v_cvt_i32_f64_e32 v7, v[7:8]
	v_cvt_u32_f64_e32 v5, v[5:6]
	s_delay_alu instid0(VALU_DEP_1) | instskip(NEXT) | instid1(VALU_DEP_1)
	v_dual_cndmask_b32 v6, -1, v7 :: v_dual_cndmask_b32 v5, -1, v5
	v_cmpx_lt_i64_e32 -1, v[5:6]
	s_cbranch_execz .LBB5_186
; %bb.175:
	v_mov_b32_e32 v3, 0
	v_mov_b32_e32 v4, 0x3ff00000
	s_mov_b32 s21, exec_lo
	v_cmpx_lt_i64_e32 0, v[5:6]
	s_cbranch_execz .LBB5_185
; %bb.176:
                                        ; implicit-def: $vgpr3_vgpr4
	s_mov_b32 s18, exec_lo
	v_cmpx_ne_u64_e32 1, v[5:6]
	s_xor_b32 s31, exec_lo, s18
	s_cbranch_execz .LBB5_182
; %bb.177:
	v_mov_b32_e32 v3, 0
	v_mov_b32_e32 v4, 0x7ff80000
	s_mov_b32 s33, exec_lo
	v_cmpx_gt_u64_e32 0x201, v[5:6]
	s_cbranch_execz .LBB5_181
; %bb.178:
	v_lshlrev_b64 v[5:6], 1, v[5:6]
	v_dual_mov_b32 v7, 0 :: v_dual_mov_b32 v4, v1
	v_dual_mov_b32 v8, 0x3ff00000 :: v_dual_mov_b32 v3, v0
	s_mov_b64 s[18:19], 2
	s_mov_b32 s34, 0
	.p2align	6
.LBB5_179:                              ; =>This Inner Loop Header: Depth=1
	v_cvt_f64_u32_e32 v[10:11], s19
	v_cvt_f64_u32_e32 v[12:13], s18
	s_add_u32 s18, s18, 2
	s_addc_u32 s19, s19, 0
	s_delay_alu instid0(SALU_CYCLE_1) | instskip(SKIP_1) | instid1(VALU_DEP_3)
	v_cmp_ge_u64_e32 vcc_lo, s[18:19], v[5:6]
	s_or_b32 s34, vcc_lo, s34
	v_ldexp_f64 v[10:11], v[10:11], 32
	s_delay_alu instid0(VALU_DEP_1) | instskip(NEXT) | instid1(VALU_DEP_1)
	v_add_f64 v[10:11], v[10:11], v[12:13]
	v_mul_f64 v[7:8], v[7:8], v[10:11]
	v_dual_mov_b32 v11, v4 :: v_dual_mov_b32 v10, v3
	s_delay_alu instid0(VALU_DEP_1)
	v_fma_f64 v[3:4], v[0:1], v[10:11], -v[7:8]
	v_dual_mov_b32 v7, v10 :: v_dual_mov_b32 v8, v11
	s_and_not1_b32 exec_lo, exec_lo, s34
	s_cbranch_execnz .LBB5_179
; %bb.180:
	s_or_b32 exec_lo, exec_lo, s34
.LBB5_181:
	s_delay_alu instid0(SALU_CYCLE_1)
	s_or_b32 exec_lo, exec_lo, s33
.LBB5_182:
	s_and_not1_saveexec_b32 s18, s31
; %bb.183:
	v_dual_mov_b32 v4, v1 :: v_dual_mov_b32 v3, v0
; %bb.184:
	s_or_b32 exec_lo, exec_lo, s18
.LBB5_185:
	s_delay_alu instid0(SALU_CYCLE_1)
	s_or_b32 exec_lo, exec_lo, s21
.LBB5_186:
	s_delay_alu instid0(SALU_CYCLE_1) | instskip(SKIP_3) | instid1(SALU_CYCLE_1)
	s_or_b32 exec_lo, exec_lo, s20
	v_add_nc_u32_e32 v9, 0x80, v9
	global_store_b64 v2, v[3:4], s[4:5]
	s_or_b32 exec_lo, exec_lo, s30
	s_mov_b32 s20, exec_lo
	v_cmpx_gt_i32_e64 s27, v9
	s_cbranch_execz .LBB5_165
.LBB5_187:
	s_and_not1_b32 vcc_lo, exec_lo, s24
	s_cbranch_vccnz .LBB5_192
; %bb.188:
	v_dual_mov_b32 v2, 0 :: v_dual_mov_b32 v3, 0
	s_and_not1_b32 vcc_lo, exec_lo, s29
	s_mov_b32 s21, 0
	s_cbranch_vccnz .LBB5_197
; %bb.189:
	v_mov_b32_e32 v2, 0
	s_add_i32 s28, s28, 1
	s_cmp_eq_u32 s23, 2
	s_mov_b32 s27, 0
	s_cbranch_scc1 .LBB5_193
; %bb.190:
	v_dual_mov_b32 v3, 0 :: v_dual_mov_b32 v2, 0
	v_mov_b32_e32 v4, v9
	s_and_b32 s27, s28, 28
	s_mov_b32 s29, 0
	s_mov_b64 s[18:19], s[0:1]
.LBB5_191:                              ; =>This Inner Loop Header: Depth=1
	s_clause 0x1
	s_load_b256 s[36:43], s[18:19], 0x4
	s_load_b128 s[52:55], s[18:19], 0x24
	s_load_b256 s[44:51], s[16:17], 0x0
	s_add_u32 s18, s18, 48
	s_addc_u32 s19, s19, 0
	s_add_i32 s29, s29, 4
	s_add_u32 s16, s16, 32
	s_addc_u32 s17, s17, 0
	s_cmp_eq_u32 s27, s29
	s_waitcnt lgkmcnt(0)
	v_mul_hi_u32 v5, s37, v4
	s_delay_alu instid0(VALU_DEP_1) | instskip(NEXT) | instid1(VALU_DEP_1)
	v_add_nc_u32_e32 v5, v4, v5
	v_lshrrev_b32_e32 v5, s38, v5
	s_delay_alu instid0(VALU_DEP_1) | instskip(SKIP_1) | instid1(VALU_DEP_2)
	v_mul_hi_u32 v6, s40, v5
	v_mul_lo_u32 v8, v5, s36
	v_add_nc_u32_e32 v6, v5, v6
	s_delay_alu instid0(VALU_DEP_2) | instskip(NEXT) | instid1(VALU_DEP_2)
	v_sub_nc_u32_e32 v4, v4, v8
	v_lshrrev_b32_e32 v6, s41, v6
	s_delay_alu instid0(VALU_DEP_2) | instskip(SKIP_1) | instid1(VALU_DEP_3)
	v_mul_lo_u32 v8, v4, s44
	v_mul_lo_u32 v11, v4, s45
	v_mul_hi_u32 v7, s43, v6
	s_delay_alu instid0(VALU_DEP_1) | instskip(NEXT) | instid1(VALU_DEP_1)
	v_add_nc_u32_e32 v7, v6, v7
	v_lshrrev_b32_e32 v7, s52, v7
	s_delay_alu instid0(VALU_DEP_1) | instskip(SKIP_1) | instid1(VALU_DEP_2)
	v_mul_hi_u32 v10, s54, v7
	v_mul_lo_u32 v12, v7, s42
	v_add_nc_u32_e32 v4, v7, v10
	v_mul_lo_u32 v10, v6, s39
	s_delay_alu instid0(VALU_DEP_3) | instskip(NEXT) | instid1(VALU_DEP_3)
	v_sub_nc_u32_e32 v6, v6, v12
	v_lshrrev_b32_e32 v4, s55, v4
	s_delay_alu instid0(VALU_DEP_2) | instskip(SKIP_2) | instid1(VALU_DEP_4)
	v_mul_lo_u32 v12, v6, s48
	v_mul_lo_u32 v6, v6, s49
	v_sub_nc_u32_e32 v5, v5, v10
	v_mul_lo_u32 v13, v4, s53
	s_delay_alu instid0(VALU_DEP_2) | instskip(SKIP_1) | instid1(VALU_DEP_3)
	v_mul_lo_u32 v10, v5, s46
	v_mul_lo_u32 v5, v5, s47
	v_sub_nc_u32_e32 v7, v7, v13
	s_delay_alu instid0(VALU_DEP_3) | instskip(NEXT) | instid1(VALU_DEP_2)
	v_add3_u32 v2, v8, v2, v10
	v_mul_lo_u32 v13, v7, s50
	v_mul_lo_u32 v7, v7, s51
	v_add3_u32 v3, v11, v3, v5
	s_delay_alu instid0(VALU_DEP_3) | instskip(NEXT) | instid1(VALU_DEP_2)
	v_add3_u32 v2, v12, v2, v13
	v_add3_u32 v3, v6, v3, v7
	s_cbranch_scc0 .LBB5_191
	s_branch .LBB5_194
.LBB5_192:
	s_mov_b32 s21, -1
                                        ; implicit-def: $vgpr2
                                        ; implicit-def: $vgpr3
	s_branch .LBB5_197
.LBB5_193:
	v_dual_mov_b32 v4, v9 :: v_dual_mov_b32 v3, 0
.LBB5_194:
	s_and_b32 s28, s28, 3
	s_delay_alu instid0(SALU_CYCLE_1)
	s_cmp_eq_u32 s28, 0
	s_cbranch_scc1 .LBB5_197
; %bb.195:
	s_lshl_b32 s16, s27, 3
	s_mul_i32 s18, s27, 12
	s_add_u32 s16, s16, s0
	s_addc_u32 s17, s1, 0
	s_add_u32 s16, s16, 0xc4
	s_addc_u32 s17, s17, 0
	;; [unrolled: 2-line block ×3, first 2 shown]
	.p2align	6
.LBB5_196:                              ; =>This Inner Loop Header: Depth=1
	s_clause 0x1
	s_load_b64 s[30:31], s[18:19], 0x4
	s_load_b32 s27, s[18:19], 0xc
	s_load_b64 s[34:35], s[16:17], 0x0
	s_add_u32 s18, s18, 12
	s_addc_u32 s19, s19, 0
	s_add_u32 s16, s16, 8
	s_addc_u32 s17, s17, 0
	s_add_i32 s28, s28, -1
	s_delay_alu instid0(SALU_CYCLE_1) | instskip(SKIP_2) | instid1(VALU_DEP_1)
	s_cmp_lg_u32 s28, 0
	s_waitcnt lgkmcnt(0)
	v_mul_hi_u32 v5, s31, v4
	v_add_nc_u32_e32 v5, v4, v5
	s_delay_alu instid0(VALU_DEP_1) | instskip(NEXT) | instid1(VALU_DEP_1)
	v_lshrrev_b32_e32 v8, s27, v5
	v_mul_lo_u32 v5, v8, s30
	s_delay_alu instid0(VALU_DEP_1) | instskip(NEXT) | instid1(VALU_DEP_1)
	v_sub_nc_u32_e32 v4, v4, v5
	v_mad_u64_u32 v[5:6], null, v4, s34, v[2:3]
	v_mad_u64_u32 v[6:7], null, v4, s35, v[3:4]
	v_mov_b32_e32 v4, v8
	s_delay_alu instid0(VALU_DEP_2)
	v_dual_mov_b32 v2, v5 :: v_dual_mov_b32 v3, v6
	s_cbranch_scc1 .LBB5_196
.LBB5_197:
	s_and_not1_b32 vcc_lo, exec_lo, s21
	s_cbranch_vccnz .LBB5_200
; %bb.198:
	s_waitcnt lgkmcnt(0)
	v_mul_hi_u32 v2, s13, v9
	s_and_not1_b32 vcc_lo, exec_lo, s26
	s_delay_alu instid0(VALU_DEP_1) | instskip(NEXT) | instid1(VALU_DEP_1)
	v_add_nc_u32_e32 v2, v9, v2
	v_lshrrev_b32_e32 v4, s14, v2
	s_delay_alu instid0(VALU_DEP_1) | instskip(NEXT) | instid1(VALU_DEP_1)
	v_mul_lo_u32 v2, v4, s12
	v_sub_nc_u32_e32 v3, v9, v2
	s_delay_alu instid0(VALU_DEP_1)
	v_mul_lo_u32 v2, v3, s8
	v_mul_lo_u32 v3, v3, s9
	s_cbranch_vccnz .LBB5_200
; %bb.199:
	v_mul_hi_u32 v5, s2, v4
	s_delay_alu instid0(VALU_DEP_1) | instskip(NEXT) | instid1(VALU_DEP_1)
	v_add_nc_u32_e32 v5, v4, v5
	v_lshrrev_b32_e32 v5, s3, v5
	s_delay_alu instid0(VALU_DEP_1) | instskip(NEXT) | instid1(VALU_DEP_1)
	v_mul_lo_u32 v5, v5, s15
	v_sub_nc_u32_e32 v7, v4, v5
	s_delay_alu instid0(VALU_DEP_1) | instskip(NEXT) | instid1(VALU_DEP_1)
	v_mad_u64_u32 v[4:5], null, v7, s10, v[2:3]
	v_mad_u64_u32 v[5:6], null, v7, s11, v[3:4]
	s_delay_alu instid0(VALU_DEP_1)
	v_dual_mov_b32 v2, v4 :: v_dual_mov_b32 v3, v5
.LBB5_200:
	s_waitcnt lgkmcnt(0)
	global_load_b64 v[3:4], v3, s[6:7]
	s_mov_b32 s6, exec_lo
	s_waitcnt vmcnt(0)
	v_trunc_f64_e32 v[5:6], v[3:4]
	v_cmp_class_f64_e64 vcc_lo, v[3:4], 0x1f8
	v_mov_b32_e32 v3, 0
	v_mov_b32_e32 v4, 0
	s_delay_alu instid0(VALU_DEP_4) | instskip(NEXT) | instid1(VALU_DEP_1)
	v_ldexp_f64 v[7:8], v[5:6], 0xffffffe0
	v_floor_f64_e32 v[7:8], v[7:8]
	s_delay_alu instid0(VALU_DEP_1) | instskip(SKIP_1) | instid1(VALU_DEP_2)
	v_fma_f64 v[5:6], 0xc1f00000, v[7:8], v[5:6]
	v_cvt_i32_f64_e32 v7, v[7:8]
	v_cvt_u32_f64_e32 v5, v[5:6]
	s_delay_alu instid0(VALU_DEP_1) | instskip(NEXT) | instid1(VALU_DEP_1)
	v_dual_cndmask_b32 v6, -1, v7 :: v_dual_cndmask_b32 v5, -1, v5
	v_cmpx_lt_i64_e32 -1, v[5:6]
	s_cbranch_execz .LBB5_212
; %bb.201:
	v_mov_b32_e32 v3, 0
	v_mov_b32_e32 v4, 0x3ff00000
	s_mov_b32 s7, exec_lo
	v_cmpx_lt_i64_e32 0, v[5:6]
	s_cbranch_execz .LBB5_211
; %bb.202:
                                        ; implicit-def: $vgpr3_vgpr4
	s_mov_b32 s2, exec_lo
	v_cmpx_ne_u64_e32 1, v[5:6]
	s_xor_b32 s8, exec_lo, s2
	s_cbranch_execz .LBB5_208
; %bb.203:
	v_mov_b32_e32 v3, 0
	v_mov_b32_e32 v4, 0x7ff80000
	s_mov_b32 s9, exec_lo
	v_cmpx_gt_u64_e32 0x201, v[5:6]
	s_cbranch_execz .LBB5_207
; %bb.204:
	v_lshlrev_b64 v[5:6], 1, v[5:6]
	v_dual_mov_b32 v7, 0 :: v_dual_mov_b32 v4, v1
	v_dual_mov_b32 v8, 0x3ff00000 :: v_dual_mov_b32 v3, v0
	s_mov_b64 s[2:3], 2
	s_mov_b32 s10, 0
	.p2align	6
.LBB5_205:                              ; =>This Inner Loop Header: Depth=1
	v_cvt_f64_u32_e32 v[9:10], s3
	v_cvt_f64_u32_e32 v[11:12], s2
	s_add_u32 s2, s2, 2
	s_addc_u32 s3, s3, 0
	s_delay_alu instid0(SALU_CYCLE_1) | instskip(SKIP_1) | instid1(VALU_DEP_3)
	v_cmp_ge_u64_e32 vcc_lo, s[2:3], v[5:6]
	s_or_b32 s10, vcc_lo, s10
	v_ldexp_f64 v[9:10], v[9:10], 32
	s_delay_alu instid0(VALU_DEP_1) | instskip(NEXT) | instid1(VALU_DEP_1)
	v_add_f64 v[9:10], v[9:10], v[11:12]
	v_mul_f64 v[7:8], v[7:8], v[9:10]
	v_dual_mov_b32 v10, v4 :: v_dual_mov_b32 v9, v3
	s_delay_alu instid0(VALU_DEP_1)
	v_fma_f64 v[3:4], v[0:1], v[9:10], -v[7:8]
	v_dual_mov_b32 v7, v9 :: v_dual_mov_b32 v8, v10
	s_and_not1_b32 exec_lo, exec_lo, s10
	s_cbranch_execnz .LBB5_205
; %bb.206:
	s_or_b32 exec_lo, exec_lo, s10
.LBB5_207:
	s_delay_alu instid0(SALU_CYCLE_1)
	s_or_b32 exec_lo, exec_lo, s9
                                        ; implicit-def: $vgpr0_vgpr1
.LBB5_208:
	s_and_not1_saveexec_b32 s2, s8
; %bb.209:
	v_dual_mov_b32 v4, v1 :: v_dual_mov_b32 v3, v0
; %bb.210:
	s_or_b32 exec_lo, exec_lo, s2
.LBB5_211:
	s_delay_alu instid0(SALU_CYCLE_1)
	s_or_b32 exec_lo, exec_lo, s7
.LBB5_212:
	s_delay_alu instid0(SALU_CYCLE_1)
	s_or_b32 exec_lo, exec_lo, s6
	global_store_b64 v2, v[3:4], s[4:5]
	s_or_b32 exec_lo, exec_lo, s20
                                        ; implicit-def: $vgpr8
                                        ; implicit-def: $vgpr9
	s_and_not1_saveexec_b32 s2, s25
	s_cbranch_execz .LBB5_166
	s_branch .LBB5_8
	.section	.rodata,"a",@progbits
	.p2align	6, 0x0
	.amdhsa_kernel _ZN2at6native32elementwise_kernel_manual_unrollILi128ELi4EZNS0_22gpu_kernel_impl_nocastINS0_13AUnaryFunctorIdddZZZNS0_12_GLOBAL__N_132hermite_polynomial_h_kernel_cudaERNS_18TensorIteratorBaseEENKUlvE_clEvENKUlvE_clEvEUlddE_EEEEvS6_RKT_EUlibE_EEviT1_
		.amdhsa_group_segment_fixed_size 0
		.amdhsa_private_segment_fixed_size 0
		.amdhsa_kernarg_size 368
		.amdhsa_user_sgpr_count 15
		.amdhsa_user_sgpr_dispatch_ptr 0
		.amdhsa_user_sgpr_queue_ptr 0
		.amdhsa_user_sgpr_kernarg_segment_ptr 1
		.amdhsa_user_sgpr_dispatch_id 0
		.amdhsa_user_sgpr_private_segment_size 0
		.amdhsa_wavefront_size32 1
		.amdhsa_uses_dynamic_stack 0
		.amdhsa_enable_private_segment 0
		.amdhsa_system_sgpr_workgroup_id_x 1
		.amdhsa_system_sgpr_workgroup_id_y 0
		.amdhsa_system_sgpr_workgroup_id_z 0
		.amdhsa_system_sgpr_workgroup_info 0
		.amdhsa_system_vgpr_workitem_id 0
		.amdhsa_next_free_vgpr 24
		.amdhsa_next_free_sgpr 56
		.amdhsa_reserve_vcc 1
		.amdhsa_float_round_mode_32 0
		.amdhsa_float_round_mode_16_64 0
		.amdhsa_float_denorm_mode_32 3
		.amdhsa_float_denorm_mode_16_64 3
		.amdhsa_dx10_clamp 1
		.amdhsa_ieee_mode 1
		.amdhsa_fp16_overflow 0
		.amdhsa_workgroup_processor_mode 1
		.amdhsa_memory_ordered 1
		.amdhsa_forward_progress 0
		.amdhsa_shared_vgpr_count 0
		.amdhsa_exception_fp_ieee_invalid_op 0
		.amdhsa_exception_fp_denorm_src 0
		.amdhsa_exception_fp_ieee_div_zero 0
		.amdhsa_exception_fp_ieee_overflow 0
		.amdhsa_exception_fp_ieee_underflow 0
		.amdhsa_exception_fp_ieee_inexact 0
		.amdhsa_exception_int_div_zero 0
	.end_amdhsa_kernel
	.section	.text._ZN2at6native32elementwise_kernel_manual_unrollILi128ELi4EZNS0_22gpu_kernel_impl_nocastINS0_13AUnaryFunctorIdddZZZNS0_12_GLOBAL__N_132hermite_polynomial_h_kernel_cudaERNS_18TensorIteratorBaseEENKUlvE_clEvENKUlvE_clEvEUlddE_EEEEvS6_RKT_EUlibE_EEviT1_,"axG",@progbits,_ZN2at6native32elementwise_kernel_manual_unrollILi128ELi4EZNS0_22gpu_kernel_impl_nocastINS0_13AUnaryFunctorIdddZZZNS0_12_GLOBAL__N_132hermite_polynomial_h_kernel_cudaERNS_18TensorIteratorBaseEENKUlvE_clEvENKUlvE_clEvEUlddE_EEEEvS6_RKT_EUlibE_EEviT1_,comdat
.Lfunc_end5:
	.size	_ZN2at6native32elementwise_kernel_manual_unrollILi128ELi4EZNS0_22gpu_kernel_impl_nocastINS0_13AUnaryFunctorIdddZZZNS0_12_GLOBAL__N_132hermite_polynomial_h_kernel_cudaERNS_18TensorIteratorBaseEENKUlvE_clEvENKUlvE_clEvEUlddE_EEEEvS6_RKT_EUlibE_EEviT1_, .Lfunc_end5-_ZN2at6native32elementwise_kernel_manual_unrollILi128ELi4EZNS0_22gpu_kernel_impl_nocastINS0_13AUnaryFunctorIdddZZZNS0_12_GLOBAL__N_132hermite_polynomial_h_kernel_cudaERNS_18TensorIteratorBaseEENKUlvE_clEvENKUlvE_clEvEUlddE_EEEEvS6_RKT_EUlibE_EEviT1_
                                        ; -- End function
	.section	.AMDGPU.csdata,"",@progbits
; Kernel info:
; codeLenInByte = 9508
; NumSgprs: 58
; NumVgprs: 24
; ScratchSize: 0
; MemoryBound: 0
; FloatMode: 240
; IeeeMode: 1
; LDSByteSize: 0 bytes/workgroup (compile time only)
; SGPRBlocks: 7
; VGPRBlocks: 2
; NumSGPRsForWavesPerEU: 58
; NumVGPRsForWavesPerEU: 24
; Occupancy: 16
; WaveLimiterHint : 1
; COMPUTE_PGM_RSRC2:SCRATCH_EN: 0
; COMPUTE_PGM_RSRC2:USER_SGPR: 15
; COMPUTE_PGM_RSRC2:TRAP_HANDLER: 0
; COMPUTE_PGM_RSRC2:TGID_X_EN: 1
; COMPUTE_PGM_RSRC2:TGID_Y_EN: 0
; COMPUTE_PGM_RSRC2:TGID_Z_EN: 0
; COMPUTE_PGM_RSRC2:TIDIG_COMP_CNT: 0
	.section	.text._ZN2at6native32elementwise_kernel_manual_unrollILi128ELi4EZNS0_15gpu_kernel_implINS0_13AUnaryFunctorIdddZZZNS0_12_GLOBAL__N_132hermite_polynomial_h_kernel_cudaERNS_18TensorIteratorBaseEENKUlvE_clEvENKUlvE_clEvEUlddE_EEEEvS6_RKT_EUlibE_EEviT1_,"axG",@progbits,_ZN2at6native32elementwise_kernel_manual_unrollILi128ELi4EZNS0_15gpu_kernel_implINS0_13AUnaryFunctorIdddZZZNS0_12_GLOBAL__N_132hermite_polynomial_h_kernel_cudaERNS_18TensorIteratorBaseEENKUlvE_clEvENKUlvE_clEvEUlddE_EEEEvS6_RKT_EUlibE_EEviT1_,comdat
	.globl	_ZN2at6native32elementwise_kernel_manual_unrollILi128ELi4EZNS0_15gpu_kernel_implINS0_13AUnaryFunctorIdddZZZNS0_12_GLOBAL__N_132hermite_polynomial_h_kernel_cudaERNS_18TensorIteratorBaseEENKUlvE_clEvENKUlvE_clEvEUlddE_EEEEvS6_RKT_EUlibE_EEviT1_ ; -- Begin function _ZN2at6native32elementwise_kernel_manual_unrollILi128ELi4EZNS0_15gpu_kernel_implINS0_13AUnaryFunctorIdddZZZNS0_12_GLOBAL__N_132hermite_polynomial_h_kernel_cudaERNS_18TensorIteratorBaseEENKUlvE_clEvENKUlvE_clEvEUlddE_EEEEvS6_RKT_EUlibE_EEviT1_
	.p2align	8
	.type	_ZN2at6native32elementwise_kernel_manual_unrollILi128ELi4EZNS0_15gpu_kernel_implINS0_13AUnaryFunctorIdddZZZNS0_12_GLOBAL__N_132hermite_polynomial_h_kernel_cudaERNS_18TensorIteratorBaseEENKUlvE_clEvENKUlvE_clEvEUlddE_EEEEvS6_RKT_EUlibE_EEviT1_,@function
_ZN2at6native32elementwise_kernel_manual_unrollILi128ELi4EZNS0_15gpu_kernel_implINS0_13AUnaryFunctorIdddZZZNS0_12_GLOBAL__N_132hermite_polynomial_h_kernel_cudaERNS_18TensorIteratorBaseEENKUlvE_clEvENKUlvE_clEvEUlddE_EEEEvS6_RKT_EUlibE_EEviT1_: ; @_ZN2at6native32elementwise_kernel_manual_unrollILi128ELi4EZNS0_15gpu_kernel_implINS0_13AUnaryFunctorIdddZZZNS0_12_GLOBAL__N_132hermite_polynomial_h_kernel_cudaERNS_18TensorIteratorBaseEENKUlvE_clEvENKUlvE_clEvEUlddE_EEEEvS6_RKT_EUlibE_EEviT1_
; %bb.0:
	s_clause 0x4
	s_load_b32 s10, s[0:1], 0x30
	s_load_b32 s14, s[0:1], 0x0
	s_load_b64 s[2:3], s[0:1], 0x18
	s_load_b64 s[8:9], s[0:1], 0x28
	s_load_b128 s[4:7], s[0:1], 0x8
	v_lshl_or_b32 v14, s15, 9, v0
	s_mov_b32 s11, 0
	s_mov_b32 s13, 0
	s_mov_b32 s0, exec_lo
	s_delay_alu instid0(VALU_DEP_1) | instskip(SKIP_2) | instid1(VALU_DEP_2)
	v_or_b32_e32 v0, 0x180, v14
	s_waitcnt lgkmcnt(0)
	v_lshrrev_b16 v12, 8, s10
	v_cmpx_le_i32_e64 s14, v0
	s_xor_b32 s12, exec_lo, s0
	s_cbranch_execz .LBB6_1080
; %bb.1:
	v_add_f64 v[4:5], s[8:9], s[8:9]
	s_mov_b32 s1, -1
	s_mov_b32 s17, 0
	s_mov_b32 s15, 0
	s_mov_b32 s16, exec_lo
	v_cmpx_gt_i32_e64 s14, v14
	s_cbranch_execz .LBB6_263
; %bb.2:
	v_mul_lo_u32 v0, v14, s3
	v_cmp_gt_i16_e32 vcc_lo, 11, v12
	s_delay_alu instid0(VALU_DEP_2) | instskip(SKIP_1) | instid1(VALU_DEP_1)
	v_ashrrev_i32_e32 v1, 31, v0
	v_add_co_u32 v0, s0, s6, v0
	v_add_co_ci_u32_e64 v1, s0, s7, v1, s0
	s_cbranch_vccnz .LBB6_9
; %bb.3:
	v_cmp_lt_i16_e32 vcc_lo, 25, v12
	s_cbranch_vccz .LBB6_30
; %bb.4:
	v_cmp_lt_i16_e32 vcc_lo, 28, v12
	s_cbranch_vccz .LBB6_33
	;; [unrolled: 3-line block ×4, first 2 shown]
; %bb.7:
	v_cmp_eq_u16_e32 vcc_lo, 46, v12
	s_mov_b32 s1, 0
	s_cbranch_vccz .LBB6_38
; %bb.8:
	global_load_b32 v2, v[0:1], off
	s_mov_b32 s0, -1
	s_waitcnt vmcnt(0)
	v_lshlrev_b32_e32 v2, 16, v2
	s_delay_alu instid0(VALU_DEP_1)
	v_cvt_f64_f32_e32 v[2:3], v2
	s_branch .LBB6_40
.LBB6_9:
	s_mov_b32 s0, 0
                                        ; implicit-def: $vgpr2_vgpr3
	s_and_b32 vcc_lo, exec_lo, s1
	s_cbranch_vccnz .LBB6_213
.LBB6_10:
	s_and_not1_b32 vcc_lo, exec_lo, s0
	s_cbranch_vccnz .LBB6_260
.LBB6_11:
	s_waitcnt vmcnt(0)
	s_delay_alu instid0(VALU_DEP_1) | instskip(SKIP_2) | instid1(VALU_DEP_2)
	v_trunc_f64_e32 v[0:1], v[2:3]
	v_cmp_class_f64_e64 vcc_lo, v[2:3], 0x1f8
	s_mov_b32 s13, exec_lo
	v_ldexp_f64 v[6:7], v[0:1], 0xffffffe0
	s_delay_alu instid0(VALU_DEP_1) | instskip(NEXT) | instid1(VALU_DEP_1)
	v_floor_f64_e32 v[6:7], v[6:7]
	v_fma_f64 v[0:1], 0xc1f00000, v[6:7], v[0:1]
	v_cvt_i32_f64_e32 v6, v[6:7]
	s_delay_alu instid0(VALU_DEP_2) | instskip(NEXT) | instid1(VALU_DEP_1)
	v_cvt_u32_f64_e32 v0, v[0:1]
	v_dual_cndmask_b32 v3, -1, v6 :: v_dual_cndmask_b32 v2, -1, v0
	v_mov_b32_e32 v0, 0
	v_mov_b32_e32 v1, 0
	s_delay_alu instid0(VALU_DEP_3)
	v_cmpx_lt_i64_e32 -1, v[2:3]
	s_cbranch_execz .LBB6_23
; %bb.12:
	v_mov_b32_e32 v0, 0
	v_mov_b32_e32 v1, 0x3ff00000
	s_mov_b32 s18, exec_lo
	v_cmpx_lt_i64_e32 0, v[2:3]
	s_cbranch_execz .LBB6_22
; %bb.13:
                                        ; implicit-def: $vgpr0_vgpr1
	s_mov_b32 s0, exec_lo
	v_cmpx_ne_u64_e32 1, v[2:3]
	s_xor_b32 s19, exec_lo, s0
	s_cbranch_execz .LBB6_19
; %bb.14:
	v_mov_b32_e32 v0, 0
	v_mov_b32_e32 v1, 0x7ff80000
	s_mov_b32 s20, exec_lo
	v_cmpx_gt_u64_e32 0x201, v[2:3]
	s_cbranch_execz .LBB6_18
; %bb.15:
	v_mov_b32_e32 v6, 0
	v_lshlrev_b64 v[2:3], 1, v[2:3]
	v_dual_mov_b32 v7, 0x3ff00000 :: v_dual_mov_b32 v0, v4
	v_mov_b32_e32 v1, v5
	s_mov_b64 s[0:1], 2
	s_mov_b32 s21, 0
	.p2align	6
.LBB6_16:                               ; =>This Inner Loop Header: Depth=1
	v_cvt_f64_u32_e32 v[8:9], s1
	v_cvt_f64_u32_e32 v[10:11], s0
	s_add_u32 s0, s0, 2
	s_addc_u32 s1, s1, 0
	s_delay_alu instid0(SALU_CYCLE_1) | instskip(SKIP_1) | instid1(VALU_DEP_3)
	v_cmp_ge_u64_e32 vcc_lo, s[0:1], v[2:3]
	s_or_b32 s21, vcc_lo, s21
	v_ldexp_f64 v[8:9], v[8:9], 32
	s_delay_alu instid0(VALU_DEP_1) | instskip(NEXT) | instid1(VALU_DEP_1)
	v_add_f64 v[8:9], v[8:9], v[10:11]
	v_mul_f64 v[6:7], v[6:7], v[8:9]
	v_dual_mov_b32 v9, v1 :: v_dual_mov_b32 v8, v0
	s_delay_alu instid0(VALU_DEP_1)
	v_fma_f64 v[0:1], v[4:5], v[8:9], -v[6:7]
	v_dual_mov_b32 v6, v8 :: v_dual_mov_b32 v7, v9
	s_and_not1_b32 exec_lo, exec_lo, s21
	s_cbranch_execnz .LBB6_16
; %bb.17:
	s_or_b32 exec_lo, exec_lo, s21
.LBB6_18:
	s_delay_alu instid0(SALU_CYCLE_1)
	s_or_b32 exec_lo, exec_lo, s20
.LBB6_19:
	s_and_not1_saveexec_b32 s0, s19
; %bb.20:
	v_dual_mov_b32 v0, v4 :: v_dual_mov_b32 v1, v5
; %bb.21:
	s_or_b32 exec_lo, exec_lo, s0
.LBB6_22:
	s_delay_alu instid0(SALU_CYCLE_1)
	s_or_b32 exec_lo, exec_lo, s18
.LBB6_23:
	s_delay_alu instid0(SALU_CYCLE_1) | instskip(SKIP_2) | instid1(VALU_DEP_1)
	s_or_b32 exec_lo, exec_lo, s13
	v_mul_lo_u32 v2, v14, s2
	v_and_b32_e64 v8, 0xff, s10
	v_cmp_gt_i16_e32 vcc_lo, 11, v8
	s_delay_alu instid0(VALU_DEP_3) | instskip(SKIP_1) | instid1(VALU_DEP_1)
	v_ashrrev_i32_e32 v3, 31, v2
	v_add_co_u32 v6, s0, s4, v2
	v_add_co_ci_u32_e64 v7, s0, s5, v3, s0
	s_cbranch_vccnz .LBB6_31
; %bb.24:
	v_cmp_lt_i16_e32 vcc_lo, 25, v8
	s_cbranch_vccz .LBB6_34
; %bb.25:
	v_cmp_lt_i16_e32 vcc_lo, 28, v8
	s_cbranch_vccz .LBB6_36
	;; [unrolled: 3-line block ×4, first 2 shown]
; %bb.28:
	v_cmp_eq_u16_e32 vcc_lo, 46, v8
	s_mov_b32 s13, 0
	s_mov_b32 s0, -1
	s_mov_b32 s1, 0
	s_cbranch_vccz .LBB6_44
; %bb.29:
	v_cvt_f32_f64_e32 v2, v[0:1]
	s_mov_b32 s1, -1
	s_mov_b32 s0, 0
	s_delay_alu instid0(VALU_DEP_1) | instskip(SKIP_1) | instid1(VALU_DEP_2)
	v_bfe_u32 v3, v2, 16, 1
	v_cmp_o_f32_e32 vcc_lo, v2, v2
	v_add3_u32 v3, v2, v3, 0x7fff
	s_delay_alu instid0(VALU_DEP_1) | instskip(NEXT) | instid1(VALU_DEP_1)
	v_lshrrev_b32_e32 v3, 16, v3
	v_cndmask_b32_e32 v2, 0x7fc0, v3, vcc_lo
	global_store_b32 v[6:7], v2, off
	s_branch .LBB6_44
.LBB6_30:
	s_mov_b32 s0, 0
                                        ; implicit-def: $vgpr2_vgpr3
	s_and_b32 vcc_lo, exec_lo, s1
	s_cbranch_vccnz .LBB6_180
	s_branch .LBB6_212
.LBB6_31:
	s_mov_b32 s0, 0
	s_mov_b32 s1, 0
	s_cbranch_execnz .LBB6_113
.LBB6_32:
	s_and_not1_b32 vcc_lo, exec_lo, s1
	s_cbranch_vccnz .LBB6_261
	s_branch .LBB6_151
.LBB6_33:
	s_mov_b32 s0, 0
                                        ; implicit-def: $vgpr2_vgpr3
	s_branch .LBB6_159
.LBB6_34:
	s_mov_b32 s13, -1
	s_mov_b32 s0, 0
	s_mov_b32 s1, 0
	s_branch .LBB6_71
.LBB6_35:
	s_mov_b32 s0, 0
                                        ; implicit-def: $vgpr2_vgpr3
	s_branch .LBB6_154
.LBB6_36:
	s_mov_b32 s13, -1
	s_mov_b32 s0, 0
	s_mov_b32 s1, 0
	s_branch .LBB6_54
.LBB6_37:
	s_mov_b32 s13, -1
	s_mov_b32 s0, 0
	s_mov_b32 s1, 0
	s_branch .LBB6_50
.LBB6_38:
	s_mov_b32 s15, -1
.LBB6_39:
	s_mov_b32 s0, 0
                                        ; implicit-def: $vgpr2_vgpr3
.LBB6_40:
	s_and_b32 vcc_lo, exec_lo, s1
	s_cbranch_vccz .LBB6_153
; %bb.41:
	v_cmp_eq_u16_e32 vcc_lo, 44, v12
	s_cbranch_vccz .LBB6_152
; %bb.42:
	global_load_u8 v6, v[0:1], off
	s_mov_b32 s15, 0
	s_mov_b32 s0, -1
	s_waitcnt vmcnt(0)
	v_cmp_ne_u32_e32 vcc_lo, 0xff, v6
	v_lshlrev_b32_e32 v2, 23, v6
	s_delay_alu instid0(VALU_DEP_1) | instskip(NEXT) | instid1(VALU_DEP_1)
	v_cvt_f64_f32_e32 v[2:3], v2
	v_cndmask_b32_e32 v3, 0x7ff80000, v3, vcc_lo
	s_delay_alu instid0(VALU_DEP_2) | instskip(SKIP_1) | instid1(VALU_DEP_3)
	v_cndmask_b32_e32 v2, 0x20000000, v2, vcc_lo
	v_cmp_ne_u32_e32 vcc_lo, 0, v6
	v_cndmask_b32_e32 v3, 0x38000000, v3, vcc_lo
	s_delay_alu instid0(VALU_DEP_3)
	v_cndmask_b32_e32 v2, 0, v2, vcc_lo
	s_branch .LBB6_153
.LBB6_43:
	s_mov_b32 s13, -1
	s_mov_b32 s0, 0
	s_mov_b32 s1, 0
.LBB6_44:
	s_and_b32 vcc_lo, exec_lo, s13
	s_cbranch_vccz .LBB6_49
; %bb.45:
	v_cmp_eq_u16_e32 vcc_lo, 44, v8
	s_mov_b32 s0, -1
	s_cbranch_vccz .LBB6_49
; %bb.46:
	v_cvt_f32_f64_e32 v2, v[0:1]
	v_mov_b32_e32 v3, 0xff
	s_mov_b32 s1, exec_lo
	s_delay_alu instid0(VALU_DEP_2) | instskip(NEXT) | instid1(VALU_DEP_1)
	v_bfe_u32 v9, v2, 23, 8
	v_cmpx_ne_u32_e32 0xff, v9
; %bb.47:
	v_and_b32_e32 v3, 0x400000, v2
	v_and_or_b32 v9, 0x3fffff, v2, v9
	v_lshrrev_b32_e32 v2, 23, v2
	s_delay_alu instid0(VALU_DEP_3) | instskip(NEXT) | instid1(VALU_DEP_3)
	v_cmp_ne_u32_e32 vcc_lo, 0, v3
	v_cmp_ne_u32_e64 s0, 0, v9
	s_delay_alu instid0(VALU_DEP_1) | instskip(NEXT) | instid1(SALU_CYCLE_1)
	s_and_b32 s0, vcc_lo, s0
	v_cndmask_b32_e64 v3, 0, 1, s0
	s_delay_alu instid0(VALU_DEP_1)
	v_add_nc_u32_e32 v3, v2, v3
; %bb.48:
	s_or_b32 exec_lo, exec_lo, s1
	s_mov_b32 s1, -1
	s_mov_b32 s0, 0
	global_store_b8 v[6:7], v3, off
.LBB6_49:
	s_mov_b32 s13, 0
.LBB6_50:
	s_delay_alu instid0(SALU_CYCLE_1)
	s_and_b32 vcc_lo, exec_lo, s13
	s_cbranch_vccz .LBB6_53
; %bb.51:
	v_cmp_eq_u16_e32 vcc_lo, 29, v8
	s_mov_b32 s0, -1
	s_cbranch_vccz .LBB6_53
; %bb.52:
	v_trunc_f64_e32 v[2:3], v[0:1]
	s_mov_b32 s1, -1
	s_mov_b32 s0, 0
	s_mov_b32 s13, 0
	s_delay_alu instid0(VALU_DEP_1) | instskip(NEXT) | instid1(VALU_DEP_1)
	v_ldexp_f64 v[9:10], v[2:3], 0xffffffe0
	v_floor_f64_e32 v[9:10], v[9:10]
	s_delay_alu instid0(VALU_DEP_1) | instskip(SKIP_1) | instid1(VALU_DEP_2)
	v_fma_f64 v[2:3], 0xc1f00000, v[9:10], v[2:3]
	v_cvt_u32_f64_e32 v10, v[9:10]
	v_cvt_u32_f64_e32 v9, v[2:3]
	global_store_b64 v[6:7], v[9:10], off
	s_branch .LBB6_54
.LBB6_53:
	s_mov_b32 s13, 0
.LBB6_54:
	s_delay_alu instid0(SALU_CYCLE_1)
	s_and_b32 vcc_lo, exec_lo, s13
	s_cbranch_vccz .LBB6_70
; %bb.55:
	v_cmp_gt_i16_e32 vcc_lo, 27, v8
	s_mov_b32 s1, -1
	s_cbranch_vccnz .LBB6_61
; %bb.56:
	v_cmp_lt_i16_e32 vcc_lo, 27, v8
	s_cbranch_vccz .LBB6_58
; %bb.57:
	v_cvt_u32_f64_e32 v2, v[0:1]
	s_mov_b32 s1, 0
	global_store_b32 v[6:7], v2, off
.LBB6_58:
	s_and_not1_b32 vcc_lo, exec_lo, s1
	s_cbranch_vccnz .LBB6_60
; %bb.59:
	v_cvt_u32_f64_e32 v2, v[0:1]
	global_store_b16 v[6:7], v2, off
.LBB6_60:
	s_mov_b32 s1, 0
.LBB6_61:
	s_delay_alu instid0(SALU_CYCLE_1)
	s_and_not1_b32 vcc_lo, exec_lo, s1
	s_cbranch_vccnz .LBB6_69
; %bb.62:
	v_cvt_f32_f64_e32 v2, v[0:1]
	v_mov_b32_e32 v9, 0x80
	s_mov_b32 s1, exec_lo
	s_delay_alu instid0(VALU_DEP_2) | instskip(NEXT) | instid1(VALU_DEP_1)
	v_and_b32_e32 v3, 0x7fffffff, v2
	v_cmpx_gt_u32_e32 0x43800000, v3
	s_cbranch_execz .LBB6_68
; %bb.63:
	v_cmp_lt_u32_e32 vcc_lo, 0x3bffffff, v3
	s_mov_b32 s13, 0
                                        ; implicit-def: $vgpr3
	s_and_saveexec_b32 s18, vcc_lo
	s_delay_alu instid0(SALU_CYCLE_1)
	s_xor_b32 s18, exec_lo, s18
	s_cbranch_execz .LBB6_299
; %bb.64:
	v_bfe_u32 v3, v2, 20, 1
	s_mov_b32 s13, exec_lo
	s_delay_alu instid0(VALU_DEP_1) | instskip(NEXT) | instid1(VALU_DEP_1)
	v_add3_u32 v3, v2, v3, 0x487ffff
	v_lshrrev_b32_e32 v3, 20, v3
	s_or_saveexec_b32 s18, s18
                                        ; implicit-def: $sgpr19
	s_delay_alu instid0(SALU_CYCLE_1)
	s_xor_b32 exec_lo, exec_lo, s18
	s_cbranch_execnz .LBB6_300
.LBB6_65:
	s_or_b32 exec_lo, exec_lo, s18
	v_mov_b32_e32 v9, s19
	s_and_saveexec_b32 s18, s13
.LBB6_66:
	v_lshrrev_b32_e32 v2, 24, v2
	s_delay_alu instid0(VALU_DEP_1)
	v_and_or_b32 v9, 0x80, v2, v3
.LBB6_67:
	s_or_b32 exec_lo, exec_lo, s18
.LBB6_68:
	s_delay_alu instid0(SALU_CYCLE_1)
	s_or_b32 exec_lo, exec_lo, s1
	global_store_b8 v[6:7], v9, off
.LBB6_69:
	s_mov_b32 s1, -1
.LBB6_70:
	s_mov_b32 s13, 0
.LBB6_71:
	s_delay_alu instid0(SALU_CYCLE_1)
	s_and_b32 vcc_lo, exec_lo, s13
	s_cbranch_vccz .LBB6_112
; %bb.72:
	v_cmp_lt_i16_e32 vcc_lo, 22, v8
	s_mov_b32 s13, -1
	s_cbranch_vccz .LBB6_104
; %bb.73:
	v_cmp_gt_i16_e32 vcc_lo, 24, v8
	s_mov_b32 s1, -1
	s_cbranch_vccnz .LBB6_93
; %bb.74:
	v_cmp_lt_i16_e32 vcc_lo, 24, v8
	s_cbranch_vccz .LBB6_82
; %bb.75:
	v_cvt_f32_f64_e32 v2, v[0:1]
	v_mov_b32_e32 v9, 0x80
	s_mov_b32 s1, exec_lo
	s_delay_alu instid0(VALU_DEP_2) | instskip(NEXT) | instid1(VALU_DEP_1)
	v_and_b32_e32 v3, 0x7fffffff, v2
	v_cmpx_gt_u32_e32 0x47800000, v3
	s_cbranch_execz .LBB6_81
; %bb.76:
	v_cmp_lt_u32_e32 vcc_lo, 0x37ffffff, v3
	s_mov_b32 s13, 0
                                        ; implicit-def: $vgpr3
	s_and_saveexec_b32 s18, vcc_lo
	s_delay_alu instid0(SALU_CYCLE_1)
	s_xor_b32 s18, exec_lo, s18
	s_cbranch_execz .LBB6_303
; %bb.77:
	v_bfe_u32 v3, v2, 21, 1
	s_mov_b32 s13, exec_lo
	s_delay_alu instid0(VALU_DEP_1) | instskip(NEXT) | instid1(VALU_DEP_1)
	v_add3_u32 v3, v2, v3, 0x88fffff
	v_lshrrev_b32_e32 v3, 21, v3
	s_or_saveexec_b32 s18, s18
                                        ; implicit-def: $sgpr19
	s_delay_alu instid0(SALU_CYCLE_1)
	s_xor_b32 exec_lo, exec_lo, s18
	s_cbranch_execnz .LBB6_304
.LBB6_78:
	s_or_b32 exec_lo, exec_lo, s18
	v_mov_b32_e32 v9, s19
	s_and_saveexec_b32 s18, s13
.LBB6_79:
	v_lshrrev_b32_e32 v2, 24, v2
	s_delay_alu instid0(VALU_DEP_1)
	v_and_or_b32 v9, 0x80, v2, v3
.LBB6_80:
	s_or_b32 exec_lo, exec_lo, s18
.LBB6_81:
	s_delay_alu instid0(SALU_CYCLE_1)
	s_or_b32 exec_lo, exec_lo, s1
	s_mov_b32 s1, 0
	global_store_b8 v[6:7], v9, off
.LBB6_82:
	s_and_b32 vcc_lo, exec_lo, s1
	s_cbranch_vccz .LBB6_92
; %bb.83:
	v_cvt_f32_f64_e32 v2, v[0:1]
	s_mov_b32 s1, exec_lo
                                        ; implicit-def: $vgpr3
	s_delay_alu instid0(VALU_DEP_1) | instskip(NEXT) | instid1(VALU_DEP_1)
	v_and_b32_e32 v9, 0x7fffffff, v2
	v_cmpx_gt_u32_e32 0x43f00000, v9
	s_xor_b32 s1, exec_lo, s1
	s_cbranch_execz .LBB6_89
; %bb.84:
	s_mov_b32 s13, exec_lo
                                        ; implicit-def: $vgpr3
	v_cmpx_lt_u32_e32 0x3c7fffff, v9
	s_xor_b32 s13, exec_lo, s13
; %bb.85:
	v_bfe_u32 v3, v2, 20, 1
	s_delay_alu instid0(VALU_DEP_1) | instskip(NEXT) | instid1(VALU_DEP_1)
	v_add3_u32 v3, v2, v3, 0x407ffff
	v_and_b32_e32 v9, 0xff00000, v3
	v_lshrrev_b32_e32 v3, 20, v3
	s_delay_alu instid0(VALU_DEP_2) | instskip(NEXT) | instid1(VALU_DEP_2)
	v_cmp_ne_u32_e32 vcc_lo, 0x7f00000, v9
	v_cndmask_b32_e32 v3, 0x7e, v3, vcc_lo
; %bb.86:
	s_and_not1_saveexec_b32 s13, s13
; %bb.87:
	v_add_f32_e64 v3, 0x46800000, |v2|
; %bb.88:
	s_or_b32 exec_lo, exec_lo, s13
                                        ; implicit-def: $vgpr9
.LBB6_89:
	s_and_not1_saveexec_b32 s1, s1
; %bb.90:
	v_mov_b32_e32 v3, 0x7f
	v_cmp_lt_u32_e32 vcc_lo, 0x7f800000, v9
	s_delay_alu instid0(VALU_DEP_2)
	v_cndmask_b32_e32 v3, 0x7e, v3, vcc_lo
; %bb.91:
	s_or_b32 exec_lo, exec_lo, s1
	v_lshrrev_b32_e32 v2, 24, v2
	s_delay_alu instid0(VALU_DEP_1)
	v_and_or_b32 v2, 0x80, v2, v3
	global_store_b8 v[6:7], v2, off
.LBB6_92:
	s_mov_b32 s1, 0
.LBB6_93:
	s_delay_alu instid0(SALU_CYCLE_1)
	s_and_not1_b32 vcc_lo, exec_lo, s1
	s_cbranch_vccnz .LBB6_103
; %bb.94:
	v_cvt_f32_f64_e32 v2, v[0:1]
	s_mov_b32 s1, exec_lo
                                        ; implicit-def: $vgpr3
	s_delay_alu instid0(VALU_DEP_1) | instskip(NEXT) | instid1(VALU_DEP_1)
	v_and_b32_e32 v9, 0x7fffffff, v2
	v_cmpx_gt_u32_e32 0x47800000, v9
	s_xor_b32 s1, exec_lo, s1
	s_cbranch_execz .LBB6_100
; %bb.95:
	s_mov_b32 s13, exec_lo
                                        ; implicit-def: $vgpr3
	v_cmpx_lt_u32_e32 0x387fffff, v9
	s_xor_b32 s13, exec_lo, s13
; %bb.96:
	v_bfe_u32 v3, v2, 21, 1
	s_delay_alu instid0(VALU_DEP_1) | instskip(NEXT) | instid1(VALU_DEP_1)
	v_add3_u32 v3, v2, v3, 0x80fffff
	v_lshrrev_b32_e32 v3, 21, v3
; %bb.97:
	s_and_not1_saveexec_b32 s13, s13
; %bb.98:
	v_add_f32_e64 v3, 0x43000000, |v2|
; %bb.99:
	s_or_b32 exec_lo, exec_lo, s13
                                        ; implicit-def: $vgpr9
.LBB6_100:
	s_and_not1_saveexec_b32 s1, s1
; %bb.101:
	v_mov_b32_e32 v3, 0x7f
	v_cmp_lt_u32_e32 vcc_lo, 0x7f800000, v9
	s_delay_alu instid0(VALU_DEP_2)
	v_cndmask_b32_e32 v3, 0x7c, v3, vcc_lo
; %bb.102:
	s_or_b32 exec_lo, exec_lo, s1
	v_lshrrev_b32_e32 v2, 24, v2
	s_delay_alu instid0(VALU_DEP_1)
	v_and_or_b32 v2, 0x80, v2, v3
	global_store_b8 v[6:7], v2, off
.LBB6_103:
	s_mov_b32 s13, 0
	s_mov_b32 s1, -1
.LBB6_104:
	s_and_not1_b32 vcc_lo, exec_lo, s13
	s_cbranch_vccnz .LBB6_112
; %bb.105:
	v_cmp_lt_i16_e32 vcc_lo, 14, v8
	s_mov_b32 s13, -1
	s_cbranch_vccz .LBB6_109
; %bb.106:
	v_cmp_eq_u16_e32 vcc_lo, 15, v8
	s_mov_b32 s0, -1
	s_cbranch_vccz .LBB6_108
; %bb.107:
	v_cvt_f32_f64_e32 v2, v[0:1]
	s_mov_b32 s1, -1
	s_mov_b32 s0, 0
	s_delay_alu instid0(VALU_DEP_1) | instskip(SKIP_1) | instid1(VALU_DEP_2)
	v_bfe_u32 v3, v2, 16, 1
	v_cmp_o_f32_e32 vcc_lo, v2, v2
	v_add3_u32 v3, v2, v3, 0x7fff
	s_delay_alu instid0(VALU_DEP_1) | instskip(NEXT) | instid1(VALU_DEP_1)
	v_lshrrev_b32_e32 v3, 16, v3
	v_cndmask_b32_e32 v2, 0x7fc0, v3, vcc_lo
	global_store_b16 v[6:7], v2, off
.LBB6_108:
	s_mov_b32 s13, 0
.LBB6_109:
	s_delay_alu instid0(SALU_CYCLE_1)
	s_and_b32 vcc_lo, exec_lo, s13
	s_cbranch_vccz .LBB6_112
; %bb.110:
	v_cmp_eq_u16_e32 vcc_lo, 11, v8
	s_mov_b32 s0, -1
	s_cbranch_vccz .LBB6_112
; %bb.111:
	v_cmp_neq_f64_e32 vcc_lo, 0, v[0:1]
	s_mov_b32 s1, -1
	s_mov_b32 s0, 0
	v_cndmask_b32_e64 v2, 0, 1, vcc_lo
	global_store_b8 v[6:7], v2, off
.LBB6_112:
	s_branch .LBB6_32
.LBB6_113:
	v_cmp_gt_i16_e32 vcc_lo, 5, v8
	s_mov_b32 s1, -1
	s_cbranch_vccnz .LBB6_134
; %bb.114:
	v_cmp_gt_i16_e32 vcc_lo, 8, v8
	s_cbranch_vccnz .LBB6_124
; %bb.115:
	v_cmp_gt_i16_e32 vcc_lo, 9, v8
	s_cbranch_vccnz .LBB6_121
; %bb.116:
	v_cmp_lt_i16_e32 vcc_lo, 9, v8
	s_cbranch_vccz .LBB6_118
; %bb.117:
	v_mov_b32_e32 v2, 0
	s_mov_b32 s1, 0
	s_delay_alu instid0(VALU_DEP_1)
	v_mov_b32_e32 v3, v2
	global_store_b128 v[6:7], v[0:3], off
.LBB6_118:
	s_and_not1_b32 vcc_lo, exec_lo, s1
	s_cbranch_vccnz .LBB6_120
; %bb.119:
	v_cvt_f32_f64_e32 v2, v[0:1]
	v_mov_b32_e32 v3, 0
	global_store_b64 v[6:7], v[2:3], off
.LBB6_120:
	s_mov_b32 s1, 0
.LBB6_121:
	s_delay_alu instid0(SALU_CYCLE_1)
	s_and_not1_b32 vcc_lo, exec_lo, s1
	s_cbranch_vccnz .LBB6_123
; %bb.122:
	v_cvt_f32_f64_e32 v2, v[0:1]
	s_delay_alu instid0(VALU_DEP_1) | instskip(NEXT) | instid1(VALU_DEP_1)
	v_cvt_f16_f32_e32 v2, v2
	v_and_b32_e32 v2, 0xffff, v2
	global_store_b32 v[6:7], v2, off
.LBB6_123:
	s_mov_b32 s1, 0
.LBB6_124:
	s_delay_alu instid0(SALU_CYCLE_1)
	s_and_not1_b32 vcc_lo, exec_lo, s1
	s_cbranch_vccnz .LBB6_133
; %bb.125:
	v_cmp_gt_i16_e32 vcc_lo, 6, v8
	s_mov_b32 s1, -1
	s_cbranch_vccnz .LBB6_131
; %bb.126:
	v_cmp_lt_i16_e32 vcc_lo, 6, v8
	s_cbranch_vccz .LBB6_128
; %bb.127:
	s_mov_b32 s1, 0
	global_store_b64 v[6:7], v[0:1], off
.LBB6_128:
	s_and_not1_b32 vcc_lo, exec_lo, s1
	s_cbranch_vccnz .LBB6_130
; %bb.129:
	v_cvt_f32_f64_e32 v2, v[0:1]
	global_store_b32 v[6:7], v2, off
.LBB6_130:
	s_mov_b32 s1, 0
.LBB6_131:
	s_delay_alu instid0(SALU_CYCLE_1)
	s_and_not1_b32 vcc_lo, exec_lo, s1
	s_cbranch_vccnz .LBB6_133
; %bb.132:
	v_cvt_f32_f64_e32 v2, v[0:1]
	s_delay_alu instid0(VALU_DEP_1)
	v_cvt_f16_f32_e32 v2, v2
	global_store_b16 v[6:7], v2, off
.LBB6_133:
	s_mov_b32 s1, 0
.LBB6_134:
	s_delay_alu instid0(SALU_CYCLE_1)
	s_and_not1_b32 vcc_lo, exec_lo, s1
	s_cbranch_vccnz .LBB6_150
; %bb.135:
	v_cmp_gt_i16_e32 vcc_lo, 2, v8
	s_mov_b32 s1, -1
	s_cbranch_vccnz .LBB6_145
; %bb.136:
	v_cmp_gt_i16_e32 vcc_lo, 3, v8
	s_cbranch_vccnz .LBB6_142
; %bb.137:
	v_cmp_lt_i16_e32 vcc_lo, 3, v8
	s_cbranch_vccz .LBB6_139
; %bb.138:
	v_trunc_f64_e32 v[2:3], v[0:1]
	s_mov_b32 s1, 0
	s_delay_alu instid0(VALU_DEP_1) | instskip(NEXT) | instid1(VALU_DEP_1)
	v_ldexp_f64 v[9:10], v[2:3], 0xffffffe0
	v_floor_f64_e32 v[9:10], v[9:10]
	s_delay_alu instid0(VALU_DEP_1) | instskip(SKIP_1) | instid1(VALU_DEP_2)
	v_fma_f64 v[2:3], 0xc1f00000, v[9:10], v[2:3]
	v_cvt_i32_f64_e32 v10, v[9:10]
	v_cvt_u32_f64_e32 v9, v[2:3]
	global_store_b64 v[6:7], v[9:10], off
.LBB6_139:
	s_and_not1_b32 vcc_lo, exec_lo, s1
	s_cbranch_vccnz .LBB6_141
; %bb.140:
	v_cvt_i32_f64_e32 v2, v[0:1]
	global_store_b32 v[6:7], v2, off
.LBB6_141:
	s_mov_b32 s1, 0
.LBB6_142:
	s_delay_alu instid0(SALU_CYCLE_1)
	s_and_not1_b32 vcc_lo, exec_lo, s1
	s_cbranch_vccnz .LBB6_144
; %bb.143:
	v_cvt_i32_f64_e32 v2, v[0:1]
	global_store_b16 v[6:7], v2, off
.LBB6_144:
	s_mov_b32 s1, 0
.LBB6_145:
	s_delay_alu instid0(SALU_CYCLE_1)
	s_and_not1_b32 vcc_lo, exec_lo, s1
	s_cbranch_vccnz .LBB6_150
; %bb.146:
	v_cmp_lt_i16_e32 vcc_lo, 0, v8
	s_mov_b32 s1, -1
	s_cbranch_vccz .LBB6_148
; %bb.147:
	v_cvt_i32_f64_e32 v2, v[0:1]
	s_mov_b32 s1, 0
	global_store_b8 v[6:7], v2, off
.LBB6_148:
	s_and_not1_b32 vcc_lo, exec_lo, s1
	s_cbranch_vccnz .LBB6_150
; %bb.149:
	v_trunc_f64_e32 v[0:1], v[0:1]
	s_delay_alu instid0(VALU_DEP_1) | instskip(NEXT) | instid1(VALU_DEP_1)
	v_ldexp_f64 v[2:3], v[0:1], 0xffffffe0
	v_floor_f64_e32 v[2:3], v[2:3]
	s_delay_alu instid0(VALU_DEP_1) | instskip(NEXT) | instid1(VALU_DEP_1)
	v_fma_f64 v[0:1], 0xc1f00000, v[2:3], v[0:1]
	v_cvt_u32_f64_e32 v0, v[0:1]
	global_store_b8 v[6:7], v0, off
.LBB6_150:
.LBB6_151:
	v_add_nc_u32_e32 v14, 0x80, v14
	s_mov_b32 s1, -1
	s_branch .LBB6_262
.LBB6_152:
	s_mov_b32 s15, -1
                                        ; implicit-def: $vgpr2_vgpr3
.LBB6_153:
	s_mov_b32 s1, 0
.LBB6_154:
	s_delay_alu instid0(SALU_CYCLE_1)
	s_and_b32 vcc_lo, exec_lo, s1
	s_cbranch_vccz .LBB6_158
; %bb.155:
	v_cmp_eq_u16_e32 vcc_lo, 29, v12
	s_cbranch_vccz .LBB6_157
; %bb.156:
	global_load_b64 v[2:3], v[0:1], off
	s_mov_b32 s0, -1
	s_mov_b32 s15, 0
	s_mov_b32 s1, 0
	s_waitcnt vmcnt(0)
	v_cvt_f64_u32_e32 v[6:7], v3
	v_cvt_f64_u32_e32 v[2:3], v2
	s_delay_alu instid0(VALU_DEP_2) | instskip(NEXT) | instid1(VALU_DEP_1)
	v_ldexp_f64 v[6:7], v[6:7], 32
	v_add_f64 v[2:3], v[6:7], v[2:3]
	s_branch .LBB6_159
.LBB6_157:
	s_mov_b32 s15, -1
                                        ; implicit-def: $vgpr2_vgpr3
.LBB6_158:
	s_mov_b32 s1, 0
.LBB6_159:
	s_delay_alu instid0(SALU_CYCLE_1)
	s_and_b32 vcc_lo, exec_lo, s1
	s_cbranch_vccz .LBB6_179
; %bb.160:
	v_cmp_gt_i16_e32 vcc_lo, 27, v12
	s_cbranch_vccnz .LBB6_163
; %bb.161:
	v_cmp_lt_i16_e32 vcc_lo, 27, v12
	s_cbranch_vccz .LBB6_164
; %bb.162:
	global_load_b32 v2, v[0:1], off
	s_mov_b32 s0, 0
	s_waitcnt vmcnt(0)
	v_cvt_f64_u32_e32 v[2:3], v2
	s_branch .LBB6_165
.LBB6_163:
	s_mov_b32 s0, -1
                                        ; implicit-def: $vgpr2_vgpr3
	s_branch .LBB6_168
.LBB6_164:
	s_mov_b32 s0, -1
                                        ; implicit-def: $vgpr2_vgpr3
.LBB6_165:
	s_delay_alu instid0(SALU_CYCLE_1)
	s_and_not1_b32 vcc_lo, exec_lo, s0
	s_cbranch_vccnz .LBB6_167
; %bb.166:
	global_load_u16 v2, v[0:1], off
	s_waitcnt vmcnt(0)
	v_cvt_f64_u32_e32 v[2:3], v2
.LBB6_167:
	s_mov_b32 s0, 0
.LBB6_168:
	s_delay_alu instid0(SALU_CYCLE_1)
	s_and_not1_b32 vcc_lo, exec_lo, s0
	s_cbranch_vccnz .LBB6_178
; %bb.169:
	global_load_u8 v6, v[0:1], off
	s_mov_b32 s18, exec_lo
                                        ; implicit-def: $sgpr0_sgpr1
	s_waitcnt vmcnt(0)
	v_cmpx_lt_i16_e32 0x7f, v6
	s_xor_b32 s18, exec_lo, s18
	s_cbranch_execz .LBB6_173
; %bb.170:
	s_mov_b32 s19, -1
	s_mov_b32 s13, exec_lo
                                        ; implicit-def: $sgpr0_sgpr1
	v_cmpx_eq_u16_e32 0x80, v6
; %bb.171:
	s_mov_b32 s1, 0x7ff80000
	s_brev_b32 s0, 4
	s_xor_b32 s19, exec_lo, -1
; %bb.172:
	s_or_b32 exec_lo, exec_lo, s13
	s_delay_alu instid0(SALU_CYCLE_1)
	s_and_b32 s13, s19, exec_lo
.LBB6_173:
	s_or_saveexec_b32 s18, s18
	v_dual_mov_b32 v3, s1 :: v_dual_mov_b32 v2, s0
	s_xor_b32 exec_lo, exec_lo, s18
; %bb.174:
	v_cmp_ne_u16_e32 vcc_lo, 0, v6
	v_mov_b32_e32 v2, 0
	v_mov_b32_e32 v3, 0
	s_and_not1_b32 s0, s13, exec_lo
	s_and_b32 s1, vcc_lo, exec_lo
	s_delay_alu instid0(SALU_CYCLE_1)
	s_or_b32 s13, s0, s1
; %bb.175:
	s_or_b32 exec_lo, exec_lo, s18
	s_and_saveexec_b32 s0, s13
	s_cbranch_execz .LBB6_177
; %bb.176:
	v_and_b32_e32 v2, 0xffff, v6
	v_lshlrev_b32_e32 v6, 24, v6
	s_delay_alu instid0(VALU_DEP_2) | instskip(NEXT) | instid1(VALU_DEP_2)
	v_and_b32_e32 v3, 7, v2
	v_and_b32_e32 v6, 0x80000000, v6
	s_delay_alu instid0(VALU_DEP_2) | instskip(NEXT) | instid1(VALU_DEP_1)
	v_clz_i32_u32_e32 v7, v3
	v_min_u32_e32 v7, 32, v7
	s_delay_alu instid0(VALU_DEP_1) | instskip(SKIP_1) | instid1(VALU_DEP_2)
	v_subrev_nc_u32_e32 v8, 28, v7
	v_sub_nc_u32_e32 v7, 29, v7
	v_lshlrev_b32_e32 v8, v8, v2
	v_bfe_u32 v2, v2, 3, 4
	s_delay_alu instid0(VALU_DEP_2) | instskip(NEXT) | instid1(VALU_DEP_2)
	v_and_b32_e32 v8, 7, v8
	v_cmp_eq_u32_e32 vcc_lo, 0, v2
	s_delay_alu instid0(VALU_DEP_2) | instskip(NEXT) | instid1(VALU_DEP_1)
	v_dual_cndmask_b32 v2, v2, v7 :: v_dual_cndmask_b32 v3, v3, v8
	v_lshl_add_u32 v2, v2, 23, 0x3b800000
	s_delay_alu instid0(VALU_DEP_2) | instskip(NEXT) | instid1(VALU_DEP_1)
	v_lshlrev_b32_e32 v3, 20, v3
	v_or3_b32 v2, v6, v2, v3
	s_delay_alu instid0(VALU_DEP_1)
	v_cvt_f64_f32_e32 v[2:3], v2
.LBB6_177:
	s_or_b32 exec_lo, exec_lo, s0
.LBB6_178:
	s_mov_b32 s0, -1
.LBB6_179:
	s_branch .LBB6_212
.LBB6_180:
	v_cmp_lt_i16_e32 vcc_lo, 22, v12
	s_cbranch_vccz .LBB6_192
; %bb.181:
	v_cmp_gt_i16_e32 vcc_lo, 24, v12
	s_cbranch_vccnz .LBB6_193
; %bb.182:
	v_cmp_lt_i16_e32 vcc_lo, 24, v12
	s_cbranch_vccz .LBB6_194
; %bb.183:
	global_load_u8 v6, v[0:1], off
	s_mov_b32 s13, 0
	s_mov_b32 s18, exec_lo
                                        ; implicit-def: $sgpr0_sgpr1
	s_waitcnt vmcnt(0)
	v_cmpx_lt_i16_e32 0x7f, v6
	s_xor_b32 s18, exec_lo, s18
	s_cbranch_execz .LBB6_187
; %bb.184:
	s_mov_b32 s19, -1
	s_mov_b32 s13, exec_lo
                                        ; implicit-def: $sgpr0_sgpr1
	v_cmpx_eq_u16_e32 0x80, v6
; %bb.185:
	s_mov_b32 s1, 0x7ff80000
	s_brev_b32 s0, 4
	s_xor_b32 s19, exec_lo, -1
; %bb.186:
	s_or_b32 exec_lo, exec_lo, s13
	s_delay_alu instid0(SALU_CYCLE_1)
	s_and_b32 s13, s19, exec_lo
.LBB6_187:
	s_or_saveexec_b32 s18, s18
	v_dual_mov_b32 v3, s1 :: v_dual_mov_b32 v2, s0
	s_xor_b32 exec_lo, exec_lo, s18
; %bb.188:
	v_cmp_ne_u16_e32 vcc_lo, 0, v6
	v_mov_b32_e32 v2, 0
	v_mov_b32_e32 v3, 0
	s_and_not1_b32 s0, s13, exec_lo
	s_and_b32 s1, vcc_lo, exec_lo
	s_delay_alu instid0(SALU_CYCLE_1)
	s_or_b32 s13, s0, s1
; %bb.189:
	s_or_b32 exec_lo, exec_lo, s18
	s_and_saveexec_b32 s0, s13
	s_cbranch_execz .LBB6_191
; %bb.190:
	v_and_b32_e32 v2, 0xffff, v6
	v_lshlrev_b32_e32 v6, 24, v6
	s_delay_alu instid0(VALU_DEP_2) | instskip(NEXT) | instid1(VALU_DEP_2)
	v_and_b32_e32 v3, 3, v2
	v_and_b32_e32 v6, 0x80000000, v6
	s_delay_alu instid0(VALU_DEP_2) | instskip(NEXT) | instid1(VALU_DEP_1)
	v_clz_i32_u32_e32 v7, v3
	v_min_u32_e32 v7, 32, v7
	s_delay_alu instid0(VALU_DEP_1) | instskip(SKIP_1) | instid1(VALU_DEP_2)
	v_subrev_nc_u32_e32 v8, 29, v7
	v_sub_nc_u32_e32 v7, 30, v7
	v_lshlrev_b32_e32 v8, v8, v2
	v_bfe_u32 v2, v2, 2, 5
	s_delay_alu instid0(VALU_DEP_2) | instskip(NEXT) | instid1(VALU_DEP_2)
	v_and_b32_e32 v8, 3, v8
	v_cmp_eq_u32_e32 vcc_lo, 0, v2
	s_delay_alu instid0(VALU_DEP_2) | instskip(NEXT) | instid1(VALU_DEP_1)
	v_dual_cndmask_b32 v2, v2, v7 :: v_dual_cndmask_b32 v3, v3, v8
	v_lshl_add_u32 v2, v2, 23, 0x37800000
	s_delay_alu instid0(VALU_DEP_2) | instskip(NEXT) | instid1(VALU_DEP_1)
	v_lshlrev_b32_e32 v3, 21, v3
	v_or3_b32 v2, v6, v2, v3
	s_delay_alu instid0(VALU_DEP_1)
	v_cvt_f64_f32_e32 v[2:3], v2
.LBB6_191:
	s_or_b32 exec_lo, exec_lo, s0
	s_mov_b32 s0, 0
	s_branch .LBB6_195
.LBB6_192:
	s_mov_b32 s1, -1
                                        ; implicit-def: $vgpr2_vgpr3
	s_branch .LBB6_201
.LBB6_193:
	s_mov_b32 s0, -1
                                        ; implicit-def: $vgpr2_vgpr3
	s_branch .LBB6_198
.LBB6_194:
	s_mov_b32 s0, -1
                                        ; implicit-def: $vgpr2_vgpr3
.LBB6_195:
	s_delay_alu instid0(SALU_CYCLE_1)
	s_and_b32 vcc_lo, exec_lo, s0
	s_cbranch_vccz .LBB6_197
; %bb.196:
	global_load_u8 v2, v[0:1], off
	s_waitcnt vmcnt(0)
	v_lshlrev_b32_e32 v2, 24, v2
	s_delay_alu instid0(VALU_DEP_1) | instskip(NEXT) | instid1(VALU_DEP_1)
	v_and_b32_e32 v3, 0x7f000000, v2
	v_clz_i32_u32_e32 v6, v3
	v_cmp_ne_u32_e32 vcc_lo, 0, v3
	v_add_nc_u32_e32 v8, 0x1000000, v3
	s_delay_alu instid0(VALU_DEP_3) | instskip(NEXT) | instid1(VALU_DEP_1)
	v_min_u32_e32 v6, 32, v6
	v_sub_nc_u32_e64 v6, v6, 4 clamp
	s_delay_alu instid0(VALU_DEP_1) | instskip(SKIP_1) | instid1(VALU_DEP_2)
	v_lshlrev_b32_e32 v7, v6, v3
	v_lshlrev_b32_e32 v6, 23, v6
	v_lshrrev_b32_e32 v7, 4, v7
	s_delay_alu instid0(VALU_DEP_1) | instskip(SKIP_1) | instid1(VALU_DEP_2)
	v_sub_nc_u32_e32 v6, v7, v6
	v_ashrrev_i32_e32 v7, 8, v8
	v_add_nc_u32_e32 v6, 0x3c000000, v6
	s_delay_alu instid0(VALU_DEP_1) | instskip(NEXT) | instid1(VALU_DEP_1)
	v_and_or_b32 v6, 0x7f800000, v7, v6
	v_cndmask_b32_e32 v3, 0, v6, vcc_lo
	s_delay_alu instid0(VALU_DEP_1) | instskip(NEXT) | instid1(VALU_DEP_1)
	v_and_or_b32 v2, 0x80000000, v2, v3
	v_cvt_f64_f32_e32 v[2:3], v2
.LBB6_197:
	s_mov_b32 s0, 0
.LBB6_198:
	s_delay_alu instid0(SALU_CYCLE_1)
	s_and_not1_b32 vcc_lo, exec_lo, s0
	s_cbranch_vccnz .LBB6_200
; %bb.199:
	global_load_u8 v2, v[0:1], off
	s_waitcnt vmcnt(0)
	v_lshlrev_b32_e32 v3, 25, v2
	v_lshlrev_b16 v2, 8, v2
	s_delay_alu instid0(VALU_DEP_2) | instskip(NEXT) | instid1(VALU_DEP_2)
	v_lshrrev_b32_e32 v6, 4, v3
	v_and_or_b32 v7, 0x7f00, v2, 0.5
	v_cmp_gt_u32_e32 vcc_lo, 0x8000000, v3
	v_bfe_i32 v2, v2, 0, 16
	s_delay_alu instid0(VALU_DEP_4) | instskip(NEXT) | instid1(VALU_DEP_1)
	v_or_b32_e32 v6, 0x70000000, v6
	v_dual_add_f32 v7, -0.5, v7 :: v_dual_mul_f32 v6, 0x7800000, v6
	s_delay_alu instid0(VALU_DEP_1) | instskip(NEXT) | instid1(VALU_DEP_1)
	v_cndmask_b32_e32 v3, v6, v7, vcc_lo
	v_and_or_b32 v2, 0x80000000, v2, v3
	s_delay_alu instid0(VALU_DEP_1)
	v_cvt_f64_f32_e32 v[2:3], v2
.LBB6_200:
	s_mov_b32 s1, 0
	s_mov_b32 s0, -1
.LBB6_201:
	s_and_not1_b32 vcc_lo, exec_lo, s1
	s_cbranch_vccnz .LBB6_212
; %bb.202:
	v_cmp_lt_i16_e32 vcc_lo, 14, v12
	s_cbranch_vccz .LBB6_205
; %bb.203:
	v_cmp_eq_u16_e32 vcc_lo, 15, v12
	s_cbranch_vccz .LBB6_206
; %bb.204:
	global_load_u16 v2, v[0:1], off
	s_mov_b32 s0, -1
	s_mov_b32 s15, 0
	s_waitcnt vmcnt(0)
	v_lshlrev_b32_e32 v2, 16, v2
	s_delay_alu instid0(VALU_DEP_1)
	v_cvt_f64_f32_e32 v[2:3], v2
	s_branch .LBB6_207
.LBB6_205:
	s_mov_b32 s1, -1
                                        ; implicit-def: $vgpr2_vgpr3
	s_branch .LBB6_208
.LBB6_206:
	s_mov_b32 s15, -1
                                        ; implicit-def: $vgpr2_vgpr3
.LBB6_207:
	s_mov_b32 s1, 0
.LBB6_208:
	s_delay_alu instid0(SALU_CYCLE_1)
	s_and_b32 vcc_lo, exec_lo, s1
	s_cbranch_vccz .LBB6_212
; %bb.209:
	v_cmp_eq_u16_e32 vcc_lo, 11, v12
	s_cbranch_vccz .LBB6_211
; %bb.210:
	global_load_u8 v2, v[0:1], off
	s_mov_b32 s15, 0
	s_mov_b32 s0, -1
	s_waitcnt vmcnt(0)
	v_cmp_ne_u16_e32 vcc_lo, 0, v2
	v_mov_b32_e32 v2, 0
	v_cndmask_b32_e64 v3, 0, 0x3ff00000, vcc_lo
	s_branch .LBB6_212
.LBB6_211:
	s_mov_b32 s15, -1
                                        ; implicit-def: $vgpr2_vgpr3
.LBB6_212:
	s_branch .LBB6_10
.LBB6_213:
	v_cmp_gt_i16_e32 vcc_lo, 5, v12
	s_cbranch_vccnz .LBB6_218
; %bb.214:
	v_cmp_gt_i16_e32 vcc_lo, 8, v12
	s_cbranch_vccnz .LBB6_219
; %bb.215:
	;; [unrolled: 3-line block ×3, first 2 shown]
	v_cmp_lt_i16_e32 vcc_lo, 9, v12
	s_cbranch_vccz .LBB6_221
; %bb.217:
	global_load_b64 v[2:3], v[0:1], off
	s_mov_b32 s0, 0
	s_branch .LBB6_222
.LBB6_218:
                                        ; implicit-def: $vgpr2_vgpr3
	s_branch .LBB6_240
.LBB6_219:
	s_mov_b32 s0, -1
                                        ; implicit-def: $vgpr2_vgpr3
	s_branch .LBB6_228
.LBB6_220:
	s_mov_b32 s0, -1
                                        ; implicit-def: $vgpr2_vgpr3
	s_branch .LBB6_225
.LBB6_221:
	s_mov_b32 s0, -1
                                        ; implicit-def: $vgpr2_vgpr3
.LBB6_222:
	s_delay_alu instid0(SALU_CYCLE_1)
	s_and_not1_b32 vcc_lo, exec_lo, s0
	s_cbranch_vccnz .LBB6_224
; %bb.223:
	global_load_b32 v2, v[0:1], off
	s_waitcnt vmcnt(0)
	v_cvt_f64_f32_e32 v[2:3], v2
.LBB6_224:
	s_mov_b32 s0, 0
.LBB6_225:
	s_delay_alu instid0(SALU_CYCLE_1)
	s_and_not1_b32 vcc_lo, exec_lo, s0
	s_cbranch_vccnz .LBB6_227
; %bb.226:
	global_load_b32 v2, v[0:1], off
	s_waitcnt vmcnt(0)
	v_cvt_f32_f16_e32 v2, v2
	s_delay_alu instid0(VALU_DEP_1)
	v_cvt_f64_f32_e32 v[2:3], v2
.LBB6_227:
	s_mov_b32 s0, 0
.LBB6_228:
	s_delay_alu instid0(SALU_CYCLE_1)
	s_and_not1_b32 vcc_lo, exec_lo, s0
	s_cbranch_vccnz .LBB6_239
; %bb.229:
	v_cmp_gt_i16_e32 vcc_lo, 6, v12
	s_cbranch_vccnz .LBB6_232
; %bb.230:
	v_cmp_lt_i16_e32 vcc_lo, 6, v12
	s_cbranch_vccz .LBB6_233
; %bb.231:
	global_load_b64 v[2:3], v[0:1], off
	s_mov_b32 s0, 0
	s_branch .LBB6_234
.LBB6_232:
	s_mov_b32 s0, -1
                                        ; implicit-def: $vgpr2_vgpr3
	s_branch .LBB6_237
.LBB6_233:
	s_mov_b32 s0, -1
                                        ; implicit-def: $vgpr2_vgpr3
.LBB6_234:
	s_delay_alu instid0(SALU_CYCLE_1)
	s_and_not1_b32 vcc_lo, exec_lo, s0
	s_cbranch_vccnz .LBB6_236
; %bb.235:
	global_load_b32 v2, v[0:1], off
	s_waitcnt vmcnt(0)
	v_cvt_f64_f32_e32 v[2:3], v2
.LBB6_236:
	s_mov_b32 s0, 0
.LBB6_237:
	s_delay_alu instid0(SALU_CYCLE_1)
	s_and_not1_b32 vcc_lo, exec_lo, s0
	s_cbranch_vccnz .LBB6_239
; %bb.238:
	global_load_u16 v2, v[0:1], off
	s_waitcnt vmcnt(0)
	v_cvt_f32_f16_e32 v2, v2
	s_delay_alu instid0(VALU_DEP_1)
	v_cvt_f64_f32_e32 v[2:3], v2
.LBB6_239:
	s_cbranch_execnz .LBB6_259
.LBB6_240:
	v_cmp_gt_i16_e32 vcc_lo, 2, v12
	s_cbranch_vccnz .LBB6_244
; %bb.241:
	v_cmp_gt_i16_e32 vcc_lo, 3, v12
	s_cbranch_vccnz .LBB6_245
; %bb.242:
	v_cmp_lt_i16_e32 vcc_lo, 3, v12
	s_cbranch_vccz .LBB6_246
; %bb.243:
	global_load_b64 v[2:3], v[0:1], off
	s_mov_b32 s0, 0
	s_waitcnt vmcnt(0)
	v_cvt_f64_i32_e32 v[6:7], v3
	v_cvt_f64_u32_e32 v[2:3], v2
	s_delay_alu instid0(VALU_DEP_2) | instskip(NEXT) | instid1(VALU_DEP_1)
	v_ldexp_f64 v[6:7], v[6:7], 32
	v_add_f64 v[2:3], v[6:7], v[2:3]
	s_branch .LBB6_247
.LBB6_244:
	s_mov_b32 s0, -1
                                        ; implicit-def: $vgpr2_vgpr3
	s_branch .LBB6_253
.LBB6_245:
	s_mov_b32 s0, -1
                                        ; implicit-def: $vgpr2_vgpr3
	s_branch .LBB6_250
.LBB6_246:
	s_mov_b32 s0, -1
                                        ; implicit-def: $vgpr2_vgpr3
.LBB6_247:
	s_delay_alu instid0(SALU_CYCLE_1)
	s_and_not1_b32 vcc_lo, exec_lo, s0
	s_cbranch_vccnz .LBB6_249
; %bb.248:
	global_load_b32 v2, v[0:1], off
	s_waitcnt vmcnt(0)
	v_cvt_f64_i32_e32 v[2:3], v2
.LBB6_249:
	s_mov_b32 s0, 0
.LBB6_250:
	s_delay_alu instid0(SALU_CYCLE_1)
	s_and_not1_b32 vcc_lo, exec_lo, s0
	s_cbranch_vccnz .LBB6_252
; %bb.251:
	global_load_i16 v2, v[0:1], off
	s_waitcnt vmcnt(0)
	v_cvt_f64_i32_e32 v[2:3], v2
.LBB6_252:
	s_mov_b32 s0, 0
.LBB6_253:
	s_delay_alu instid0(SALU_CYCLE_1)
	s_and_not1_b32 vcc_lo, exec_lo, s0
	s_cbranch_vccnz .LBB6_259
; %bb.254:
	v_cmp_lt_i16_e32 vcc_lo, 0, v12
	s_mov_b32 s0, 0
	s_cbranch_vccz .LBB6_256
; %bb.255:
	global_load_i8 v2, v[0:1], off
	s_waitcnt vmcnt(0)
	v_cvt_f64_i32_e32 v[2:3], v2
	s_branch .LBB6_257
.LBB6_256:
	s_mov_b32 s0, -1
                                        ; implicit-def: $vgpr2_vgpr3
.LBB6_257:
	s_delay_alu instid0(SALU_CYCLE_1)
	s_and_not1_b32 vcc_lo, exec_lo, s0
	s_cbranch_vccnz .LBB6_259
; %bb.258:
	global_load_u8 v0, v[0:1], off
	s_waitcnt vmcnt(0)
	v_cvt_f64_u32_e32 v[2:3], v0
.LBB6_259:
	s_branch .LBB6_11
.LBB6_260:
	s_mov_b32 s0, 0
.LBB6_261:
	s_mov_b32 s1, 0
                                        ; implicit-def: $vgpr14
.LBB6_262:
	s_and_b32 s13, s0, exec_lo
	s_and_b32 s15, s15, exec_lo
	s_or_not1_b32 s1, s1, exec_lo
.LBB6_263:
	s_or_b32 exec_lo, exec_lo, s16
	s_mov_b32 s18, 0
	s_mov_b32 s0, 0
                                        ; implicit-def: $vgpr0_vgpr1
                                        ; implicit-def: $vgpr2_vgpr3
	s_and_saveexec_b32 s16, s1
	s_cbranch_execz .LBB6_895
; %bb.264:
	s_mov_b32 s21, -1
	s_mov_b32 s17, s15
	s_mov_b32 s18, s13
	s_mov_b32 s19, exec_lo
	v_cmpx_gt_i32_e64 s14, v14
	s_cbranch_execz .LBB6_535
; %bb.265:
	v_mul_lo_u32 v0, v14, s3
	v_cmp_gt_i16_e32 vcc_lo, 11, v12
	s_delay_alu instid0(VALU_DEP_2) | instskip(SKIP_1) | instid1(VALU_DEP_1)
	v_ashrrev_i32_e32 v1, 31, v0
	v_add_co_u32 v0, s0, s6, v0
	v_add_co_ci_u32_e64 v1, s0, s7, v1, s0
	s_cbranch_vccnz .LBB6_272
; %bb.266:
	v_cmp_lt_i16_e32 vcc_lo, 25, v12
	s_cbranch_vccz .LBB6_293
; %bb.267:
	v_cmp_lt_i16_e32 vcc_lo, 28, v12
	s_cbranch_vccz .LBB6_295
; %bb.268:
	v_cmp_lt_i16_e32 vcc_lo, 43, v12
	s_cbranch_vccz .LBB6_297
; %bb.269:
	v_cmp_lt_i16_e32 vcc_lo, 45, v12
	s_cbranch_vccz .LBB6_301
; %bb.270:
	v_cmp_eq_u16_e32 vcc_lo, 46, v12
	s_mov_b32 s1, 0
	s_cbranch_vccz .LBB6_305
; %bb.271:
	global_load_b32 v2, v[0:1], off
	s_mov_b32 s0, -1
	s_mov_b32 s17, 0
	s_waitcnt vmcnt(0)
	v_lshlrev_b32_e32 v2, 16, v2
	s_delay_alu instid0(VALU_DEP_1)
	v_cvt_f64_f32_e32 v[2:3], v2
	s_branch .LBB6_307
.LBB6_272:
	s_mov_b32 s0, 0
	s_mov_b32 s17, s15
                                        ; implicit-def: $vgpr2_vgpr3
	s_cbranch_execnz .LBB6_484
.LBB6_273:
	s_and_not1_b32 vcc_lo, exec_lo, s0
	s_cbranch_vccnz .LBB6_532
.LBB6_274:
	s_waitcnt vmcnt(0)
	s_delay_alu instid0(VALU_DEP_1) | instskip(SKIP_2) | instid1(VALU_DEP_2)
	v_trunc_f64_e32 v[0:1], v[2:3]
	v_cmp_class_f64_e64 vcc_lo, v[2:3], 0x1f8
	s_mov_b32 s18, exec_lo
	v_ldexp_f64 v[6:7], v[0:1], 0xffffffe0
	s_delay_alu instid0(VALU_DEP_1) | instskip(NEXT) | instid1(VALU_DEP_1)
	v_floor_f64_e32 v[6:7], v[6:7]
	v_fma_f64 v[0:1], 0xc1f00000, v[6:7], v[0:1]
	v_cvt_i32_f64_e32 v6, v[6:7]
	s_delay_alu instid0(VALU_DEP_2) | instskip(NEXT) | instid1(VALU_DEP_1)
	v_cvt_u32_f64_e32 v0, v[0:1]
	v_dual_cndmask_b32 v3, -1, v6 :: v_dual_cndmask_b32 v2, -1, v0
	v_mov_b32_e32 v0, 0
	v_mov_b32_e32 v1, 0
	s_delay_alu instid0(VALU_DEP_3)
	v_cmpx_lt_i64_e32 -1, v[2:3]
	s_cbranch_execz .LBB6_286
; %bb.275:
	v_mov_b32_e32 v0, 0
	v_mov_b32_e32 v1, 0x3ff00000
	s_mov_b32 s20, exec_lo
	v_cmpx_lt_i64_e32 0, v[2:3]
	s_cbranch_execz .LBB6_285
; %bb.276:
                                        ; implicit-def: $vgpr0_vgpr1
	s_mov_b32 s0, exec_lo
	v_cmpx_ne_u64_e32 1, v[2:3]
	s_xor_b32 s21, exec_lo, s0
	s_cbranch_execz .LBB6_282
; %bb.277:
	v_mov_b32_e32 v0, 0
	v_mov_b32_e32 v1, 0x7ff80000
	s_mov_b32 s22, exec_lo
	v_cmpx_gt_u64_e32 0x201, v[2:3]
	s_cbranch_execz .LBB6_281
; %bb.278:
	v_mov_b32_e32 v6, 0
	v_lshlrev_b64 v[2:3], 1, v[2:3]
	v_dual_mov_b32 v7, 0x3ff00000 :: v_dual_mov_b32 v0, v4
	v_mov_b32_e32 v1, v5
	s_mov_b64 s[0:1], 2
	s_mov_b32 s23, 0
.LBB6_279:                              ; =>This Inner Loop Header: Depth=1
	v_cvt_f64_u32_e32 v[8:9], s1
	v_cvt_f64_u32_e32 v[10:11], s0
	s_add_u32 s0, s0, 2
	s_addc_u32 s1, s1, 0
	s_delay_alu instid0(SALU_CYCLE_1) | instskip(SKIP_1) | instid1(VALU_DEP_3)
	v_cmp_ge_u64_e32 vcc_lo, s[0:1], v[2:3]
	s_or_b32 s23, vcc_lo, s23
	v_ldexp_f64 v[8:9], v[8:9], 32
	s_delay_alu instid0(VALU_DEP_1) | instskip(NEXT) | instid1(VALU_DEP_1)
	v_add_f64 v[8:9], v[8:9], v[10:11]
	v_mul_f64 v[6:7], v[6:7], v[8:9]
	v_dual_mov_b32 v9, v1 :: v_dual_mov_b32 v8, v0
	s_delay_alu instid0(VALU_DEP_1)
	v_fma_f64 v[0:1], v[4:5], v[8:9], -v[6:7]
	v_dual_mov_b32 v6, v8 :: v_dual_mov_b32 v7, v9
	s_and_not1_b32 exec_lo, exec_lo, s23
	s_cbranch_execnz .LBB6_279
; %bb.280:
	s_or_b32 exec_lo, exec_lo, s23
.LBB6_281:
	s_delay_alu instid0(SALU_CYCLE_1)
	s_or_b32 exec_lo, exec_lo, s22
.LBB6_282:
	s_and_not1_saveexec_b32 s0, s21
; %bb.283:
	v_dual_mov_b32 v0, v4 :: v_dual_mov_b32 v1, v5
; %bb.284:
	s_or_b32 exec_lo, exec_lo, s0
.LBB6_285:
	s_delay_alu instid0(SALU_CYCLE_1)
	s_or_b32 exec_lo, exec_lo, s20
.LBB6_286:
	s_delay_alu instid0(SALU_CYCLE_1) | instskip(SKIP_2) | instid1(VALU_DEP_1)
	s_or_b32 exec_lo, exec_lo, s18
	v_mul_lo_u32 v2, v14, s2
	v_and_b32_e64 v8, 0xff, s10
	v_cmp_gt_i16_e32 vcc_lo, 11, v8
	s_delay_alu instid0(VALU_DEP_3) | instskip(SKIP_1) | instid1(VALU_DEP_1)
	v_ashrrev_i32_e32 v3, 31, v2
	v_add_co_u32 v6, s0, s4, v2
	v_add_co_ci_u32_e64 v7, s0, s5, v3, s0
	s_cbranch_vccnz .LBB6_294
; %bb.287:
	v_cmp_lt_i16_e32 vcc_lo, 25, v8
	s_cbranch_vccz .LBB6_296
; %bb.288:
	v_cmp_lt_i16_e32 vcc_lo, 28, v8
	s_cbranch_vccz .LBB6_298
	;; [unrolled: 3-line block ×4, first 2 shown]
; %bb.291:
	v_cmp_eq_u16_e32 vcc_lo, 46, v8
	s_mov_b32 s18, 0
	s_mov_b32 s0, -1
	s_mov_b32 s1, 0
	s_cbranch_vccz .LBB6_311
; %bb.292:
	v_cvt_f32_f64_e32 v2, v[0:1]
	s_mov_b32 s1, -1
	s_mov_b32 s0, 0
	s_delay_alu instid0(VALU_DEP_1) | instskip(SKIP_1) | instid1(VALU_DEP_2)
	v_bfe_u32 v3, v2, 16, 1
	v_cmp_o_f32_e32 vcc_lo, v2, v2
	v_add3_u32 v3, v2, v3, 0x7fff
	s_delay_alu instid0(VALU_DEP_1) | instskip(NEXT) | instid1(VALU_DEP_1)
	v_lshrrev_b32_e32 v3, 16, v3
	v_cndmask_b32_e32 v2, 0x7fc0, v3, vcc_lo
	global_store_b32 v[6:7], v2, off
	s_branch .LBB6_311
.LBB6_293:
	s_mov_b32 s1, -1
	s_mov_b32 s0, 0
	s_mov_b32 s17, s15
                                        ; implicit-def: $vgpr2_vgpr3
	s_branch .LBB6_450
.LBB6_294:
	s_mov_b32 s18, -1
	s_mov_b32 s1, 0
	s_mov_b32 s0, s13
	s_branch .LBB6_380
.LBB6_295:
	s_mov_b32 s1, -1
	s_mov_b32 s0, 0
	s_mov_b32 s17, s15
                                        ; implicit-def: $vgpr2_vgpr3
	s_branch .LBB6_429
.LBB6_296:
	s_mov_b32 s18, -1
	s_mov_b32 s1, 0
	s_mov_b32 s0, s13
	s_branch .LBB6_338
.LBB6_297:
	s_mov_b32 s1, -1
	s_mov_b32 s0, 0
	s_mov_b32 s17, s15
                                        ; implicit-def: $vgpr2_vgpr3
	s_branch .LBB6_424
.LBB6_298:
	s_mov_b32 s18, -1
	s_mov_b32 s1, 0
	s_mov_b32 s0, s13
	s_branch .LBB6_321
.LBB6_299:
	s_or_saveexec_b32 s18, s18
                                        ; implicit-def: $sgpr19
	s_delay_alu instid0(SALU_CYCLE_1)
	s_xor_b32 exec_lo, exec_lo, s18
	s_cbranch_execz .LBB6_65
.LBB6_300:
	v_add_f32_e64 v3, 0x46000000, |v2|
	s_and_not1_b32 s13, s13, exec_lo
	s_mov_b32 s19, 0
	s_delay_alu instid0(VALU_DEP_1) | instskip(NEXT) | instid1(VALU_DEP_1)
	v_and_b32_e32 v3, 0xff, v3
	v_cmp_ne_u32_e32 vcc_lo, 0, v3
	s_and_b32 s20, vcc_lo, exec_lo
	s_delay_alu instid0(SALU_CYCLE_1)
	s_or_b32 s13, s13, s20
	s_or_b32 exec_lo, exec_lo, s18
	v_mov_b32_e32 v9, s19
	s_and_saveexec_b32 s18, s13
	s_cbranch_execnz .LBB6_66
	s_branch .LBB6_67
.LBB6_301:
	s_mov_b32 s1, -1
	s_mov_b32 s0, 0
	s_mov_b32 s17, s15
	s_branch .LBB6_306
.LBB6_302:
	s_mov_b32 s18, -1
	s_mov_b32 s1, 0
	s_mov_b32 s0, s13
	s_branch .LBB6_317
.LBB6_303:
	s_or_saveexec_b32 s18, s18
                                        ; implicit-def: $sgpr19
	s_delay_alu instid0(SALU_CYCLE_1)
	s_xor_b32 exec_lo, exec_lo, s18
	s_cbranch_execz .LBB6_78
.LBB6_304:
	v_add_f32_e64 v3, 0x42800000, |v2|
	s_and_not1_b32 s13, s13, exec_lo
	s_mov_b32 s19, 0
	s_delay_alu instid0(VALU_DEP_1) | instskip(NEXT) | instid1(VALU_DEP_1)
	v_and_b32_e32 v3, 0xff, v3
	v_cmp_ne_u32_e32 vcc_lo, 0, v3
	s_and_b32 s20, vcc_lo, exec_lo
	s_delay_alu instid0(SALU_CYCLE_1)
	s_or_b32 s13, s13, s20
	s_or_b32 exec_lo, exec_lo, s18
	v_mov_b32_e32 v9, s19
	s_and_saveexec_b32 s18, s13
	s_cbranch_execnz .LBB6_79
	s_branch .LBB6_80
.LBB6_305:
	s_mov_b32 s17, -1
	s_mov_b32 s0, 0
.LBB6_306:
                                        ; implicit-def: $vgpr2_vgpr3
.LBB6_307:
	s_and_b32 vcc_lo, exec_lo, s1
	s_cbranch_vccz .LBB6_423
; %bb.308:
	v_cmp_eq_u16_e32 vcc_lo, 44, v12
	s_cbranch_vccz .LBB6_422
; %bb.309:
	global_load_u8 v6, v[0:1], off
	s_mov_b32 s17, 0
	s_mov_b32 s0, -1
	s_waitcnt vmcnt(0)
	v_cmp_ne_u32_e32 vcc_lo, 0xff, v6
	v_lshlrev_b32_e32 v2, 23, v6
	s_delay_alu instid0(VALU_DEP_1) | instskip(NEXT) | instid1(VALU_DEP_1)
	v_cvt_f64_f32_e32 v[2:3], v2
	v_cndmask_b32_e32 v3, 0x7ff80000, v3, vcc_lo
	s_delay_alu instid0(VALU_DEP_2) | instskip(SKIP_1) | instid1(VALU_DEP_3)
	v_cndmask_b32_e32 v2, 0x20000000, v2, vcc_lo
	v_cmp_ne_u32_e32 vcc_lo, 0, v6
	v_cndmask_b32_e32 v3, 0x38000000, v3, vcc_lo
	s_delay_alu instid0(VALU_DEP_3)
	v_cndmask_b32_e32 v2, 0, v2, vcc_lo
	s_branch .LBB6_423
.LBB6_310:
	s_mov_b32 s18, -1
	s_mov_b32 s1, 0
	s_mov_b32 s0, s13
.LBB6_311:
	s_and_b32 vcc_lo, exec_lo, s18
	s_cbranch_vccz .LBB6_316
; %bb.312:
	v_cmp_eq_u16_e32 vcc_lo, 44, v8
	s_mov_b32 s0, -1
	s_cbranch_vccz .LBB6_316
; %bb.313:
	v_cvt_f32_f64_e32 v2, v[0:1]
	v_mov_b32_e32 v3, 0xff
	s_mov_b32 s1, exec_lo
	s_delay_alu instid0(VALU_DEP_2) | instskip(NEXT) | instid1(VALU_DEP_1)
	v_bfe_u32 v9, v2, 23, 8
	v_cmpx_ne_u32_e32 0xff, v9
; %bb.314:
	v_and_b32_e32 v3, 0x400000, v2
	v_and_or_b32 v9, 0x3fffff, v2, v9
	v_lshrrev_b32_e32 v2, 23, v2
	s_delay_alu instid0(VALU_DEP_3) | instskip(NEXT) | instid1(VALU_DEP_3)
	v_cmp_ne_u32_e32 vcc_lo, 0, v3
	v_cmp_ne_u32_e64 s0, 0, v9
	s_delay_alu instid0(VALU_DEP_1) | instskip(NEXT) | instid1(SALU_CYCLE_1)
	s_and_b32 s0, vcc_lo, s0
	v_cndmask_b32_e64 v3, 0, 1, s0
	s_delay_alu instid0(VALU_DEP_1)
	v_add_nc_u32_e32 v3, v2, v3
; %bb.315:
	s_or_b32 exec_lo, exec_lo, s1
	s_mov_b32 s1, -1
	s_mov_b32 s0, 0
	global_store_b8 v[6:7], v3, off
.LBB6_316:
	s_mov_b32 s18, 0
.LBB6_317:
	s_delay_alu instid0(SALU_CYCLE_1)
	s_and_b32 vcc_lo, exec_lo, s18
	s_cbranch_vccz .LBB6_320
; %bb.318:
	v_cmp_eq_u16_e32 vcc_lo, 29, v8
	s_mov_b32 s0, -1
	s_cbranch_vccz .LBB6_320
; %bb.319:
	v_trunc_f64_e32 v[2:3], v[0:1]
	s_mov_b32 s1, -1
	s_mov_b32 s0, 0
	s_mov_b32 s18, 0
	s_delay_alu instid0(VALU_DEP_1) | instskip(NEXT) | instid1(VALU_DEP_1)
	v_ldexp_f64 v[9:10], v[2:3], 0xffffffe0
	v_floor_f64_e32 v[9:10], v[9:10]
	s_delay_alu instid0(VALU_DEP_1) | instskip(SKIP_1) | instid1(VALU_DEP_2)
	v_fma_f64 v[2:3], 0xc1f00000, v[9:10], v[2:3]
	v_cvt_u32_f64_e32 v10, v[9:10]
	v_cvt_u32_f64_e32 v9, v[2:3]
	global_store_b64 v[6:7], v[9:10], off
	s_branch .LBB6_321
.LBB6_320:
	s_mov_b32 s18, 0
.LBB6_321:
	s_delay_alu instid0(SALU_CYCLE_1)
	s_and_b32 vcc_lo, exec_lo, s18
	s_cbranch_vccz .LBB6_337
; %bb.322:
	v_cmp_gt_i16_e32 vcc_lo, 27, v8
	s_mov_b32 s1, -1
	s_cbranch_vccnz .LBB6_328
; %bb.323:
	v_cmp_lt_i16_e32 vcc_lo, 27, v8
	s_cbranch_vccz .LBB6_325
; %bb.324:
	v_cvt_u32_f64_e32 v2, v[0:1]
	s_mov_b32 s1, 0
	global_store_b32 v[6:7], v2, off
.LBB6_325:
	s_and_not1_b32 vcc_lo, exec_lo, s1
	s_cbranch_vccnz .LBB6_327
; %bb.326:
	v_cvt_u32_f64_e32 v2, v[0:1]
	global_store_b16 v[6:7], v2, off
.LBB6_327:
	s_mov_b32 s1, 0
.LBB6_328:
	s_delay_alu instid0(SALU_CYCLE_1)
	s_and_not1_b32 vcc_lo, exec_lo, s1
	s_cbranch_vccnz .LBB6_336
; %bb.329:
	v_cvt_f32_f64_e32 v2, v[0:1]
	v_mov_b32_e32 v9, 0x80
	s_mov_b32 s1, exec_lo
	s_delay_alu instid0(VALU_DEP_2) | instskip(NEXT) | instid1(VALU_DEP_1)
	v_and_b32_e32 v3, 0x7fffffff, v2
	v_cmpx_gt_u32_e32 0x43800000, v3
	s_cbranch_execz .LBB6_335
; %bb.330:
	v_cmp_lt_u32_e32 vcc_lo, 0x3bffffff, v3
	s_mov_b32 s18, 0
                                        ; implicit-def: $vgpr3
	s_and_saveexec_b32 s20, vcc_lo
	s_delay_alu instid0(SALU_CYCLE_1)
	s_xor_b32 s20, exec_lo, s20
	s_cbranch_execz .LBB6_548
; %bb.331:
	v_bfe_u32 v3, v2, 20, 1
	s_mov_b32 s18, exec_lo
	s_delay_alu instid0(VALU_DEP_1) | instskip(NEXT) | instid1(VALU_DEP_1)
	v_add3_u32 v3, v2, v3, 0x487ffff
	v_lshrrev_b32_e32 v3, 20, v3
	s_or_saveexec_b32 s20, s20
                                        ; implicit-def: $sgpr21
	s_delay_alu instid0(SALU_CYCLE_1)
	s_xor_b32 exec_lo, exec_lo, s20
	s_cbranch_execnz .LBB6_549
.LBB6_332:
	s_or_b32 exec_lo, exec_lo, s20
	v_mov_b32_e32 v9, s21
	s_and_saveexec_b32 s20, s18
.LBB6_333:
	v_lshrrev_b32_e32 v2, 24, v2
	s_delay_alu instid0(VALU_DEP_1)
	v_and_or_b32 v9, 0x80, v2, v3
.LBB6_334:
	s_or_b32 exec_lo, exec_lo, s20
.LBB6_335:
	s_delay_alu instid0(SALU_CYCLE_1)
	s_or_b32 exec_lo, exec_lo, s1
	global_store_b8 v[6:7], v9, off
.LBB6_336:
	s_mov_b32 s1, -1
.LBB6_337:
	s_mov_b32 s18, 0
.LBB6_338:
	s_delay_alu instid0(SALU_CYCLE_1)
	s_and_b32 vcc_lo, exec_lo, s18
	s_cbranch_vccz .LBB6_379
; %bb.339:
	v_cmp_lt_i16_e32 vcc_lo, 22, v8
	s_mov_b32 s18, -1
	s_cbranch_vccz .LBB6_371
; %bb.340:
	v_cmp_gt_i16_e32 vcc_lo, 24, v8
	s_mov_b32 s1, -1
	s_cbranch_vccnz .LBB6_360
; %bb.341:
	v_cmp_lt_i16_e32 vcc_lo, 24, v8
	s_cbranch_vccz .LBB6_349
; %bb.342:
	v_cvt_f32_f64_e32 v2, v[0:1]
	v_mov_b32_e32 v9, 0x80
	s_mov_b32 s1, exec_lo
	s_delay_alu instid0(VALU_DEP_2) | instskip(NEXT) | instid1(VALU_DEP_1)
	v_and_b32_e32 v3, 0x7fffffff, v2
	v_cmpx_gt_u32_e32 0x47800000, v3
	s_cbranch_execz .LBB6_348
; %bb.343:
	v_cmp_lt_u32_e32 vcc_lo, 0x37ffffff, v3
	s_mov_b32 s18, 0
                                        ; implicit-def: $vgpr3
	s_and_saveexec_b32 s20, vcc_lo
	s_delay_alu instid0(SALU_CYCLE_1)
	s_xor_b32 s20, exec_lo, s20
	s_cbranch_execz .LBB6_551
; %bb.344:
	v_bfe_u32 v3, v2, 21, 1
	s_mov_b32 s18, exec_lo
	s_delay_alu instid0(VALU_DEP_1) | instskip(NEXT) | instid1(VALU_DEP_1)
	v_add3_u32 v3, v2, v3, 0x88fffff
	v_lshrrev_b32_e32 v3, 21, v3
	s_or_saveexec_b32 s20, s20
                                        ; implicit-def: $sgpr21
	s_delay_alu instid0(SALU_CYCLE_1)
	s_xor_b32 exec_lo, exec_lo, s20
	s_cbranch_execnz .LBB6_552
.LBB6_345:
	s_or_b32 exec_lo, exec_lo, s20
	v_mov_b32_e32 v9, s21
	s_and_saveexec_b32 s20, s18
.LBB6_346:
	v_lshrrev_b32_e32 v2, 24, v2
	s_delay_alu instid0(VALU_DEP_1)
	v_and_or_b32 v9, 0x80, v2, v3
.LBB6_347:
	s_or_b32 exec_lo, exec_lo, s20
.LBB6_348:
	s_delay_alu instid0(SALU_CYCLE_1)
	s_or_b32 exec_lo, exec_lo, s1
	s_mov_b32 s1, 0
	global_store_b8 v[6:7], v9, off
.LBB6_349:
	s_and_b32 vcc_lo, exec_lo, s1
	s_cbranch_vccz .LBB6_359
; %bb.350:
	v_cvt_f32_f64_e32 v2, v[0:1]
	s_mov_b32 s1, exec_lo
                                        ; implicit-def: $vgpr3
	s_delay_alu instid0(VALU_DEP_1) | instskip(NEXT) | instid1(VALU_DEP_1)
	v_and_b32_e32 v9, 0x7fffffff, v2
	v_cmpx_gt_u32_e32 0x43f00000, v9
	s_xor_b32 s1, exec_lo, s1
	s_cbranch_execz .LBB6_356
; %bb.351:
	s_mov_b32 s18, exec_lo
                                        ; implicit-def: $vgpr3
	v_cmpx_lt_u32_e32 0x3c7fffff, v9
	s_xor_b32 s18, exec_lo, s18
; %bb.352:
	v_bfe_u32 v3, v2, 20, 1
	s_delay_alu instid0(VALU_DEP_1) | instskip(NEXT) | instid1(VALU_DEP_1)
	v_add3_u32 v3, v2, v3, 0x407ffff
	v_and_b32_e32 v9, 0xff00000, v3
	v_lshrrev_b32_e32 v3, 20, v3
	s_delay_alu instid0(VALU_DEP_2) | instskip(NEXT) | instid1(VALU_DEP_2)
	v_cmp_ne_u32_e32 vcc_lo, 0x7f00000, v9
	v_cndmask_b32_e32 v3, 0x7e, v3, vcc_lo
; %bb.353:
	s_and_not1_saveexec_b32 s18, s18
; %bb.354:
	v_add_f32_e64 v3, 0x46800000, |v2|
; %bb.355:
	s_or_b32 exec_lo, exec_lo, s18
                                        ; implicit-def: $vgpr9
.LBB6_356:
	s_and_not1_saveexec_b32 s1, s1
; %bb.357:
	v_mov_b32_e32 v3, 0x7f
	v_cmp_lt_u32_e32 vcc_lo, 0x7f800000, v9
	s_delay_alu instid0(VALU_DEP_2)
	v_cndmask_b32_e32 v3, 0x7e, v3, vcc_lo
; %bb.358:
	s_or_b32 exec_lo, exec_lo, s1
	v_lshrrev_b32_e32 v2, 24, v2
	s_delay_alu instid0(VALU_DEP_1)
	v_and_or_b32 v2, 0x80, v2, v3
	global_store_b8 v[6:7], v2, off
.LBB6_359:
	s_mov_b32 s1, 0
.LBB6_360:
	s_delay_alu instid0(SALU_CYCLE_1)
	s_and_not1_b32 vcc_lo, exec_lo, s1
	s_cbranch_vccnz .LBB6_370
; %bb.361:
	v_cvt_f32_f64_e32 v2, v[0:1]
	s_mov_b32 s1, exec_lo
                                        ; implicit-def: $vgpr3
	s_delay_alu instid0(VALU_DEP_1) | instskip(NEXT) | instid1(VALU_DEP_1)
	v_and_b32_e32 v9, 0x7fffffff, v2
	v_cmpx_gt_u32_e32 0x47800000, v9
	s_xor_b32 s1, exec_lo, s1
	s_cbranch_execz .LBB6_367
; %bb.362:
	s_mov_b32 s18, exec_lo
                                        ; implicit-def: $vgpr3
	v_cmpx_lt_u32_e32 0x387fffff, v9
	s_xor_b32 s18, exec_lo, s18
; %bb.363:
	v_bfe_u32 v3, v2, 21, 1
	s_delay_alu instid0(VALU_DEP_1) | instskip(NEXT) | instid1(VALU_DEP_1)
	v_add3_u32 v3, v2, v3, 0x80fffff
	v_lshrrev_b32_e32 v3, 21, v3
; %bb.364:
	s_and_not1_saveexec_b32 s18, s18
; %bb.365:
	v_add_f32_e64 v3, 0x43000000, |v2|
; %bb.366:
	s_or_b32 exec_lo, exec_lo, s18
                                        ; implicit-def: $vgpr9
.LBB6_367:
	s_and_not1_saveexec_b32 s1, s1
; %bb.368:
	v_mov_b32_e32 v3, 0x7f
	v_cmp_lt_u32_e32 vcc_lo, 0x7f800000, v9
	s_delay_alu instid0(VALU_DEP_2)
	v_cndmask_b32_e32 v3, 0x7c, v3, vcc_lo
; %bb.369:
	s_or_b32 exec_lo, exec_lo, s1
	v_lshrrev_b32_e32 v2, 24, v2
	s_delay_alu instid0(VALU_DEP_1)
	v_and_or_b32 v2, 0x80, v2, v3
	global_store_b8 v[6:7], v2, off
.LBB6_370:
	s_mov_b32 s18, 0
	s_mov_b32 s1, -1
.LBB6_371:
	s_and_not1_b32 vcc_lo, exec_lo, s18
	s_cbranch_vccnz .LBB6_379
; %bb.372:
	v_cmp_lt_i16_e32 vcc_lo, 14, v8
	s_mov_b32 s18, -1
	s_cbranch_vccz .LBB6_376
; %bb.373:
	v_cmp_eq_u16_e32 vcc_lo, 15, v8
	s_mov_b32 s0, -1
	s_cbranch_vccz .LBB6_375
; %bb.374:
	v_cvt_f32_f64_e32 v2, v[0:1]
	s_mov_b32 s1, -1
	s_mov_b32 s0, 0
	s_delay_alu instid0(VALU_DEP_1) | instskip(SKIP_1) | instid1(VALU_DEP_2)
	v_bfe_u32 v3, v2, 16, 1
	v_cmp_o_f32_e32 vcc_lo, v2, v2
	v_add3_u32 v3, v2, v3, 0x7fff
	s_delay_alu instid0(VALU_DEP_1) | instskip(NEXT) | instid1(VALU_DEP_1)
	v_lshrrev_b32_e32 v3, 16, v3
	v_cndmask_b32_e32 v2, 0x7fc0, v3, vcc_lo
	global_store_b16 v[6:7], v2, off
.LBB6_375:
	s_mov_b32 s18, 0
.LBB6_376:
	s_delay_alu instid0(SALU_CYCLE_1)
	s_and_b32 vcc_lo, exec_lo, s18
	s_cbranch_vccz .LBB6_379
; %bb.377:
	v_cmp_eq_u16_e32 vcc_lo, 11, v8
	s_mov_b32 s0, -1
	s_cbranch_vccz .LBB6_379
; %bb.378:
	v_cmp_neq_f64_e32 vcc_lo, 0, v[0:1]
	s_mov_b32 s1, -1
	s_mov_b32 s0, 0
	v_cndmask_b32_e64 v2, 0, 1, vcc_lo
	global_store_b8 v[6:7], v2, off
.LBB6_379:
	s_mov_b32 s18, 0
.LBB6_380:
	s_delay_alu instid0(SALU_CYCLE_1)
	s_and_b32 vcc_lo, exec_lo, s18
	s_cbranch_vccz .LBB6_419
; %bb.381:
	v_cmp_gt_i16_e32 vcc_lo, 5, v8
	s_mov_b32 s1, -1
	s_cbranch_vccnz .LBB6_402
; %bb.382:
	v_cmp_gt_i16_e32 vcc_lo, 8, v8
	s_cbranch_vccnz .LBB6_392
; %bb.383:
	v_cmp_gt_i16_e32 vcc_lo, 9, v8
	s_cbranch_vccnz .LBB6_389
; %bb.384:
	v_cmp_lt_i16_e32 vcc_lo, 9, v8
	s_cbranch_vccz .LBB6_386
; %bb.385:
	v_mov_b32_e32 v2, 0
	s_mov_b32 s1, 0
	s_delay_alu instid0(VALU_DEP_1)
	v_mov_b32_e32 v3, v2
	global_store_b128 v[6:7], v[0:3], off
.LBB6_386:
	s_and_not1_b32 vcc_lo, exec_lo, s1
	s_cbranch_vccnz .LBB6_388
; %bb.387:
	v_cvt_f32_f64_e32 v2, v[0:1]
	v_mov_b32_e32 v3, 0
	global_store_b64 v[6:7], v[2:3], off
.LBB6_388:
	s_mov_b32 s1, 0
.LBB6_389:
	s_delay_alu instid0(SALU_CYCLE_1)
	s_and_not1_b32 vcc_lo, exec_lo, s1
	s_cbranch_vccnz .LBB6_391
; %bb.390:
	v_cvt_f32_f64_e32 v2, v[0:1]
	s_delay_alu instid0(VALU_DEP_1) | instskip(NEXT) | instid1(VALU_DEP_1)
	v_cvt_f16_f32_e32 v2, v2
	v_and_b32_e32 v2, 0xffff, v2
	global_store_b32 v[6:7], v2, off
.LBB6_391:
	s_mov_b32 s1, 0
.LBB6_392:
	s_delay_alu instid0(SALU_CYCLE_1)
	s_and_not1_b32 vcc_lo, exec_lo, s1
	s_cbranch_vccnz .LBB6_401
; %bb.393:
	v_cmp_gt_i16_e32 vcc_lo, 6, v8
	s_mov_b32 s1, -1
	s_cbranch_vccnz .LBB6_399
; %bb.394:
	v_cmp_lt_i16_e32 vcc_lo, 6, v8
	s_cbranch_vccz .LBB6_396
; %bb.395:
	s_mov_b32 s1, 0
	global_store_b64 v[6:7], v[0:1], off
.LBB6_396:
	s_and_not1_b32 vcc_lo, exec_lo, s1
	s_cbranch_vccnz .LBB6_398
; %bb.397:
	v_cvt_f32_f64_e32 v2, v[0:1]
	global_store_b32 v[6:7], v2, off
.LBB6_398:
	s_mov_b32 s1, 0
.LBB6_399:
	s_delay_alu instid0(SALU_CYCLE_1)
	s_and_not1_b32 vcc_lo, exec_lo, s1
	s_cbranch_vccnz .LBB6_401
; %bb.400:
	v_cvt_f32_f64_e32 v2, v[0:1]
	s_delay_alu instid0(VALU_DEP_1)
	v_cvt_f16_f32_e32 v2, v2
	global_store_b16 v[6:7], v2, off
.LBB6_401:
	s_mov_b32 s1, 0
.LBB6_402:
	s_delay_alu instid0(SALU_CYCLE_1)
	s_and_not1_b32 vcc_lo, exec_lo, s1
	s_cbranch_vccnz .LBB6_418
; %bb.403:
	v_cmp_gt_i16_e32 vcc_lo, 2, v8
	s_mov_b32 s1, -1
	s_cbranch_vccnz .LBB6_413
; %bb.404:
	v_cmp_gt_i16_e32 vcc_lo, 3, v8
	s_cbranch_vccnz .LBB6_410
; %bb.405:
	v_cmp_lt_i16_e32 vcc_lo, 3, v8
	s_cbranch_vccz .LBB6_407
; %bb.406:
	v_trunc_f64_e32 v[2:3], v[0:1]
	s_mov_b32 s1, 0
	s_delay_alu instid0(VALU_DEP_1) | instskip(NEXT) | instid1(VALU_DEP_1)
	v_ldexp_f64 v[9:10], v[2:3], 0xffffffe0
	v_floor_f64_e32 v[9:10], v[9:10]
	s_delay_alu instid0(VALU_DEP_1) | instskip(SKIP_1) | instid1(VALU_DEP_2)
	v_fma_f64 v[2:3], 0xc1f00000, v[9:10], v[2:3]
	v_cvt_i32_f64_e32 v10, v[9:10]
	v_cvt_u32_f64_e32 v9, v[2:3]
	global_store_b64 v[6:7], v[9:10], off
.LBB6_407:
	s_and_not1_b32 vcc_lo, exec_lo, s1
	s_cbranch_vccnz .LBB6_409
; %bb.408:
	v_cvt_i32_f64_e32 v2, v[0:1]
	global_store_b32 v[6:7], v2, off
.LBB6_409:
	s_mov_b32 s1, 0
.LBB6_410:
	s_delay_alu instid0(SALU_CYCLE_1)
	s_and_not1_b32 vcc_lo, exec_lo, s1
	s_cbranch_vccnz .LBB6_412
; %bb.411:
	v_cvt_i32_f64_e32 v2, v[0:1]
	global_store_b16 v[6:7], v2, off
.LBB6_412:
	s_mov_b32 s1, 0
.LBB6_413:
	s_delay_alu instid0(SALU_CYCLE_1)
	s_and_not1_b32 vcc_lo, exec_lo, s1
	s_cbranch_vccnz .LBB6_418
; %bb.414:
	v_cmp_lt_i16_e32 vcc_lo, 0, v8
	s_mov_b32 s1, -1
	s_cbranch_vccz .LBB6_416
; %bb.415:
	v_cvt_i32_f64_e32 v2, v[0:1]
	s_mov_b32 s1, 0
	global_store_b8 v[6:7], v2, off
.LBB6_416:
	s_and_not1_b32 vcc_lo, exec_lo, s1
	s_cbranch_vccnz .LBB6_418
; %bb.417:
	v_trunc_f64_e32 v[0:1], v[0:1]
	s_delay_alu instid0(VALU_DEP_1) | instskip(NEXT) | instid1(VALU_DEP_1)
	v_ldexp_f64 v[2:3], v[0:1], 0xffffffe0
	v_floor_f64_e32 v[2:3], v[2:3]
	s_delay_alu instid0(VALU_DEP_1) | instskip(NEXT) | instid1(VALU_DEP_1)
	v_fma_f64 v[0:1], 0xc1f00000, v[2:3], v[0:1]
	v_cvt_u32_f64_e32 v0, v[0:1]
	global_store_b8 v[6:7], v0, off
.LBB6_418:
	s_mov_b32 s1, -1
.LBB6_419:
	s_delay_alu instid0(SALU_CYCLE_1)
	s_and_not1_b32 vcc_lo, exec_lo, s1
	s_cbranch_vccnz .LBB6_421
; %bb.420:
	v_add_nc_u32_e32 v14, 0x80, v14
	s_mov_b32 s1, -1
	s_branch .LBB6_534
.LBB6_421:
	s_mov_b32 s1, 0
	s_branch .LBB6_533
.LBB6_422:
	s_mov_b32 s17, -1
                                        ; implicit-def: $vgpr2_vgpr3
.LBB6_423:
	s_mov_b32 s1, 0
.LBB6_424:
	s_delay_alu instid0(SALU_CYCLE_1)
	s_and_b32 vcc_lo, exec_lo, s1
	s_cbranch_vccz .LBB6_428
; %bb.425:
	v_cmp_eq_u16_e32 vcc_lo, 29, v12
	s_cbranch_vccz .LBB6_427
; %bb.426:
	global_load_b64 v[2:3], v[0:1], off
	s_mov_b32 s0, -1
	s_mov_b32 s17, 0
	s_mov_b32 s1, 0
	s_waitcnt vmcnt(0)
	v_cvt_f64_u32_e32 v[6:7], v3
	v_cvt_f64_u32_e32 v[2:3], v2
	s_delay_alu instid0(VALU_DEP_2) | instskip(NEXT) | instid1(VALU_DEP_1)
	v_ldexp_f64 v[6:7], v[6:7], 32
	v_add_f64 v[2:3], v[6:7], v[2:3]
	s_branch .LBB6_429
.LBB6_427:
	s_mov_b32 s17, -1
                                        ; implicit-def: $vgpr2_vgpr3
.LBB6_428:
	s_mov_b32 s1, 0
.LBB6_429:
	s_delay_alu instid0(SALU_CYCLE_1)
	s_and_b32 vcc_lo, exec_lo, s1
	s_cbranch_vccz .LBB6_449
; %bb.430:
	v_cmp_gt_i16_e32 vcc_lo, 27, v12
	s_cbranch_vccnz .LBB6_433
; %bb.431:
	v_cmp_lt_i16_e32 vcc_lo, 27, v12
	s_cbranch_vccz .LBB6_434
; %bb.432:
	global_load_b32 v2, v[0:1], off
	s_mov_b32 s0, 0
	s_waitcnt vmcnt(0)
	v_cvt_f64_u32_e32 v[2:3], v2
	s_branch .LBB6_435
.LBB6_433:
	s_mov_b32 s0, -1
                                        ; implicit-def: $vgpr2_vgpr3
	s_branch .LBB6_438
.LBB6_434:
	s_mov_b32 s0, -1
                                        ; implicit-def: $vgpr2_vgpr3
.LBB6_435:
	s_delay_alu instid0(SALU_CYCLE_1)
	s_and_not1_b32 vcc_lo, exec_lo, s0
	s_cbranch_vccnz .LBB6_437
; %bb.436:
	global_load_u16 v2, v[0:1], off
	s_waitcnt vmcnt(0)
	v_cvt_f64_u32_e32 v[2:3], v2
.LBB6_437:
	s_mov_b32 s0, 0
.LBB6_438:
	s_delay_alu instid0(SALU_CYCLE_1)
	s_and_not1_b32 vcc_lo, exec_lo, s0
	s_cbranch_vccnz .LBB6_448
; %bb.439:
	global_load_u8 v6, v[0:1], off
	s_mov_b32 s18, 0
	s_mov_b32 s20, exec_lo
                                        ; implicit-def: $sgpr0_sgpr1
	s_waitcnt vmcnt(0)
	v_cmpx_lt_i16_e32 0x7f, v6
	s_xor_b32 s20, exec_lo, s20
	s_cbranch_execz .LBB6_443
; %bb.440:
	s_mov_b32 s18, exec_lo
                                        ; implicit-def: $sgpr0_sgpr1
	v_cmpx_eq_u16_e32 0x80, v6
; %bb.441:
	s_mov_b32 s1, 0x7ff80000
	s_brev_b32 s0, 4
	s_xor_b32 s21, exec_lo, -1
; %bb.442:
	s_or_b32 exec_lo, exec_lo, s18
	s_delay_alu instid0(SALU_CYCLE_1)
	s_and_b32 s18, s21, exec_lo
.LBB6_443:
	s_or_saveexec_b32 s20, s20
	v_dual_mov_b32 v3, s1 :: v_dual_mov_b32 v2, s0
	s_xor_b32 exec_lo, exec_lo, s20
; %bb.444:
	v_cmp_ne_u16_e32 vcc_lo, 0, v6
	v_mov_b32_e32 v2, 0
	v_mov_b32_e32 v3, 0
	s_and_not1_b32 s0, s18, exec_lo
	s_and_b32 s1, vcc_lo, exec_lo
	s_delay_alu instid0(SALU_CYCLE_1)
	s_or_b32 s18, s0, s1
; %bb.445:
	s_or_b32 exec_lo, exec_lo, s20
	s_and_saveexec_b32 s0, s18
	s_cbranch_execz .LBB6_447
; %bb.446:
	v_and_b32_e32 v2, 0xffff, v6
	v_lshlrev_b32_e32 v6, 24, v6
	s_delay_alu instid0(VALU_DEP_2) | instskip(NEXT) | instid1(VALU_DEP_2)
	v_and_b32_e32 v3, 7, v2
	v_and_b32_e32 v6, 0x80000000, v6
	s_delay_alu instid0(VALU_DEP_2) | instskip(NEXT) | instid1(VALU_DEP_1)
	v_clz_i32_u32_e32 v7, v3
	v_min_u32_e32 v7, 32, v7
	s_delay_alu instid0(VALU_DEP_1) | instskip(SKIP_1) | instid1(VALU_DEP_2)
	v_subrev_nc_u32_e32 v8, 28, v7
	v_sub_nc_u32_e32 v7, 29, v7
	v_lshlrev_b32_e32 v8, v8, v2
	v_bfe_u32 v2, v2, 3, 4
	s_delay_alu instid0(VALU_DEP_2) | instskip(NEXT) | instid1(VALU_DEP_2)
	v_and_b32_e32 v8, 7, v8
	v_cmp_eq_u32_e32 vcc_lo, 0, v2
	s_delay_alu instid0(VALU_DEP_2) | instskip(NEXT) | instid1(VALU_DEP_1)
	v_dual_cndmask_b32 v2, v2, v7 :: v_dual_cndmask_b32 v3, v3, v8
	v_lshl_add_u32 v2, v2, 23, 0x3b800000
	s_delay_alu instid0(VALU_DEP_2) | instskip(NEXT) | instid1(VALU_DEP_1)
	v_lshlrev_b32_e32 v3, 20, v3
	v_or3_b32 v2, v6, v2, v3
	s_delay_alu instid0(VALU_DEP_1)
	v_cvt_f64_f32_e32 v[2:3], v2
.LBB6_447:
	s_or_b32 exec_lo, exec_lo, s0
.LBB6_448:
	s_mov_b32 s0, -1
.LBB6_449:
	s_mov_b32 s1, 0
.LBB6_450:
	s_delay_alu instid0(SALU_CYCLE_1)
	s_and_b32 vcc_lo, exec_lo, s1
	s_cbranch_vccz .LBB6_483
; %bb.451:
	v_cmp_lt_i16_e32 vcc_lo, 22, v12
	s_cbranch_vccz .LBB6_463
; %bb.452:
	v_cmp_gt_i16_e32 vcc_lo, 24, v12
	s_cbranch_vccnz .LBB6_464
; %bb.453:
	v_cmp_lt_i16_e32 vcc_lo, 24, v12
	s_cbranch_vccz .LBB6_465
; %bb.454:
	global_load_u8 v6, v[0:1], off
	s_mov_b32 s18, 0
	s_mov_b32 s20, exec_lo
                                        ; implicit-def: $sgpr0_sgpr1
	s_waitcnt vmcnt(0)
	v_cmpx_lt_i16_e32 0x7f, v6
	s_xor_b32 s20, exec_lo, s20
	s_cbranch_execz .LBB6_458
; %bb.455:
	s_mov_b32 s21, -1
	s_mov_b32 s18, exec_lo
                                        ; implicit-def: $sgpr0_sgpr1
	v_cmpx_eq_u16_e32 0x80, v6
; %bb.456:
	s_mov_b32 s1, 0x7ff80000
	s_brev_b32 s0, 4
	s_xor_b32 s21, exec_lo, -1
; %bb.457:
	s_or_b32 exec_lo, exec_lo, s18
	s_delay_alu instid0(SALU_CYCLE_1)
	s_and_b32 s18, s21, exec_lo
.LBB6_458:
	s_or_saveexec_b32 s20, s20
	v_dual_mov_b32 v3, s1 :: v_dual_mov_b32 v2, s0
	s_xor_b32 exec_lo, exec_lo, s20
; %bb.459:
	v_cmp_ne_u16_e32 vcc_lo, 0, v6
	v_mov_b32_e32 v2, 0
	v_mov_b32_e32 v3, 0
	s_and_not1_b32 s0, s18, exec_lo
	s_and_b32 s1, vcc_lo, exec_lo
	s_delay_alu instid0(SALU_CYCLE_1)
	s_or_b32 s18, s0, s1
; %bb.460:
	s_or_b32 exec_lo, exec_lo, s20
	s_and_saveexec_b32 s0, s18
	s_cbranch_execz .LBB6_462
; %bb.461:
	v_and_b32_e32 v2, 0xffff, v6
	v_lshlrev_b32_e32 v6, 24, v6
	s_delay_alu instid0(VALU_DEP_2) | instskip(NEXT) | instid1(VALU_DEP_2)
	v_and_b32_e32 v3, 3, v2
	v_and_b32_e32 v6, 0x80000000, v6
	s_delay_alu instid0(VALU_DEP_2) | instskip(NEXT) | instid1(VALU_DEP_1)
	v_clz_i32_u32_e32 v7, v3
	v_min_u32_e32 v7, 32, v7
	s_delay_alu instid0(VALU_DEP_1) | instskip(SKIP_1) | instid1(VALU_DEP_2)
	v_subrev_nc_u32_e32 v8, 29, v7
	v_sub_nc_u32_e32 v7, 30, v7
	v_lshlrev_b32_e32 v8, v8, v2
	v_bfe_u32 v2, v2, 2, 5
	s_delay_alu instid0(VALU_DEP_2) | instskip(NEXT) | instid1(VALU_DEP_2)
	v_and_b32_e32 v8, 3, v8
	v_cmp_eq_u32_e32 vcc_lo, 0, v2
	s_delay_alu instid0(VALU_DEP_2) | instskip(NEXT) | instid1(VALU_DEP_1)
	v_dual_cndmask_b32 v2, v2, v7 :: v_dual_cndmask_b32 v3, v3, v8
	v_lshl_add_u32 v2, v2, 23, 0x37800000
	s_delay_alu instid0(VALU_DEP_2) | instskip(NEXT) | instid1(VALU_DEP_1)
	v_lshlrev_b32_e32 v3, 21, v3
	v_or3_b32 v2, v6, v2, v3
	s_delay_alu instid0(VALU_DEP_1)
	v_cvt_f64_f32_e32 v[2:3], v2
.LBB6_462:
	s_or_b32 exec_lo, exec_lo, s0
	s_mov_b32 s0, 0
	s_branch .LBB6_466
.LBB6_463:
	s_mov_b32 s1, -1
                                        ; implicit-def: $vgpr2_vgpr3
	s_branch .LBB6_472
.LBB6_464:
	s_mov_b32 s0, -1
                                        ; implicit-def: $vgpr2_vgpr3
	s_branch .LBB6_469
.LBB6_465:
	s_mov_b32 s0, -1
                                        ; implicit-def: $vgpr2_vgpr3
.LBB6_466:
	s_delay_alu instid0(SALU_CYCLE_1)
	s_and_b32 vcc_lo, exec_lo, s0
	s_cbranch_vccz .LBB6_468
; %bb.467:
	global_load_u8 v2, v[0:1], off
	s_waitcnt vmcnt(0)
	v_lshlrev_b32_e32 v2, 24, v2
	s_delay_alu instid0(VALU_DEP_1) | instskip(NEXT) | instid1(VALU_DEP_1)
	v_and_b32_e32 v3, 0x7f000000, v2
	v_clz_i32_u32_e32 v6, v3
	v_cmp_ne_u32_e32 vcc_lo, 0, v3
	v_add_nc_u32_e32 v8, 0x1000000, v3
	s_delay_alu instid0(VALU_DEP_3) | instskip(NEXT) | instid1(VALU_DEP_1)
	v_min_u32_e32 v6, 32, v6
	v_sub_nc_u32_e64 v6, v6, 4 clamp
	s_delay_alu instid0(VALU_DEP_1) | instskip(SKIP_1) | instid1(VALU_DEP_2)
	v_lshlrev_b32_e32 v7, v6, v3
	v_lshlrev_b32_e32 v6, 23, v6
	v_lshrrev_b32_e32 v7, 4, v7
	s_delay_alu instid0(VALU_DEP_1) | instskip(SKIP_1) | instid1(VALU_DEP_2)
	v_sub_nc_u32_e32 v6, v7, v6
	v_ashrrev_i32_e32 v7, 8, v8
	v_add_nc_u32_e32 v6, 0x3c000000, v6
	s_delay_alu instid0(VALU_DEP_1) | instskip(NEXT) | instid1(VALU_DEP_1)
	v_and_or_b32 v6, 0x7f800000, v7, v6
	v_cndmask_b32_e32 v3, 0, v6, vcc_lo
	s_delay_alu instid0(VALU_DEP_1) | instskip(NEXT) | instid1(VALU_DEP_1)
	v_and_or_b32 v2, 0x80000000, v2, v3
	v_cvt_f64_f32_e32 v[2:3], v2
.LBB6_468:
	s_mov_b32 s0, 0
.LBB6_469:
	s_delay_alu instid0(SALU_CYCLE_1)
	s_and_not1_b32 vcc_lo, exec_lo, s0
	s_cbranch_vccnz .LBB6_471
; %bb.470:
	global_load_u8 v2, v[0:1], off
	s_waitcnt vmcnt(0)
	v_lshlrev_b32_e32 v3, 25, v2
	v_lshlrev_b16 v2, 8, v2
	s_delay_alu instid0(VALU_DEP_2) | instskip(NEXT) | instid1(VALU_DEP_2)
	v_lshrrev_b32_e32 v6, 4, v3
	v_and_or_b32 v7, 0x7f00, v2, 0.5
	v_cmp_gt_u32_e32 vcc_lo, 0x8000000, v3
	v_bfe_i32 v2, v2, 0, 16
	s_delay_alu instid0(VALU_DEP_4) | instskip(NEXT) | instid1(VALU_DEP_1)
	v_or_b32_e32 v6, 0x70000000, v6
	v_dual_add_f32 v7, -0.5, v7 :: v_dual_mul_f32 v6, 0x7800000, v6
	s_delay_alu instid0(VALU_DEP_1) | instskip(NEXT) | instid1(VALU_DEP_1)
	v_cndmask_b32_e32 v3, v6, v7, vcc_lo
	v_and_or_b32 v2, 0x80000000, v2, v3
	s_delay_alu instid0(VALU_DEP_1)
	v_cvt_f64_f32_e32 v[2:3], v2
.LBB6_471:
	s_mov_b32 s1, 0
	s_mov_b32 s0, -1
.LBB6_472:
	s_and_not1_b32 vcc_lo, exec_lo, s1
	s_cbranch_vccnz .LBB6_483
; %bb.473:
	v_cmp_lt_i16_e32 vcc_lo, 14, v12
	s_cbranch_vccz .LBB6_476
; %bb.474:
	v_cmp_eq_u16_e32 vcc_lo, 15, v12
	s_cbranch_vccz .LBB6_477
; %bb.475:
	global_load_u16 v2, v[0:1], off
	s_mov_b32 s0, -1
	s_mov_b32 s17, 0
	s_waitcnt vmcnt(0)
	v_lshlrev_b32_e32 v2, 16, v2
	s_delay_alu instid0(VALU_DEP_1)
	v_cvt_f64_f32_e32 v[2:3], v2
	s_branch .LBB6_478
.LBB6_476:
	s_mov_b32 s1, -1
                                        ; implicit-def: $vgpr2_vgpr3
	s_branch .LBB6_479
.LBB6_477:
	s_mov_b32 s17, -1
                                        ; implicit-def: $vgpr2_vgpr3
.LBB6_478:
	s_mov_b32 s1, 0
.LBB6_479:
	s_delay_alu instid0(SALU_CYCLE_1)
	s_and_b32 vcc_lo, exec_lo, s1
	s_cbranch_vccz .LBB6_483
; %bb.480:
	v_cmp_eq_u16_e32 vcc_lo, 11, v12
	s_cbranch_vccz .LBB6_482
; %bb.481:
	global_load_u8 v2, v[0:1], off
	s_mov_b32 s17, 0
	s_mov_b32 s0, -1
	s_waitcnt vmcnt(0)
	v_cmp_ne_u16_e32 vcc_lo, 0, v2
	v_mov_b32_e32 v2, 0
	v_cndmask_b32_e64 v3, 0, 0x3ff00000, vcc_lo
	s_branch .LBB6_483
.LBB6_482:
	s_mov_b32 s17, -1
                                        ; implicit-def: $vgpr2_vgpr3
.LBB6_483:
	s_branch .LBB6_273
.LBB6_484:
	v_cmp_gt_i16_e32 vcc_lo, 5, v12
	s_cbranch_vccnz .LBB6_489
; %bb.485:
	v_cmp_gt_i16_e32 vcc_lo, 8, v12
	s_cbranch_vccnz .LBB6_490
; %bb.486:
	;; [unrolled: 3-line block ×3, first 2 shown]
	v_cmp_lt_i16_e32 vcc_lo, 9, v12
	s_cbranch_vccz .LBB6_492
; %bb.488:
	global_load_b64 v[2:3], v[0:1], off
	s_mov_b32 s0, 0
	s_branch .LBB6_493
.LBB6_489:
	s_mov_b32 s0, -1
                                        ; implicit-def: $vgpr2_vgpr3
	s_branch .LBB6_511
.LBB6_490:
	s_mov_b32 s0, -1
                                        ; implicit-def: $vgpr2_vgpr3
	s_branch .LBB6_499
.LBB6_491:
	s_mov_b32 s0, -1
                                        ; implicit-def: $vgpr2_vgpr3
	s_branch .LBB6_496
.LBB6_492:
	s_mov_b32 s0, -1
                                        ; implicit-def: $vgpr2_vgpr3
.LBB6_493:
	s_delay_alu instid0(SALU_CYCLE_1)
	s_and_not1_b32 vcc_lo, exec_lo, s0
	s_cbranch_vccnz .LBB6_495
; %bb.494:
	global_load_b32 v2, v[0:1], off
	s_waitcnt vmcnt(0)
	v_cvt_f64_f32_e32 v[2:3], v2
.LBB6_495:
	s_mov_b32 s0, 0
.LBB6_496:
	s_delay_alu instid0(SALU_CYCLE_1)
	s_and_not1_b32 vcc_lo, exec_lo, s0
	s_cbranch_vccnz .LBB6_498
; %bb.497:
	global_load_b32 v2, v[0:1], off
	s_waitcnt vmcnt(0)
	v_cvt_f32_f16_e32 v2, v2
	s_delay_alu instid0(VALU_DEP_1)
	v_cvt_f64_f32_e32 v[2:3], v2
.LBB6_498:
	s_mov_b32 s0, 0
.LBB6_499:
	s_delay_alu instid0(SALU_CYCLE_1)
	s_and_not1_b32 vcc_lo, exec_lo, s0
	s_cbranch_vccnz .LBB6_510
; %bb.500:
	v_cmp_gt_i16_e32 vcc_lo, 6, v12
	s_cbranch_vccnz .LBB6_503
; %bb.501:
	v_cmp_lt_i16_e32 vcc_lo, 6, v12
	s_cbranch_vccz .LBB6_504
; %bb.502:
	global_load_b64 v[2:3], v[0:1], off
	s_mov_b32 s0, 0
	s_branch .LBB6_505
.LBB6_503:
	s_mov_b32 s0, -1
                                        ; implicit-def: $vgpr2_vgpr3
	s_branch .LBB6_508
.LBB6_504:
	s_mov_b32 s0, -1
                                        ; implicit-def: $vgpr2_vgpr3
.LBB6_505:
	s_delay_alu instid0(SALU_CYCLE_1)
	s_and_not1_b32 vcc_lo, exec_lo, s0
	s_cbranch_vccnz .LBB6_507
; %bb.506:
	global_load_b32 v2, v[0:1], off
	s_waitcnt vmcnt(0)
	v_cvt_f64_f32_e32 v[2:3], v2
.LBB6_507:
	s_mov_b32 s0, 0
.LBB6_508:
	s_delay_alu instid0(SALU_CYCLE_1)
	s_and_not1_b32 vcc_lo, exec_lo, s0
	s_cbranch_vccnz .LBB6_510
; %bb.509:
	global_load_u16 v2, v[0:1], off
	s_waitcnt vmcnt(0)
	v_cvt_f32_f16_e32 v2, v2
	s_delay_alu instid0(VALU_DEP_1)
	v_cvt_f64_f32_e32 v[2:3], v2
.LBB6_510:
	s_mov_b32 s0, 0
.LBB6_511:
	s_delay_alu instid0(SALU_CYCLE_1)
	s_and_not1_b32 vcc_lo, exec_lo, s0
	s_cbranch_vccnz .LBB6_531
; %bb.512:
	v_cmp_gt_i16_e32 vcc_lo, 2, v12
	s_cbranch_vccnz .LBB6_516
; %bb.513:
	v_cmp_gt_i16_e32 vcc_lo, 3, v12
	s_cbranch_vccnz .LBB6_517
; %bb.514:
	v_cmp_lt_i16_e32 vcc_lo, 3, v12
	s_cbranch_vccz .LBB6_518
; %bb.515:
	global_load_b64 v[2:3], v[0:1], off
	s_mov_b32 s0, 0
	s_waitcnt vmcnt(0)
	v_cvt_f64_i32_e32 v[6:7], v3
	v_cvt_f64_u32_e32 v[2:3], v2
	s_delay_alu instid0(VALU_DEP_2) | instskip(NEXT) | instid1(VALU_DEP_1)
	v_ldexp_f64 v[6:7], v[6:7], 32
	v_add_f64 v[2:3], v[6:7], v[2:3]
	s_branch .LBB6_519
.LBB6_516:
	s_mov_b32 s0, -1
                                        ; implicit-def: $vgpr2_vgpr3
	s_branch .LBB6_525
.LBB6_517:
	s_mov_b32 s0, -1
                                        ; implicit-def: $vgpr2_vgpr3
	s_branch .LBB6_522
.LBB6_518:
	s_mov_b32 s0, -1
                                        ; implicit-def: $vgpr2_vgpr3
.LBB6_519:
	s_delay_alu instid0(SALU_CYCLE_1)
	s_and_not1_b32 vcc_lo, exec_lo, s0
	s_cbranch_vccnz .LBB6_521
; %bb.520:
	global_load_b32 v2, v[0:1], off
	s_waitcnt vmcnt(0)
	v_cvt_f64_i32_e32 v[2:3], v2
.LBB6_521:
	s_mov_b32 s0, 0
.LBB6_522:
	s_delay_alu instid0(SALU_CYCLE_1)
	s_and_not1_b32 vcc_lo, exec_lo, s0
	s_cbranch_vccnz .LBB6_524
; %bb.523:
	global_load_i16 v2, v[0:1], off
	s_waitcnt vmcnt(0)
	v_cvt_f64_i32_e32 v[2:3], v2
.LBB6_524:
	s_mov_b32 s0, 0
.LBB6_525:
	s_delay_alu instid0(SALU_CYCLE_1)
	s_and_not1_b32 vcc_lo, exec_lo, s0
	s_cbranch_vccnz .LBB6_531
; %bb.526:
	v_cmp_lt_i16_e32 vcc_lo, 0, v12
	s_mov_b32 s0, 0
	s_cbranch_vccz .LBB6_528
; %bb.527:
	global_load_i8 v2, v[0:1], off
	s_waitcnt vmcnt(0)
	v_cvt_f64_i32_e32 v[2:3], v2
	s_branch .LBB6_529
.LBB6_528:
	s_mov_b32 s0, -1
                                        ; implicit-def: $vgpr2_vgpr3
.LBB6_529:
	s_delay_alu instid0(SALU_CYCLE_1)
	s_and_not1_b32 vcc_lo, exec_lo, s0
	s_cbranch_vccnz .LBB6_531
; %bb.530:
	global_load_u8 v0, v[0:1], off
	s_waitcnt vmcnt(0)
	v_cvt_f64_u32_e32 v[2:3], v0
.LBB6_531:
	s_branch .LBB6_274
.LBB6_532:
	s_mov_b32 s1, 0
	s_mov_b32 s0, s13
.LBB6_533:
                                        ; implicit-def: $vgpr14
.LBB6_534:
	s_and_not1_b32 s18, s13, exec_lo
	s_and_b32 s0, s0, exec_lo
	s_and_not1_b32 s20, s15, exec_lo
	s_and_b32 s17, s17, exec_lo
	s_or_b32 s18, s18, s0
	s_or_b32 s17, s20, s17
	s_or_not1_b32 s21, s1, exec_lo
.LBB6_535:
	s_or_b32 exec_lo, exec_lo, s19
	s_mov_b32 s1, 0
	s_mov_b32 s20, 0
	;; [unrolled: 1-line block ×3, first 2 shown]
                                        ; implicit-def: $vgpr0_vgpr1
                                        ; implicit-def: $vgpr2_vgpr3
	s_and_saveexec_b32 s19, s21
	s_cbranch_execz .LBB6_894
; %bb.536:
	s_mov_b32 s0, -1
	s_mov_b32 s21, s17
	s_mov_b32 s22, s18
	s_mov_b32 s20, exec_lo
	v_cmpx_gt_i32_e64 s14, v14
	s_cbranch_execz .LBB6_808
; %bb.537:
	v_mul_lo_u32 v0, v14, s3
	v_cmp_gt_i16_e32 vcc_lo, 11, v12
	s_delay_alu instid0(VALU_DEP_2) | instskip(SKIP_1) | instid1(VALU_DEP_1)
	v_ashrrev_i32_e32 v1, 31, v0
	v_add_co_u32 v0, s0, s6, v0
	v_add_co_ci_u32_e64 v1, s0, s7, v1, s0
	s_cbranch_vccnz .LBB6_544
; %bb.538:
	v_cmp_lt_i16_e32 vcc_lo, 25, v12
	s_cbranch_vccz .LBB6_545
; %bb.539:
	v_cmp_lt_i16_e32 vcc_lo, 28, v12
	s_cbranch_vccz .LBB6_546
	;; [unrolled: 3-line block ×4, first 2 shown]
; %bb.542:
	v_cmp_eq_u16_e32 vcc_lo, 46, v12
	s_cbranch_vccz .LBB6_553
; %bb.543:
	global_load_b32 v2, v[0:1], off
	s_mov_b32 s0, -1
	s_mov_b32 s21, 0
	s_waitcnt vmcnt(0)
	v_lshlrev_b32_e32 v2, 16, v2
	s_delay_alu instid0(VALU_DEP_1)
	v_cvt_f64_f32_e32 v[2:3], v2
	s_branch .LBB6_555
.LBB6_544:
	s_mov_b32 s1, -1
	s_mov_b32 s0, 0
	s_mov_b32 s21, s17
                                        ; implicit-def: $vgpr2_vgpr3
	s_branch .LBB6_620
.LBB6_545:
	s_mov_b32 s1, -1
	s_mov_b32 s0, 0
	s_mov_b32 s21, s17
                                        ; implicit-def: $vgpr2_vgpr3
	s_branch .LBB6_586
.LBB6_546:
	s_mov_b32 s1, -1
	s_mov_b32 s0, 0
	s_mov_b32 s21, s17
                                        ; implicit-def: $vgpr2_vgpr3
	s_branch .LBB6_565
.LBB6_547:
	s_mov_b32 s1, -1
	s_mov_b32 s0, 0
	s_mov_b32 s21, s17
                                        ; implicit-def: $vgpr2_vgpr3
	s_branch .LBB6_560
.LBB6_548:
	s_or_saveexec_b32 s20, s20
                                        ; implicit-def: $sgpr21
	s_delay_alu instid0(SALU_CYCLE_1)
	s_xor_b32 exec_lo, exec_lo, s20
	s_cbranch_execz .LBB6_332
.LBB6_549:
	v_add_f32_e64 v3, 0x46000000, |v2|
	s_and_not1_b32 s18, s18, exec_lo
	s_mov_b32 s21, 0
	s_delay_alu instid0(VALU_DEP_1) | instskip(NEXT) | instid1(VALU_DEP_1)
	v_and_b32_e32 v3, 0xff, v3
	v_cmp_ne_u32_e32 vcc_lo, 0, v3
	s_and_b32 s22, vcc_lo, exec_lo
	s_delay_alu instid0(SALU_CYCLE_1)
	s_or_b32 s18, s18, s22
	s_or_b32 exec_lo, exec_lo, s20
	v_mov_b32_e32 v9, s21
	s_and_saveexec_b32 s20, s18
	s_cbranch_execnz .LBB6_333
	s_branch .LBB6_334
.LBB6_550:
	s_mov_b32 s1, -1
	s_mov_b32 s0, 0
	s_mov_b32 s21, s17
	s_branch .LBB6_554
.LBB6_551:
	s_or_saveexec_b32 s20, s20
                                        ; implicit-def: $sgpr21
	s_delay_alu instid0(SALU_CYCLE_1)
	s_xor_b32 exec_lo, exec_lo, s20
	s_cbranch_execz .LBB6_345
.LBB6_552:
	v_add_f32_e64 v3, 0x42800000, |v2|
	s_and_not1_b32 s18, s18, exec_lo
	s_mov_b32 s21, 0
	s_delay_alu instid0(VALU_DEP_1) | instskip(NEXT) | instid1(VALU_DEP_1)
	v_and_b32_e32 v3, 0xff, v3
	v_cmp_ne_u32_e32 vcc_lo, 0, v3
	s_and_b32 s22, vcc_lo, exec_lo
	s_delay_alu instid0(SALU_CYCLE_1)
	s_or_b32 s18, s18, s22
	s_or_b32 exec_lo, exec_lo, s20
	v_mov_b32_e32 v9, s21
	s_and_saveexec_b32 s20, s18
	s_cbranch_execnz .LBB6_346
	s_branch .LBB6_347
.LBB6_553:
	s_mov_b32 s21, -1
	s_mov_b32 s0, 0
.LBB6_554:
                                        ; implicit-def: $vgpr2_vgpr3
.LBB6_555:
	s_and_b32 vcc_lo, exec_lo, s1
	s_cbranch_vccz .LBB6_559
; %bb.556:
	v_cmp_eq_u16_e32 vcc_lo, 44, v12
	s_cbranch_vccz .LBB6_558
; %bb.557:
	global_load_u8 v6, v[0:1], off
	s_mov_b32 s21, 0
	s_mov_b32 s0, -1
	s_waitcnt vmcnt(0)
	v_cmp_ne_u32_e32 vcc_lo, 0xff, v6
	v_lshlrev_b32_e32 v2, 23, v6
	s_delay_alu instid0(VALU_DEP_1) | instskip(NEXT) | instid1(VALU_DEP_1)
	v_cvt_f64_f32_e32 v[2:3], v2
	v_cndmask_b32_e32 v3, 0x7ff80000, v3, vcc_lo
	s_delay_alu instid0(VALU_DEP_2) | instskip(SKIP_1) | instid1(VALU_DEP_3)
	v_cndmask_b32_e32 v2, 0x20000000, v2, vcc_lo
	v_cmp_ne_u32_e32 vcc_lo, 0, v6
	v_cndmask_b32_e32 v3, 0x38000000, v3, vcc_lo
	s_delay_alu instid0(VALU_DEP_3)
	v_cndmask_b32_e32 v2, 0, v2, vcc_lo
	s_branch .LBB6_559
.LBB6_558:
	s_mov_b32 s21, -1
                                        ; implicit-def: $vgpr2_vgpr3
.LBB6_559:
	s_mov_b32 s1, 0
.LBB6_560:
	s_delay_alu instid0(SALU_CYCLE_1)
	s_and_b32 vcc_lo, exec_lo, s1
	s_cbranch_vccz .LBB6_564
; %bb.561:
	v_cmp_eq_u16_e32 vcc_lo, 29, v12
	s_cbranch_vccz .LBB6_563
; %bb.562:
	global_load_b64 v[2:3], v[0:1], off
	s_mov_b32 s0, -1
	s_mov_b32 s21, 0
	s_mov_b32 s1, 0
	s_waitcnt vmcnt(0)
	v_cvt_f64_u32_e32 v[6:7], v3
	v_cvt_f64_u32_e32 v[2:3], v2
	s_delay_alu instid0(VALU_DEP_2) | instskip(NEXT) | instid1(VALU_DEP_1)
	v_ldexp_f64 v[6:7], v[6:7], 32
	v_add_f64 v[2:3], v[6:7], v[2:3]
	s_branch .LBB6_565
.LBB6_563:
	s_mov_b32 s21, -1
                                        ; implicit-def: $vgpr2_vgpr3
.LBB6_564:
	s_mov_b32 s1, 0
.LBB6_565:
	s_delay_alu instid0(SALU_CYCLE_1)
	s_and_b32 vcc_lo, exec_lo, s1
	s_cbranch_vccz .LBB6_585
; %bb.566:
	v_cmp_gt_i16_e32 vcc_lo, 27, v12
	s_cbranch_vccnz .LBB6_569
; %bb.567:
	v_cmp_lt_i16_e32 vcc_lo, 27, v12
	s_cbranch_vccz .LBB6_570
; %bb.568:
	global_load_b32 v2, v[0:1], off
	s_mov_b32 s0, 0
	s_waitcnt vmcnt(0)
	v_cvt_f64_u32_e32 v[2:3], v2
	s_branch .LBB6_571
.LBB6_569:
	s_mov_b32 s0, -1
                                        ; implicit-def: $vgpr2_vgpr3
	s_branch .LBB6_574
.LBB6_570:
	s_mov_b32 s0, -1
                                        ; implicit-def: $vgpr2_vgpr3
.LBB6_571:
	s_delay_alu instid0(SALU_CYCLE_1)
	s_and_not1_b32 vcc_lo, exec_lo, s0
	s_cbranch_vccnz .LBB6_573
; %bb.572:
	global_load_u16 v2, v[0:1], off
	s_waitcnt vmcnt(0)
	v_cvt_f64_u32_e32 v[2:3], v2
.LBB6_573:
	s_mov_b32 s0, 0
.LBB6_574:
	s_delay_alu instid0(SALU_CYCLE_1)
	s_and_not1_b32 vcc_lo, exec_lo, s0
	s_cbranch_vccnz .LBB6_584
; %bb.575:
	global_load_u8 v6, v[0:1], off
	s_mov_b32 s22, 0
	s_mov_b32 s23, exec_lo
                                        ; implicit-def: $sgpr0_sgpr1
	s_waitcnt vmcnt(0)
	v_cmpx_lt_i16_e32 0x7f, v6
	s_xor_b32 s23, exec_lo, s23
	s_cbranch_execz .LBB6_579
; %bb.576:
	s_mov_b32 s24, -1
	s_mov_b32 s22, exec_lo
                                        ; implicit-def: $sgpr0_sgpr1
	v_cmpx_eq_u16_e32 0x80, v6
; %bb.577:
	s_mov_b32 s1, 0x7ff80000
	s_brev_b32 s0, 4
	s_xor_b32 s24, exec_lo, -1
; %bb.578:
	s_or_b32 exec_lo, exec_lo, s22
	s_delay_alu instid0(SALU_CYCLE_1)
	s_and_b32 s22, s24, exec_lo
.LBB6_579:
	s_or_saveexec_b32 s23, s23
	v_dual_mov_b32 v3, s1 :: v_dual_mov_b32 v2, s0
	s_xor_b32 exec_lo, exec_lo, s23
; %bb.580:
	v_cmp_ne_u16_e32 vcc_lo, 0, v6
	v_mov_b32_e32 v2, 0
	v_mov_b32_e32 v3, 0
	s_and_not1_b32 s0, s22, exec_lo
	s_and_b32 s1, vcc_lo, exec_lo
	s_delay_alu instid0(SALU_CYCLE_1)
	s_or_b32 s22, s0, s1
; %bb.581:
	s_or_b32 exec_lo, exec_lo, s23
	s_and_saveexec_b32 s0, s22
	s_cbranch_execz .LBB6_583
; %bb.582:
	v_and_b32_e32 v2, 0xffff, v6
	v_lshlrev_b32_e32 v6, 24, v6
	s_delay_alu instid0(VALU_DEP_2) | instskip(NEXT) | instid1(VALU_DEP_2)
	v_and_b32_e32 v3, 7, v2
	v_and_b32_e32 v6, 0x80000000, v6
	s_delay_alu instid0(VALU_DEP_2) | instskip(NEXT) | instid1(VALU_DEP_1)
	v_clz_i32_u32_e32 v7, v3
	v_min_u32_e32 v7, 32, v7
	s_delay_alu instid0(VALU_DEP_1) | instskip(SKIP_1) | instid1(VALU_DEP_2)
	v_subrev_nc_u32_e32 v8, 28, v7
	v_sub_nc_u32_e32 v7, 29, v7
	v_lshlrev_b32_e32 v8, v8, v2
	v_bfe_u32 v2, v2, 3, 4
	s_delay_alu instid0(VALU_DEP_2) | instskip(NEXT) | instid1(VALU_DEP_2)
	v_and_b32_e32 v8, 7, v8
	v_cmp_eq_u32_e32 vcc_lo, 0, v2
	s_delay_alu instid0(VALU_DEP_2) | instskip(NEXT) | instid1(VALU_DEP_1)
	v_dual_cndmask_b32 v2, v2, v7 :: v_dual_cndmask_b32 v3, v3, v8
	v_lshl_add_u32 v2, v2, 23, 0x3b800000
	s_delay_alu instid0(VALU_DEP_2) | instskip(NEXT) | instid1(VALU_DEP_1)
	v_lshlrev_b32_e32 v3, 20, v3
	v_or3_b32 v2, v6, v2, v3
	s_delay_alu instid0(VALU_DEP_1)
	v_cvt_f64_f32_e32 v[2:3], v2
.LBB6_583:
	s_or_b32 exec_lo, exec_lo, s0
.LBB6_584:
	s_mov_b32 s0, -1
.LBB6_585:
	s_mov_b32 s1, 0
.LBB6_586:
	s_delay_alu instid0(SALU_CYCLE_1)
	s_and_b32 vcc_lo, exec_lo, s1
	s_cbranch_vccz .LBB6_619
; %bb.587:
	v_cmp_lt_i16_e32 vcc_lo, 22, v12
	s_cbranch_vccz .LBB6_599
; %bb.588:
	v_cmp_gt_i16_e32 vcc_lo, 24, v12
	s_cbranch_vccnz .LBB6_600
; %bb.589:
	v_cmp_lt_i16_e32 vcc_lo, 24, v12
	s_cbranch_vccz .LBB6_601
; %bb.590:
	global_load_u8 v6, v[0:1], off
	s_mov_b32 s22, 0
	s_mov_b32 s23, exec_lo
                                        ; implicit-def: $sgpr0_sgpr1
	s_waitcnt vmcnt(0)
	v_cmpx_lt_i16_e32 0x7f, v6
	s_xor_b32 s23, exec_lo, s23
	s_cbranch_execz .LBB6_594
; %bb.591:
	s_mov_b32 s24, -1
	s_mov_b32 s22, exec_lo
                                        ; implicit-def: $sgpr0_sgpr1
	v_cmpx_eq_u16_e32 0x80, v6
; %bb.592:
	s_mov_b32 s1, 0x7ff80000
	s_brev_b32 s0, 4
	s_xor_b32 s24, exec_lo, -1
; %bb.593:
	s_or_b32 exec_lo, exec_lo, s22
	s_delay_alu instid0(SALU_CYCLE_1)
	s_and_b32 s22, s24, exec_lo
.LBB6_594:
	s_or_saveexec_b32 s23, s23
	v_dual_mov_b32 v3, s1 :: v_dual_mov_b32 v2, s0
	s_xor_b32 exec_lo, exec_lo, s23
; %bb.595:
	v_cmp_ne_u16_e32 vcc_lo, 0, v6
	v_mov_b32_e32 v2, 0
	v_mov_b32_e32 v3, 0
	s_and_not1_b32 s0, s22, exec_lo
	s_and_b32 s1, vcc_lo, exec_lo
	s_delay_alu instid0(SALU_CYCLE_1)
	s_or_b32 s22, s0, s1
; %bb.596:
	s_or_b32 exec_lo, exec_lo, s23
	s_and_saveexec_b32 s0, s22
	s_cbranch_execz .LBB6_598
; %bb.597:
	v_and_b32_e32 v2, 0xffff, v6
	v_lshlrev_b32_e32 v6, 24, v6
	s_delay_alu instid0(VALU_DEP_2) | instskip(NEXT) | instid1(VALU_DEP_2)
	v_and_b32_e32 v3, 3, v2
	v_and_b32_e32 v6, 0x80000000, v6
	s_delay_alu instid0(VALU_DEP_2) | instskip(NEXT) | instid1(VALU_DEP_1)
	v_clz_i32_u32_e32 v7, v3
	v_min_u32_e32 v7, 32, v7
	s_delay_alu instid0(VALU_DEP_1) | instskip(SKIP_1) | instid1(VALU_DEP_2)
	v_subrev_nc_u32_e32 v8, 29, v7
	v_sub_nc_u32_e32 v7, 30, v7
	v_lshlrev_b32_e32 v8, v8, v2
	v_bfe_u32 v2, v2, 2, 5
	s_delay_alu instid0(VALU_DEP_2) | instskip(NEXT) | instid1(VALU_DEP_2)
	v_and_b32_e32 v8, 3, v8
	v_cmp_eq_u32_e32 vcc_lo, 0, v2
	s_delay_alu instid0(VALU_DEP_2) | instskip(NEXT) | instid1(VALU_DEP_1)
	v_dual_cndmask_b32 v2, v2, v7 :: v_dual_cndmask_b32 v3, v3, v8
	v_lshl_add_u32 v2, v2, 23, 0x37800000
	s_delay_alu instid0(VALU_DEP_2) | instskip(NEXT) | instid1(VALU_DEP_1)
	v_lshlrev_b32_e32 v3, 21, v3
	v_or3_b32 v2, v6, v2, v3
	s_delay_alu instid0(VALU_DEP_1)
	v_cvt_f64_f32_e32 v[2:3], v2
.LBB6_598:
	s_or_b32 exec_lo, exec_lo, s0
	s_mov_b32 s0, 0
	s_branch .LBB6_602
.LBB6_599:
	s_mov_b32 s1, -1
                                        ; implicit-def: $vgpr2_vgpr3
	s_branch .LBB6_608
.LBB6_600:
	s_mov_b32 s0, -1
                                        ; implicit-def: $vgpr2_vgpr3
	s_branch .LBB6_605
.LBB6_601:
	s_mov_b32 s0, -1
                                        ; implicit-def: $vgpr2_vgpr3
.LBB6_602:
	s_delay_alu instid0(SALU_CYCLE_1)
	s_and_b32 vcc_lo, exec_lo, s0
	s_cbranch_vccz .LBB6_604
; %bb.603:
	global_load_u8 v2, v[0:1], off
	s_waitcnt vmcnt(0)
	v_lshlrev_b32_e32 v2, 24, v2
	s_delay_alu instid0(VALU_DEP_1) | instskip(NEXT) | instid1(VALU_DEP_1)
	v_and_b32_e32 v3, 0x7f000000, v2
	v_clz_i32_u32_e32 v6, v3
	v_cmp_ne_u32_e32 vcc_lo, 0, v3
	v_add_nc_u32_e32 v8, 0x1000000, v3
	s_delay_alu instid0(VALU_DEP_3) | instskip(NEXT) | instid1(VALU_DEP_1)
	v_min_u32_e32 v6, 32, v6
	v_sub_nc_u32_e64 v6, v6, 4 clamp
	s_delay_alu instid0(VALU_DEP_1) | instskip(SKIP_1) | instid1(VALU_DEP_2)
	v_lshlrev_b32_e32 v7, v6, v3
	v_lshlrev_b32_e32 v6, 23, v6
	v_lshrrev_b32_e32 v7, 4, v7
	s_delay_alu instid0(VALU_DEP_1) | instskip(SKIP_1) | instid1(VALU_DEP_2)
	v_sub_nc_u32_e32 v6, v7, v6
	v_ashrrev_i32_e32 v7, 8, v8
	v_add_nc_u32_e32 v6, 0x3c000000, v6
	s_delay_alu instid0(VALU_DEP_1) | instskip(NEXT) | instid1(VALU_DEP_1)
	v_and_or_b32 v6, 0x7f800000, v7, v6
	v_cndmask_b32_e32 v3, 0, v6, vcc_lo
	s_delay_alu instid0(VALU_DEP_1) | instskip(NEXT) | instid1(VALU_DEP_1)
	v_and_or_b32 v2, 0x80000000, v2, v3
	v_cvt_f64_f32_e32 v[2:3], v2
.LBB6_604:
	s_mov_b32 s0, 0
.LBB6_605:
	s_delay_alu instid0(SALU_CYCLE_1)
	s_and_not1_b32 vcc_lo, exec_lo, s0
	s_cbranch_vccnz .LBB6_607
; %bb.606:
	global_load_u8 v2, v[0:1], off
	s_waitcnt vmcnt(0)
	v_lshlrev_b32_e32 v3, 25, v2
	v_lshlrev_b16 v2, 8, v2
	s_delay_alu instid0(VALU_DEP_2) | instskip(NEXT) | instid1(VALU_DEP_2)
	v_lshrrev_b32_e32 v6, 4, v3
	v_and_or_b32 v7, 0x7f00, v2, 0.5
	v_cmp_gt_u32_e32 vcc_lo, 0x8000000, v3
	v_bfe_i32 v2, v2, 0, 16
	s_delay_alu instid0(VALU_DEP_4) | instskip(NEXT) | instid1(VALU_DEP_1)
	v_or_b32_e32 v6, 0x70000000, v6
	v_dual_add_f32 v7, -0.5, v7 :: v_dual_mul_f32 v6, 0x7800000, v6
	s_delay_alu instid0(VALU_DEP_1) | instskip(NEXT) | instid1(VALU_DEP_1)
	v_cndmask_b32_e32 v3, v6, v7, vcc_lo
	v_and_or_b32 v2, 0x80000000, v2, v3
	s_delay_alu instid0(VALU_DEP_1)
	v_cvt_f64_f32_e32 v[2:3], v2
.LBB6_607:
	s_mov_b32 s1, 0
	s_mov_b32 s0, -1
.LBB6_608:
	s_and_not1_b32 vcc_lo, exec_lo, s1
	s_cbranch_vccnz .LBB6_619
; %bb.609:
	v_cmp_lt_i16_e32 vcc_lo, 14, v12
	s_cbranch_vccz .LBB6_612
; %bb.610:
	v_cmp_eq_u16_e32 vcc_lo, 15, v12
	s_cbranch_vccz .LBB6_613
; %bb.611:
	global_load_u16 v2, v[0:1], off
	s_mov_b32 s0, -1
	s_mov_b32 s21, 0
	s_waitcnt vmcnt(0)
	v_lshlrev_b32_e32 v2, 16, v2
	s_delay_alu instid0(VALU_DEP_1)
	v_cvt_f64_f32_e32 v[2:3], v2
	s_branch .LBB6_614
.LBB6_612:
	s_mov_b32 s1, -1
                                        ; implicit-def: $vgpr2_vgpr3
	s_branch .LBB6_615
.LBB6_613:
	s_mov_b32 s21, -1
                                        ; implicit-def: $vgpr2_vgpr3
.LBB6_614:
	s_mov_b32 s1, 0
.LBB6_615:
	s_delay_alu instid0(SALU_CYCLE_1)
	s_and_b32 vcc_lo, exec_lo, s1
	s_cbranch_vccz .LBB6_619
; %bb.616:
	v_cmp_eq_u16_e32 vcc_lo, 11, v12
	s_cbranch_vccz .LBB6_618
; %bb.617:
	global_load_u8 v2, v[0:1], off
	s_mov_b32 s21, 0
	s_mov_b32 s0, -1
	s_waitcnt vmcnt(0)
	v_cmp_ne_u16_e32 vcc_lo, 0, v2
	v_mov_b32_e32 v2, 0
	v_cndmask_b32_e64 v3, 0, 0x3ff00000, vcc_lo
	s_branch .LBB6_619
.LBB6_618:
	s_mov_b32 s21, -1
                                        ; implicit-def: $vgpr2_vgpr3
.LBB6_619:
	s_mov_b32 s1, 0
.LBB6_620:
	s_delay_alu instid0(SALU_CYCLE_1)
	s_and_b32 vcc_lo, exec_lo, s1
	s_cbranch_vccz .LBB6_669
; %bb.621:
	v_cmp_gt_i16_e32 vcc_lo, 5, v12
	s_cbranch_vccnz .LBB6_626
; %bb.622:
	v_cmp_gt_i16_e32 vcc_lo, 8, v12
	s_cbranch_vccnz .LBB6_627
	;; [unrolled: 3-line block ×3, first 2 shown]
; %bb.624:
	v_cmp_lt_i16_e32 vcc_lo, 9, v12
	s_cbranch_vccz .LBB6_629
; %bb.625:
	global_load_b64 v[2:3], v[0:1], off
	s_mov_b32 s0, 0
	s_branch .LBB6_630
.LBB6_626:
	s_mov_b32 s0, -1
                                        ; implicit-def: $vgpr2_vgpr3
	s_branch .LBB6_648
.LBB6_627:
	s_mov_b32 s0, -1
                                        ; implicit-def: $vgpr2_vgpr3
	s_branch .LBB6_636
.LBB6_628:
	s_mov_b32 s0, -1
                                        ; implicit-def: $vgpr2_vgpr3
	s_branch .LBB6_633
.LBB6_629:
	s_mov_b32 s0, -1
                                        ; implicit-def: $vgpr2_vgpr3
.LBB6_630:
	s_delay_alu instid0(SALU_CYCLE_1)
	s_and_not1_b32 vcc_lo, exec_lo, s0
	s_cbranch_vccnz .LBB6_632
; %bb.631:
	global_load_b32 v2, v[0:1], off
	s_waitcnt vmcnt(0)
	v_cvt_f64_f32_e32 v[2:3], v2
.LBB6_632:
	s_mov_b32 s0, 0
.LBB6_633:
	s_delay_alu instid0(SALU_CYCLE_1)
	s_and_not1_b32 vcc_lo, exec_lo, s0
	s_cbranch_vccnz .LBB6_635
; %bb.634:
	global_load_b32 v2, v[0:1], off
	s_waitcnt vmcnt(0)
	v_cvt_f32_f16_e32 v2, v2
	s_delay_alu instid0(VALU_DEP_1)
	v_cvt_f64_f32_e32 v[2:3], v2
.LBB6_635:
	s_mov_b32 s0, 0
.LBB6_636:
	s_delay_alu instid0(SALU_CYCLE_1)
	s_and_not1_b32 vcc_lo, exec_lo, s0
	s_cbranch_vccnz .LBB6_647
; %bb.637:
	v_cmp_gt_i16_e32 vcc_lo, 6, v12
	s_cbranch_vccnz .LBB6_640
; %bb.638:
	v_cmp_lt_i16_e32 vcc_lo, 6, v12
	s_cbranch_vccz .LBB6_641
; %bb.639:
	global_load_b64 v[2:3], v[0:1], off
	s_mov_b32 s0, 0
	s_branch .LBB6_642
.LBB6_640:
	s_mov_b32 s0, -1
                                        ; implicit-def: $vgpr2_vgpr3
	s_branch .LBB6_645
.LBB6_641:
	s_mov_b32 s0, -1
                                        ; implicit-def: $vgpr2_vgpr3
.LBB6_642:
	s_delay_alu instid0(SALU_CYCLE_1)
	s_and_not1_b32 vcc_lo, exec_lo, s0
	s_cbranch_vccnz .LBB6_644
; %bb.643:
	global_load_b32 v2, v[0:1], off
	s_waitcnt vmcnt(0)
	v_cvt_f64_f32_e32 v[2:3], v2
.LBB6_644:
	s_mov_b32 s0, 0
.LBB6_645:
	s_delay_alu instid0(SALU_CYCLE_1)
	s_and_not1_b32 vcc_lo, exec_lo, s0
	s_cbranch_vccnz .LBB6_647
; %bb.646:
	global_load_u16 v2, v[0:1], off
	s_waitcnt vmcnt(0)
	v_cvt_f32_f16_e32 v2, v2
	s_delay_alu instid0(VALU_DEP_1)
	v_cvt_f64_f32_e32 v[2:3], v2
.LBB6_647:
	s_mov_b32 s0, 0
.LBB6_648:
	s_delay_alu instid0(SALU_CYCLE_1)
	s_and_not1_b32 vcc_lo, exec_lo, s0
	s_cbranch_vccnz .LBB6_668
; %bb.649:
	v_cmp_gt_i16_e32 vcc_lo, 2, v12
	s_cbranch_vccnz .LBB6_653
; %bb.650:
	v_cmp_gt_i16_e32 vcc_lo, 3, v12
	s_cbranch_vccnz .LBB6_654
; %bb.651:
	v_cmp_lt_i16_e32 vcc_lo, 3, v12
	s_cbranch_vccz .LBB6_655
; %bb.652:
	global_load_b64 v[2:3], v[0:1], off
	s_mov_b32 s0, 0
	s_waitcnt vmcnt(0)
	v_cvt_f64_i32_e32 v[6:7], v3
	v_cvt_f64_u32_e32 v[2:3], v2
	s_delay_alu instid0(VALU_DEP_2) | instskip(NEXT) | instid1(VALU_DEP_1)
	v_ldexp_f64 v[6:7], v[6:7], 32
	v_add_f64 v[2:3], v[6:7], v[2:3]
	s_branch .LBB6_656
.LBB6_653:
	s_mov_b32 s0, -1
                                        ; implicit-def: $vgpr2_vgpr3
	s_branch .LBB6_662
.LBB6_654:
	s_mov_b32 s0, -1
                                        ; implicit-def: $vgpr2_vgpr3
	s_branch .LBB6_659
.LBB6_655:
	s_mov_b32 s0, -1
                                        ; implicit-def: $vgpr2_vgpr3
.LBB6_656:
	s_delay_alu instid0(SALU_CYCLE_1)
	s_and_not1_b32 vcc_lo, exec_lo, s0
	s_cbranch_vccnz .LBB6_658
; %bb.657:
	global_load_b32 v2, v[0:1], off
	s_waitcnt vmcnt(0)
	v_cvt_f64_i32_e32 v[2:3], v2
.LBB6_658:
	s_mov_b32 s0, 0
.LBB6_659:
	s_delay_alu instid0(SALU_CYCLE_1)
	s_and_not1_b32 vcc_lo, exec_lo, s0
	s_cbranch_vccnz .LBB6_661
; %bb.660:
	global_load_i16 v2, v[0:1], off
	s_waitcnt vmcnt(0)
	v_cvt_f64_i32_e32 v[2:3], v2
.LBB6_661:
	s_mov_b32 s0, 0
.LBB6_662:
	s_delay_alu instid0(SALU_CYCLE_1)
	s_and_not1_b32 vcc_lo, exec_lo, s0
	s_cbranch_vccnz .LBB6_668
; %bb.663:
	v_cmp_lt_i16_e32 vcc_lo, 0, v12
	s_mov_b32 s0, 0
	s_cbranch_vccz .LBB6_665
; %bb.664:
	global_load_i8 v2, v[0:1], off
	s_waitcnt vmcnt(0)
	v_cvt_f64_i32_e32 v[2:3], v2
	s_branch .LBB6_666
.LBB6_665:
	s_mov_b32 s0, -1
                                        ; implicit-def: $vgpr2_vgpr3
.LBB6_666:
	s_delay_alu instid0(SALU_CYCLE_1)
	s_and_not1_b32 vcc_lo, exec_lo, s0
	s_cbranch_vccnz .LBB6_668
; %bb.667:
	global_load_u8 v0, v[0:1], off
	s_waitcnt vmcnt(0)
	v_cvt_f64_u32_e32 v[2:3], v0
.LBB6_668:
	s_mov_b32 s0, -1
.LBB6_669:
	s_delay_alu instid0(SALU_CYCLE_1)
	s_and_not1_b32 vcc_lo, exec_lo, s0
	s_cbranch_vccnz .LBB6_689
; %bb.670:
	s_waitcnt vmcnt(0)
	s_delay_alu instid0(VALU_DEP_1) | instskip(SKIP_2) | instid1(VALU_DEP_2)
	v_trunc_f64_e32 v[0:1], v[2:3]
	v_cmp_class_f64_e64 vcc_lo, v[2:3], 0x1f8
	s_mov_b32 s22, exec_lo
	v_ldexp_f64 v[6:7], v[0:1], 0xffffffe0
	s_delay_alu instid0(VALU_DEP_1) | instskip(NEXT) | instid1(VALU_DEP_1)
	v_floor_f64_e32 v[6:7], v[6:7]
	v_fma_f64 v[0:1], 0xc1f00000, v[6:7], v[0:1]
	v_cvt_i32_f64_e32 v6, v[6:7]
	s_delay_alu instid0(VALU_DEP_2) | instskip(NEXT) | instid1(VALU_DEP_1)
	v_cvt_u32_f64_e32 v0, v[0:1]
	v_dual_cndmask_b32 v3, -1, v6 :: v_dual_cndmask_b32 v2, -1, v0
	v_mov_b32_e32 v0, 0
	v_mov_b32_e32 v1, 0
	s_delay_alu instid0(VALU_DEP_3)
	v_cmpx_lt_i64_e32 -1, v[2:3]
	s_cbranch_execz .LBB6_682
; %bb.671:
	v_mov_b32_e32 v0, 0
	v_mov_b32_e32 v1, 0x3ff00000
	s_mov_b32 s23, exec_lo
	v_cmpx_lt_i64_e32 0, v[2:3]
	s_cbranch_execz .LBB6_681
; %bb.672:
                                        ; implicit-def: $vgpr0_vgpr1
	s_mov_b32 s0, exec_lo
	v_cmpx_ne_u64_e32 1, v[2:3]
	s_xor_b32 s24, exec_lo, s0
	s_cbranch_execz .LBB6_678
; %bb.673:
	v_mov_b32_e32 v0, 0
	v_mov_b32_e32 v1, 0x7ff80000
	s_mov_b32 s25, exec_lo
	v_cmpx_gt_u64_e32 0x201, v[2:3]
	s_cbranch_execz .LBB6_677
; %bb.674:
	v_mov_b32_e32 v6, 0
	v_lshlrev_b64 v[2:3], 1, v[2:3]
	v_dual_mov_b32 v7, 0x3ff00000 :: v_dual_mov_b32 v0, v4
	v_mov_b32_e32 v1, v5
	s_mov_b64 s[0:1], 2
	s_mov_b32 s26, 0
.LBB6_675:                              ; =>This Inner Loop Header: Depth=1
	v_cvt_f64_u32_e32 v[8:9], s1
	v_cvt_f64_u32_e32 v[10:11], s0
	s_add_u32 s0, s0, 2
	s_addc_u32 s1, s1, 0
	s_delay_alu instid0(SALU_CYCLE_1) | instskip(SKIP_1) | instid1(VALU_DEP_3)
	v_cmp_ge_u64_e32 vcc_lo, s[0:1], v[2:3]
	s_or_b32 s26, vcc_lo, s26
	v_ldexp_f64 v[8:9], v[8:9], 32
	s_delay_alu instid0(VALU_DEP_1) | instskip(NEXT) | instid1(VALU_DEP_1)
	v_add_f64 v[8:9], v[8:9], v[10:11]
	v_mul_f64 v[6:7], v[6:7], v[8:9]
	v_dual_mov_b32 v9, v1 :: v_dual_mov_b32 v8, v0
	s_delay_alu instid0(VALU_DEP_1)
	v_fma_f64 v[0:1], v[4:5], v[8:9], -v[6:7]
	v_dual_mov_b32 v6, v8 :: v_dual_mov_b32 v7, v9
	s_and_not1_b32 exec_lo, exec_lo, s26
	s_cbranch_execnz .LBB6_675
; %bb.676:
	s_or_b32 exec_lo, exec_lo, s26
.LBB6_677:
	s_delay_alu instid0(SALU_CYCLE_1)
	s_or_b32 exec_lo, exec_lo, s25
.LBB6_678:
	s_and_not1_saveexec_b32 s0, s24
; %bb.679:
	v_dual_mov_b32 v0, v4 :: v_dual_mov_b32 v1, v5
; %bb.680:
	s_or_b32 exec_lo, exec_lo, s0
.LBB6_681:
	s_delay_alu instid0(SALU_CYCLE_1)
	s_or_b32 exec_lo, exec_lo, s23
.LBB6_682:
	s_delay_alu instid0(SALU_CYCLE_1) | instskip(SKIP_2) | instid1(VALU_DEP_1)
	s_or_b32 exec_lo, exec_lo, s22
	v_mul_lo_u32 v2, v14, s2
	v_and_b32_e64 v8, 0xff, s10
	v_cmp_gt_i16_e32 vcc_lo, 11, v8
	s_delay_alu instid0(VALU_DEP_3) | instskip(SKIP_1) | instid1(VALU_DEP_1)
	v_ashrrev_i32_e32 v3, 31, v2
	v_add_co_u32 v6, s0, s4, v2
	v_add_co_ci_u32_e64 v7, s0, s5, v3, s0
	s_cbranch_vccnz .LBB6_690
; %bb.683:
	v_cmp_lt_i16_e32 vcc_lo, 25, v8
	s_cbranch_vccz .LBB6_691
; %bb.684:
	v_cmp_lt_i16_e32 vcc_lo, 28, v8
	s_cbranch_vccz .LBB6_692
	;; [unrolled: 3-line block ×4, first 2 shown]
; %bb.687:
	v_cmp_eq_u16_e32 vcc_lo, 46, v8
	s_mov_b32 s22, 0
	s_mov_b32 s0, -1
	s_mov_b32 s1, 0
	s_cbranch_vccz .LBB6_695
; %bb.688:
	v_cvt_f32_f64_e32 v2, v[0:1]
	s_mov_b32 s1, -1
	s_mov_b32 s0, 0
	s_delay_alu instid0(VALU_DEP_1) | instskip(SKIP_1) | instid1(VALU_DEP_2)
	v_bfe_u32 v3, v2, 16, 1
	v_cmp_o_f32_e32 vcc_lo, v2, v2
	v_add3_u32 v3, v2, v3, 0x7fff
	s_delay_alu instid0(VALU_DEP_1) | instskip(NEXT) | instid1(VALU_DEP_1)
	v_lshrrev_b32_e32 v3, 16, v3
	v_cndmask_b32_e32 v2, 0x7fc0, v3, vcc_lo
	global_store_b32 v[6:7], v2, off
	s_branch .LBB6_695
.LBB6_689:
	s_mov_b32 s1, 0
	s_mov_b32 s0, s18
	s_branch .LBB6_806
.LBB6_690:
	s_mov_b32 s22, -1
	s_mov_b32 s1, 0
	s_mov_b32 s0, s18
	s_branch .LBB6_764
.LBB6_691:
	s_mov_b32 s22, -1
	s_mov_b32 s1, 0
	s_mov_b32 s0, s18
	s_branch .LBB6_722
.LBB6_692:
	s_mov_b32 s22, -1
	s_mov_b32 s1, 0
	s_mov_b32 s0, s18
	s_branch .LBB6_705
.LBB6_693:
	s_mov_b32 s22, -1
	s_mov_b32 s1, 0
	s_mov_b32 s0, s18
	s_branch .LBB6_701
.LBB6_694:
	s_mov_b32 s22, -1
	s_mov_b32 s1, 0
	s_mov_b32 s0, s18
.LBB6_695:
	s_and_b32 vcc_lo, exec_lo, s22
	s_cbranch_vccz .LBB6_700
; %bb.696:
	v_cmp_eq_u16_e32 vcc_lo, 44, v8
	s_mov_b32 s0, -1
	s_cbranch_vccz .LBB6_700
; %bb.697:
	v_cvt_f32_f64_e32 v2, v[0:1]
	v_mov_b32_e32 v3, 0xff
	s_mov_b32 s1, exec_lo
	s_delay_alu instid0(VALU_DEP_2) | instskip(NEXT) | instid1(VALU_DEP_1)
	v_bfe_u32 v9, v2, 23, 8
	v_cmpx_ne_u32_e32 0xff, v9
; %bb.698:
	v_and_b32_e32 v3, 0x400000, v2
	v_and_or_b32 v9, 0x3fffff, v2, v9
	v_lshrrev_b32_e32 v2, 23, v2
	s_delay_alu instid0(VALU_DEP_3) | instskip(NEXT) | instid1(VALU_DEP_3)
	v_cmp_ne_u32_e32 vcc_lo, 0, v3
	v_cmp_ne_u32_e64 s0, 0, v9
	s_delay_alu instid0(VALU_DEP_1) | instskip(NEXT) | instid1(SALU_CYCLE_1)
	s_and_b32 s0, vcc_lo, s0
	v_cndmask_b32_e64 v3, 0, 1, s0
	s_delay_alu instid0(VALU_DEP_1)
	v_add_nc_u32_e32 v3, v2, v3
; %bb.699:
	s_or_b32 exec_lo, exec_lo, s1
	s_mov_b32 s1, -1
	s_mov_b32 s0, 0
	global_store_b8 v[6:7], v3, off
.LBB6_700:
	s_mov_b32 s22, 0
.LBB6_701:
	s_delay_alu instid0(SALU_CYCLE_1)
	s_and_b32 vcc_lo, exec_lo, s22
	s_cbranch_vccz .LBB6_704
; %bb.702:
	v_cmp_eq_u16_e32 vcc_lo, 29, v8
	s_mov_b32 s0, -1
	s_cbranch_vccz .LBB6_704
; %bb.703:
	v_trunc_f64_e32 v[2:3], v[0:1]
	s_mov_b32 s1, -1
	s_mov_b32 s0, 0
	s_mov_b32 s22, 0
	s_delay_alu instid0(VALU_DEP_1) | instskip(NEXT) | instid1(VALU_DEP_1)
	v_ldexp_f64 v[9:10], v[2:3], 0xffffffe0
	v_floor_f64_e32 v[9:10], v[9:10]
	s_delay_alu instid0(VALU_DEP_1) | instskip(SKIP_1) | instid1(VALU_DEP_2)
	v_fma_f64 v[2:3], 0xc1f00000, v[9:10], v[2:3]
	v_cvt_u32_f64_e32 v10, v[9:10]
	v_cvt_u32_f64_e32 v9, v[2:3]
	global_store_b64 v[6:7], v[9:10], off
	s_branch .LBB6_705
.LBB6_704:
	s_mov_b32 s22, 0
.LBB6_705:
	s_delay_alu instid0(SALU_CYCLE_1)
	s_and_b32 vcc_lo, exec_lo, s22
	s_cbranch_vccz .LBB6_721
; %bb.706:
	v_cmp_gt_i16_e32 vcc_lo, 27, v8
	s_mov_b32 s1, -1
	s_cbranch_vccnz .LBB6_712
; %bb.707:
	v_cmp_lt_i16_e32 vcc_lo, 27, v8
	s_cbranch_vccz .LBB6_709
; %bb.708:
	v_cvt_u32_f64_e32 v2, v[0:1]
	s_mov_b32 s1, 0
	global_store_b32 v[6:7], v2, off
.LBB6_709:
	s_and_not1_b32 vcc_lo, exec_lo, s1
	s_cbranch_vccnz .LBB6_711
; %bb.710:
	v_cvt_u32_f64_e32 v2, v[0:1]
	global_store_b16 v[6:7], v2, off
.LBB6_711:
	s_mov_b32 s1, 0
.LBB6_712:
	s_delay_alu instid0(SALU_CYCLE_1)
	s_and_not1_b32 vcc_lo, exec_lo, s1
	s_cbranch_vccnz .LBB6_720
; %bb.713:
	v_cvt_f32_f64_e32 v2, v[0:1]
	v_mov_b32_e32 v9, 0x80
	s_mov_b32 s1, exec_lo
	s_delay_alu instid0(VALU_DEP_2) | instskip(NEXT) | instid1(VALU_DEP_1)
	v_and_b32_e32 v3, 0x7fffffff, v2
	v_cmpx_gt_u32_e32 0x43800000, v3
	s_cbranch_execz .LBB6_719
; %bb.714:
	v_cmp_lt_u32_e32 vcc_lo, 0x3bffffff, v3
	s_mov_b32 s22, 0
                                        ; implicit-def: $vgpr3
	s_and_saveexec_b32 s23, vcc_lo
	s_delay_alu instid0(SALU_CYCLE_1)
	s_xor_b32 s23, exec_lo, s23
	s_cbranch_execz .LBB6_821
; %bb.715:
	v_bfe_u32 v3, v2, 20, 1
	s_mov_b32 s22, exec_lo
	s_delay_alu instid0(VALU_DEP_1) | instskip(NEXT) | instid1(VALU_DEP_1)
	v_add3_u32 v3, v2, v3, 0x487ffff
	v_lshrrev_b32_e32 v3, 20, v3
	s_or_saveexec_b32 s23, s23
                                        ; implicit-def: $sgpr24
	s_delay_alu instid0(SALU_CYCLE_1)
	s_xor_b32 exec_lo, exec_lo, s23
	s_cbranch_execnz .LBB6_822
.LBB6_716:
	s_or_b32 exec_lo, exec_lo, s23
	v_mov_b32_e32 v9, s24
	s_and_saveexec_b32 s23, s22
.LBB6_717:
	v_lshrrev_b32_e32 v2, 24, v2
	s_delay_alu instid0(VALU_DEP_1)
	v_and_or_b32 v9, 0x80, v2, v3
.LBB6_718:
	s_or_b32 exec_lo, exec_lo, s23
.LBB6_719:
	s_delay_alu instid0(SALU_CYCLE_1)
	s_or_b32 exec_lo, exec_lo, s1
	global_store_b8 v[6:7], v9, off
.LBB6_720:
	s_mov_b32 s1, -1
.LBB6_721:
	s_mov_b32 s22, 0
.LBB6_722:
	s_delay_alu instid0(SALU_CYCLE_1)
	s_and_b32 vcc_lo, exec_lo, s22
	s_cbranch_vccz .LBB6_763
; %bb.723:
	v_cmp_lt_i16_e32 vcc_lo, 22, v8
	s_mov_b32 s22, -1
	s_cbranch_vccz .LBB6_755
; %bb.724:
	v_cmp_gt_i16_e32 vcc_lo, 24, v8
	s_mov_b32 s1, -1
	s_cbranch_vccnz .LBB6_744
; %bb.725:
	v_cmp_lt_i16_e32 vcc_lo, 24, v8
	s_cbranch_vccz .LBB6_733
; %bb.726:
	v_cvt_f32_f64_e32 v2, v[0:1]
	v_mov_b32_e32 v9, 0x80
	s_mov_b32 s1, exec_lo
	s_delay_alu instid0(VALU_DEP_2) | instskip(NEXT) | instid1(VALU_DEP_1)
	v_and_b32_e32 v3, 0x7fffffff, v2
	v_cmpx_gt_u32_e32 0x47800000, v3
	s_cbranch_execz .LBB6_732
; %bb.727:
	v_cmp_lt_u32_e32 vcc_lo, 0x37ffffff, v3
	s_mov_b32 s22, 0
                                        ; implicit-def: $vgpr3
	s_and_saveexec_b32 s23, vcc_lo
	s_delay_alu instid0(SALU_CYCLE_1)
	s_xor_b32 s23, exec_lo, s23
	s_cbranch_execz .LBB6_824
; %bb.728:
	v_bfe_u32 v3, v2, 21, 1
	s_mov_b32 s22, exec_lo
	s_delay_alu instid0(VALU_DEP_1) | instskip(NEXT) | instid1(VALU_DEP_1)
	v_add3_u32 v3, v2, v3, 0x88fffff
	v_lshrrev_b32_e32 v3, 21, v3
	s_or_saveexec_b32 s23, s23
                                        ; implicit-def: $sgpr24
	s_delay_alu instid0(SALU_CYCLE_1)
	s_xor_b32 exec_lo, exec_lo, s23
	s_cbranch_execnz .LBB6_825
.LBB6_729:
	s_or_b32 exec_lo, exec_lo, s23
	v_mov_b32_e32 v9, s24
	s_and_saveexec_b32 s23, s22
.LBB6_730:
	v_lshrrev_b32_e32 v2, 24, v2
	s_delay_alu instid0(VALU_DEP_1)
	v_and_or_b32 v9, 0x80, v2, v3
.LBB6_731:
	s_or_b32 exec_lo, exec_lo, s23
.LBB6_732:
	s_delay_alu instid0(SALU_CYCLE_1)
	s_or_b32 exec_lo, exec_lo, s1
	s_mov_b32 s1, 0
	global_store_b8 v[6:7], v9, off
.LBB6_733:
	s_and_b32 vcc_lo, exec_lo, s1
	s_cbranch_vccz .LBB6_743
; %bb.734:
	v_cvt_f32_f64_e32 v2, v[0:1]
	s_mov_b32 s1, exec_lo
                                        ; implicit-def: $vgpr3
	s_delay_alu instid0(VALU_DEP_1) | instskip(NEXT) | instid1(VALU_DEP_1)
	v_and_b32_e32 v9, 0x7fffffff, v2
	v_cmpx_gt_u32_e32 0x43f00000, v9
	s_xor_b32 s1, exec_lo, s1
	s_cbranch_execz .LBB6_740
; %bb.735:
	s_mov_b32 s22, exec_lo
                                        ; implicit-def: $vgpr3
	v_cmpx_lt_u32_e32 0x3c7fffff, v9
	s_xor_b32 s22, exec_lo, s22
; %bb.736:
	v_bfe_u32 v3, v2, 20, 1
	s_delay_alu instid0(VALU_DEP_1) | instskip(NEXT) | instid1(VALU_DEP_1)
	v_add3_u32 v3, v2, v3, 0x407ffff
	v_and_b32_e32 v9, 0xff00000, v3
	v_lshrrev_b32_e32 v3, 20, v3
	s_delay_alu instid0(VALU_DEP_2) | instskip(NEXT) | instid1(VALU_DEP_2)
	v_cmp_ne_u32_e32 vcc_lo, 0x7f00000, v9
	v_cndmask_b32_e32 v3, 0x7e, v3, vcc_lo
; %bb.737:
	s_and_not1_saveexec_b32 s22, s22
; %bb.738:
	v_add_f32_e64 v3, 0x46800000, |v2|
; %bb.739:
	s_or_b32 exec_lo, exec_lo, s22
                                        ; implicit-def: $vgpr9
.LBB6_740:
	s_and_not1_saveexec_b32 s1, s1
; %bb.741:
	v_mov_b32_e32 v3, 0x7f
	v_cmp_lt_u32_e32 vcc_lo, 0x7f800000, v9
	s_delay_alu instid0(VALU_DEP_2)
	v_cndmask_b32_e32 v3, 0x7e, v3, vcc_lo
; %bb.742:
	s_or_b32 exec_lo, exec_lo, s1
	v_lshrrev_b32_e32 v2, 24, v2
	s_delay_alu instid0(VALU_DEP_1)
	v_and_or_b32 v2, 0x80, v2, v3
	global_store_b8 v[6:7], v2, off
.LBB6_743:
	s_mov_b32 s1, 0
.LBB6_744:
	s_delay_alu instid0(SALU_CYCLE_1)
	s_and_not1_b32 vcc_lo, exec_lo, s1
	s_cbranch_vccnz .LBB6_754
; %bb.745:
	v_cvt_f32_f64_e32 v2, v[0:1]
	s_mov_b32 s1, exec_lo
                                        ; implicit-def: $vgpr3
	s_delay_alu instid0(VALU_DEP_1) | instskip(NEXT) | instid1(VALU_DEP_1)
	v_and_b32_e32 v9, 0x7fffffff, v2
	v_cmpx_gt_u32_e32 0x47800000, v9
	s_xor_b32 s1, exec_lo, s1
	s_cbranch_execz .LBB6_751
; %bb.746:
	s_mov_b32 s22, exec_lo
                                        ; implicit-def: $vgpr3
	v_cmpx_lt_u32_e32 0x387fffff, v9
	s_xor_b32 s22, exec_lo, s22
; %bb.747:
	v_bfe_u32 v3, v2, 21, 1
	s_delay_alu instid0(VALU_DEP_1) | instskip(NEXT) | instid1(VALU_DEP_1)
	v_add3_u32 v3, v2, v3, 0x80fffff
	v_lshrrev_b32_e32 v3, 21, v3
; %bb.748:
	s_and_not1_saveexec_b32 s22, s22
; %bb.749:
	v_add_f32_e64 v3, 0x43000000, |v2|
; %bb.750:
	s_or_b32 exec_lo, exec_lo, s22
                                        ; implicit-def: $vgpr9
.LBB6_751:
	s_and_not1_saveexec_b32 s1, s1
; %bb.752:
	v_mov_b32_e32 v3, 0x7f
	v_cmp_lt_u32_e32 vcc_lo, 0x7f800000, v9
	s_delay_alu instid0(VALU_DEP_2)
	v_cndmask_b32_e32 v3, 0x7c, v3, vcc_lo
; %bb.753:
	s_or_b32 exec_lo, exec_lo, s1
	v_lshrrev_b32_e32 v2, 24, v2
	s_delay_alu instid0(VALU_DEP_1)
	v_and_or_b32 v2, 0x80, v2, v3
	global_store_b8 v[6:7], v2, off
.LBB6_754:
	s_mov_b32 s22, 0
	s_mov_b32 s1, -1
.LBB6_755:
	s_and_not1_b32 vcc_lo, exec_lo, s22
	s_cbranch_vccnz .LBB6_763
; %bb.756:
	v_cmp_lt_i16_e32 vcc_lo, 14, v8
	s_mov_b32 s22, -1
	s_cbranch_vccz .LBB6_760
; %bb.757:
	v_cmp_eq_u16_e32 vcc_lo, 15, v8
	s_mov_b32 s0, -1
	s_cbranch_vccz .LBB6_759
; %bb.758:
	v_cvt_f32_f64_e32 v2, v[0:1]
	s_mov_b32 s1, -1
	s_mov_b32 s0, 0
	s_delay_alu instid0(VALU_DEP_1) | instskip(SKIP_1) | instid1(VALU_DEP_2)
	v_bfe_u32 v3, v2, 16, 1
	v_cmp_o_f32_e32 vcc_lo, v2, v2
	v_add3_u32 v3, v2, v3, 0x7fff
	s_delay_alu instid0(VALU_DEP_1) | instskip(NEXT) | instid1(VALU_DEP_1)
	v_lshrrev_b32_e32 v3, 16, v3
	v_cndmask_b32_e32 v2, 0x7fc0, v3, vcc_lo
	global_store_b16 v[6:7], v2, off
.LBB6_759:
	s_mov_b32 s22, 0
.LBB6_760:
	s_delay_alu instid0(SALU_CYCLE_1)
	s_and_b32 vcc_lo, exec_lo, s22
	s_cbranch_vccz .LBB6_763
; %bb.761:
	v_cmp_eq_u16_e32 vcc_lo, 11, v8
	s_mov_b32 s0, -1
	s_cbranch_vccz .LBB6_763
; %bb.762:
	v_cmp_neq_f64_e32 vcc_lo, 0, v[0:1]
	s_mov_b32 s1, -1
	s_mov_b32 s0, 0
	v_cndmask_b32_e64 v2, 0, 1, vcc_lo
	global_store_b8 v[6:7], v2, off
.LBB6_763:
	s_mov_b32 s22, 0
.LBB6_764:
	s_delay_alu instid0(SALU_CYCLE_1)
	s_and_b32 vcc_lo, exec_lo, s22
	s_cbranch_vccz .LBB6_803
; %bb.765:
	v_cmp_gt_i16_e32 vcc_lo, 5, v8
	s_mov_b32 s1, -1
	s_cbranch_vccnz .LBB6_786
; %bb.766:
	v_cmp_gt_i16_e32 vcc_lo, 8, v8
	s_cbranch_vccnz .LBB6_776
; %bb.767:
	v_cmp_gt_i16_e32 vcc_lo, 9, v8
	s_cbranch_vccnz .LBB6_773
; %bb.768:
	v_cmp_lt_i16_e32 vcc_lo, 9, v8
	s_cbranch_vccz .LBB6_770
; %bb.769:
	v_mov_b32_e32 v2, 0
	s_mov_b32 s1, 0
	s_delay_alu instid0(VALU_DEP_1)
	v_mov_b32_e32 v3, v2
	global_store_b128 v[6:7], v[0:3], off
.LBB6_770:
	s_and_not1_b32 vcc_lo, exec_lo, s1
	s_cbranch_vccnz .LBB6_772
; %bb.771:
	v_cvt_f32_f64_e32 v2, v[0:1]
	v_mov_b32_e32 v3, 0
	global_store_b64 v[6:7], v[2:3], off
.LBB6_772:
	s_mov_b32 s1, 0
.LBB6_773:
	s_delay_alu instid0(SALU_CYCLE_1)
	s_and_not1_b32 vcc_lo, exec_lo, s1
	s_cbranch_vccnz .LBB6_775
; %bb.774:
	v_cvt_f32_f64_e32 v2, v[0:1]
	s_delay_alu instid0(VALU_DEP_1) | instskip(NEXT) | instid1(VALU_DEP_1)
	v_cvt_f16_f32_e32 v2, v2
	v_and_b32_e32 v2, 0xffff, v2
	global_store_b32 v[6:7], v2, off
.LBB6_775:
	s_mov_b32 s1, 0
.LBB6_776:
	s_delay_alu instid0(SALU_CYCLE_1)
	s_and_not1_b32 vcc_lo, exec_lo, s1
	s_cbranch_vccnz .LBB6_785
; %bb.777:
	v_cmp_gt_i16_e32 vcc_lo, 6, v8
	s_mov_b32 s1, -1
	s_cbranch_vccnz .LBB6_783
; %bb.778:
	v_cmp_lt_i16_e32 vcc_lo, 6, v8
	s_cbranch_vccz .LBB6_780
; %bb.779:
	s_mov_b32 s1, 0
	global_store_b64 v[6:7], v[0:1], off
.LBB6_780:
	s_and_not1_b32 vcc_lo, exec_lo, s1
	s_cbranch_vccnz .LBB6_782
; %bb.781:
	v_cvt_f32_f64_e32 v2, v[0:1]
	global_store_b32 v[6:7], v2, off
.LBB6_782:
	s_mov_b32 s1, 0
.LBB6_783:
	s_delay_alu instid0(SALU_CYCLE_1)
	s_and_not1_b32 vcc_lo, exec_lo, s1
	s_cbranch_vccnz .LBB6_785
; %bb.784:
	v_cvt_f32_f64_e32 v2, v[0:1]
	s_delay_alu instid0(VALU_DEP_1)
	v_cvt_f16_f32_e32 v2, v2
	global_store_b16 v[6:7], v2, off
.LBB6_785:
	s_mov_b32 s1, 0
.LBB6_786:
	s_delay_alu instid0(SALU_CYCLE_1)
	s_and_not1_b32 vcc_lo, exec_lo, s1
	s_cbranch_vccnz .LBB6_802
; %bb.787:
	v_cmp_gt_i16_e32 vcc_lo, 2, v8
	s_mov_b32 s1, -1
	s_cbranch_vccnz .LBB6_797
; %bb.788:
	v_cmp_gt_i16_e32 vcc_lo, 3, v8
	s_cbranch_vccnz .LBB6_794
; %bb.789:
	v_cmp_lt_i16_e32 vcc_lo, 3, v8
	s_cbranch_vccz .LBB6_791
; %bb.790:
	v_trunc_f64_e32 v[2:3], v[0:1]
	s_mov_b32 s1, 0
	s_delay_alu instid0(VALU_DEP_1) | instskip(NEXT) | instid1(VALU_DEP_1)
	v_ldexp_f64 v[9:10], v[2:3], 0xffffffe0
	v_floor_f64_e32 v[9:10], v[9:10]
	s_delay_alu instid0(VALU_DEP_1) | instskip(SKIP_1) | instid1(VALU_DEP_2)
	v_fma_f64 v[2:3], 0xc1f00000, v[9:10], v[2:3]
	v_cvt_i32_f64_e32 v10, v[9:10]
	v_cvt_u32_f64_e32 v9, v[2:3]
	global_store_b64 v[6:7], v[9:10], off
.LBB6_791:
	s_and_not1_b32 vcc_lo, exec_lo, s1
	s_cbranch_vccnz .LBB6_793
; %bb.792:
	v_cvt_i32_f64_e32 v2, v[0:1]
	global_store_b32 v[6:7], v2, off
.LBB6_793:
	s_mov_b32 s1, 0
.LBB6_794:
	s_delay_alu instid0(SALU_CYCLE_1)
	s_and_not1_b32 vcc_lo, exec_lo, s1
	s_cbranch_vccnz .LBB6_796
; %bb.795:
	v_cvt_i32_f64_e32 v2, v[0:1]
	global_store_b16 v[6:7], v2, off
.LBB6_796:
	s_mov_b32 s1, 0
.LBB6_797:
	s_delay_alu instid0(SALU_CYCLE_1)
	s_and_not1_b32 vcc_lo, exec_lo, s1
	s_cbranch_vccnz .LBB6_802
; %bb.798:
	v_cmp_lt_i16_e32 vcc_lo, 0, v8
	s_mov_b32 s1, -1
	s_cbranch_vccz .LBB6_800
; %bb.799:
	v_cvt_i32_f64_e32 v2, v[0:1]
	s_mov_b32 s1, 0
	global_store_b8 v[6:7], v2, off
.LBB6_800:
	s_and_not1_b32 vcc_lo, exec_lo, s1
	s_cbranch_vccnz .LBB6_802
; %bb.801:
	v_trunc_f64_e32 v[0:1], v[0:1]
	s_delay_alu instid0(VALU_DEP_1) | instskip(NEXT) | instid1(VALU_DEP_1)
	v_ldexp_f64 v[2:3], v[0:1], 0xffffffe0
	v_floor_f64_e32 v[2:3], v[2:3]
	s_delay_alu instid0(VALU_DEP_1) | instskip(NEXT) | instid1(VALU_DEP_1)
	v_fma_f64 v[0:1], 0xc1f00000, v[2:3], v[0:1]
	v_cvt_u32_f64_e32 v0, v[0:1]
	global_store_b8 v[6:7], v0, off
.LBB6_802:
	s_mov_b32 s1, -1
.LBB6_803:
	s_delay_alu instid0(SALU_CYCLE_1)
	s_and_not1_b32 vcc_lo, exec_lo, s1
	s_cbranch_vccnz .LBB6_805
; %bb.804:
	v_add_nc_u32_e32 v14, 0x80, v14
	s_mov_b32 s1, -1
	s_branch .LBB6_807
.LBB6_805:
	s_mov_b32 s1, 0
.LBB6_806:
                                        ; implicit-def: $vgpr14
.LBB6_807:
	s_and_not1_b32 s22, s18, exec_lo
	s_and_b32 s0, s0, exec_lo
	s_and_not1_b32 s23, s17, exec_lo
	s_and_b32 s21, s21, exec_lo
	s_or_b32 s22, s22, s0
	s_or_b32 s21, s23, s21
	s_or_not1_b32 s0, s1, exec_lo
.LBB6_808:
	s_or_b32 exec_lo, exec_lo, s20
	s_mov_b32 s1, 0
	s_mov_b32 s23, 0
	;; [unrolled: 1-line block ×3, first 2 shown]
                                        ; implicit-def: $vgpr0_vgpr1
                                        ; implicit-def: $vgpr2_vgpr3
	s_and_saveexec_b32 s20, s0
	s_cbranch_execz .LBB6_893
; %bb.809:
	v_cmp_gt_i32_e32 vcc_lo, s14, v14
	s_mov_b32 s0, 0
	s_mov_b32 s25, s21
	;; [unrolled: 1-line block ×3, first 2 shown]
                                        ; implicit-def: $vgpr0_vgpr1
                                        ; implicit-def: $vgpr2_vgpr3
	s_and_saveexec_b32 s14, vcc_lo
	s_cbranch_execz .LBB6_892
; %bb.810:
	v_mul_lo_u32 v0, v14, s3
	v_cmp_gt_i16_e32 vcc_lo, 11, v12
	s_delay_alu instid0(VALU_DEP_2) | instskip(SKIP_1) | instid1(VALU_DEP_1)
	v_ashrrev_i32_e32 v1, 31, v0
	v_add_co_u32 v0, s0, s6, v0
	v_add_co_ci_u32_e64 v1, s0, s7, v1, s0
	s_cbranch_vccnz .LBB6_817
; %bb.811:
	v_cmp_lt_i16_e32 vcc_lo, 25, v12
	s_cbranch_vccz .LBB6_818
; %bb.812:
	v_cmp_lt_i16_e32 vcc_lo, 28, v12
	s_cbranch_vccz .LBB6_819
	;; [unrolled: 3-line block ×4, first 2 shown]
; %bb.815:
	v_cmp_eq_u16_e32 vcc_lo, 46, v12
	s_cbranch_vccz .LBB6_826
; %bb.816:
	global_load_b32 v2, v[0:1], off
	s_mov_b32 s0, -1
	s_waitcnt vmcnt(0)
	v_lshlrev_b32_e32 v2, 16, v2
	s_delay_alu instid0(VALU_DEP_1)
	v_cvt_f64_f32_e32 v[2:3], v2
	s_branch .LBB6_828
.LBB6_817:
	s_mov_b32 s1, -1
	s_mov_b32 s0, 0
	s_mov_b32 s23, s21
                                        ; implicit-def: $vgpr2_vgpr3
	s_branch .LBB6_891
.LBB6_818:
	s_mov_b32 s1, -1
	s_mov_b32 s0, 0
	s_mov_b32 s23, s21
                                        ; implicit-def: $vgpr2_vgpr3
	s_branch .LBB6_859
.LBB6_819:
	s_mov_b32 s1, -1
	s_mov_b32 s0, 0
	s_mov_b32 s23, s21
                                        ; implicit-def: $vgpr2_vgpr3
	s_branch .LBB6_838
.LBB6_820:
	s_mov_b32 s1, -1
	s_mov_b32 s0, 0
	s_mov_b32 s23, s21
                                        ; implicit-def: $vgpr2_vgpr3
	s_branch .LBB6_833
.LBB6_821:
	s_or_saveexec_b32 s23, s23
                                        ; implicit-def: $sgpr24
	s_delay_alu instid0(SALU_CYCLE_1)
	s_xor_b32 exec_lo, exec_lo, s23
	s_cbranch_execz .LBB6_716
.LBB6_822:
	v_add_f32_e64 v3, 0x46000000, |v2|
	s_and_not1_b32 s22, s22, exec_lo
	s_mov_b32 s24, 0
	s_delay_alu instid0(VALU_DEP_1) | instskip(NEXT) | instid1(VALU_DEP_1)
	v_and_b32_e32 v3, 0xff, v3
	v_cmp_ne_u32_e32 vcc_lo, 0, v3
	s_and_b32 s25, vcc_lo, exec_lo
	s_delay_alu instid0(SALU_CYCLE_1)
	s_or_b32 s22, s22, s25
	s_or_b32 exec_lo, exec_lo, s23
	v_mov_b32_e32 v9, s24
	s_and_saveexec_b32 s23, s22
	s_cbranch_execnz .LBB6_717
	s_branch .LBB6_718
.LBB6_823:
	s_mov_b32 s1, -1
	s_mov_b32 s0, 0
	s_mov_b32 s23, s21
	s_branch .LBB6_827
.LBB6_824:
	s_or_saveexec_b32 s23, s23
                                        ; implicit-def: $sgpr24
	s_delay_alu instid0(SALU_CYCLE_1)
	s_xor_b32 exec_lo, exec_lo, s23
	s_cbranch_execz .LBB6_729
.LBB6_825:
	v_add_f32_e64 v3, 0x42800000, |v2|
	s_and_not1_b32 s22, s22, exec_lo
	s_mov_b32 s24, 0
	s_delay_alu instid0(VALU_DEP_1) | instskip(NEXT) | instid1(VALU_DEP_1)
	v_and_b32_e32 v3, 0xff, v3
	v_cmp_ne_u32_e32 vcc_lo, 0, v3
	s_and_b32 s25, vcc_lo, exec_lo
	s_delay_alu instid0(SALU_CYCLE_1)
	s_or_b32 s22, s22, s25
	s_or_b32 exec_lo, exec_lo, s23
	v_mov_b32_e32 v9, s24
	s_and_saveexec_b32 s23, s22
	s_cbranch_execnz .LBB6_730
	s_branch .LBB6_731
.LBB6_826:
	s_mov_b32 s23, -1
	s_mov_b32 s0, 0
.LBB6_827:
                                        ; implicit-def: $vgpr2_vgpr3
.LBB6_828:
	s_and_b32 vcc_lo, exec_lo, s1
	s_cbranch_vccz .LBB6_832
; %bb.829:
	v_cmp_eq_u16_e32 vcc_lo, 44, v12
	s_cbranch_vccz .LBB6_831
; %bb.830:
	global_load_u8 v6, v[0:1], off
	s_mov_b32 s23, 0
	s_mov_b32 s0, -1
	s_waitcnt vmcnt(0)
	v_cmp_ne_u32_e32 vcc_lo, 0xff, v6
	v_lshlrev_b32_e32 v2, 23, v6
	s_delay_alu instid0(VALU_DEP_1) | instskip(NEXT) | instid1(VALU_DEP_1)
	v_cvt_f64_f32_e32 v[2:3], v2
	v_cndmask_b32_e32 v3, 0x7ff80000, v3, vcc_lo
	s_delay_alu instid0(VALU_DEP_2) | instskip(SKIP_1) | instid1(VALU_DEP_3)
	v_cndmask_b32_e32 v2, 0x20000000, v2, vcc_lo
	v_cmp_ne_u32_e32 vcc_lo, 0, v6
	v_cndmask_b32_e32 v3, 0x38000000, v3, vcc_lo
	s_delay_alu instid0(VALU_DEP_3)
	v_cndmask_b32_e32 v2, 0, v2, vcc_lo
	s_branch .LBB6_832
.LBB6_831:
	s_mov_b32 s23, -1
                                        ; implicit-def: $vgpr2_vgpr3
.LBB6_832:
	s_mov_b32 s1, 0
.LBB6_833:
	s_delay_alu instid0(SALU_CYCLE_1)
	s_and_b32 vcc_lo, exec_lo, s1
	s_cbranch_vccz .LBB6_837
; %bb.834:
	v_cmp_eq_u16_e32 vcc_lo, 29, v12
	s_cbranch_vccz .LBB6_836
; %bb.835:
	global_load_b64 v[2:3], v[0:1], off
	s_mov_b32 s23, 0
	s_mov_b32 s0, -1
	s_mov_b32 s1, 0
	s_waitcnt vmcnt(0)
	v_cvt_f64_u32_e32 v[6:7], v3
	v_cvt_f64_u32_e32 v[2:3], v2
	s_delay_alu instid0(VALU_DEP_2) | instskip(NEXT) | instid1(VALU_DEP_1)
	v_ldexp_f64 v[6:7], v[6:7], 32
	v_add_f64 v[2:3], v[6:7], v[2:3]
	s_branch .LBB6_838
.LBB6_836:
	s_mov_b32 s23, -1
                                        ; implicit-def: $vgpr2_vgpr3
.LBB6_837:
	s_mov_b32 s1, 0
.LBB6_838:
	s_delay_alu instid0(SALU_CYCLE_1)
	s_and_b32 vcc_lo, exec_lo, s1
	s_cbranch_vccz .LBB6_858
; %bb.839:
	v_cmp_gt_i16_e32 vcc_lo, 27, v12
	s_cbranch_vccnz .LBB6_842
; %bb.840:
	v_cmp_lt_i16_e32 vcc_lo, 27, v12
	s_cbranch_vccz .LBB6_843
; %bb.841:
	global_load_b32 v2, v[0:1], off
	s_mov_b32 s0, 0
	s_waitcnt vmcnt(0)
	v_cvt_f64_u32_e32 v[2:3], v2
	s_branch .LBB6_844
.LBB6_842:
	s_mov_b32 s0, -1
                                        ; implicit-def: $vgpr2_vgpr3
	s_branch .LBB6_847
.LBB6_843:
	s_mov_b32 s0, -1
                                        ; implicit-def: $vgpr2_vgpr3
.LBB6_844:
	s_delay_alu instid0(SALU_CYCLE_1)
	s_and_not1_b32 vcc_lo, exec_lo, s0
	s_cbranch_vccnz .LBB6_846
; %bb.845:
	global_load_u16 v2, v[0:1], off
	s_waitcnt vmcnt(0)
	v_cvt_f64_u32_e32 v[2:3], v2
.LBB6_846:
	s_mov_b32 s0, 0
.LBB6_847:
	s_delay_alu instid0(SALU_CYCLE_1)
	s_and_not1_b32 vcc_lo, exec_lo, s0
	s_cbranch_vccnz .LBB6_857
; %bb.848:
	global_load_u8 v6, v[0:1], off
	s_mov_b32 s25, 0
	s_mov_b32 s26, exec_lo
                                        ; implicit-def: $sgpr0_sgpr1
	s_waitcnt vmcnt(0)
	v_cmpx_lt_i16_e32 0x7f, v6
	s_xor_b32 s26, exec_lo, s26
	s_cbranch_execz .LBB6_852
; %bb.849:
	s_mov_b32 s27, -1
	s_mov_b32 s25, exec_lo
                                        ; implicit-def: $sgpr0_sgpr1
	v_cmpx_eq_u16_e32 0x80, v6
; %bb.850:
	s_mov_b32 s1, 0x7ff80000
	s_brev_b32 s0, 4
	s_xor_b32 s27, exec_lo, -1
; %bb.851:
	s_or_b32 exec_lo, exec_lo, s25
	s_delay_alu instid0(SALU_CYCLE_1)
	s_and_b32 s25, s27, exec_lo
.LBB6_852:
	s_or_saveexec_b32 s26, s26
	v_dual_mov_b32 v3, s1 :: v_dual_mov_b32 v2, s0
	s_xor_b32 exec_lo, exec_lo, s26
; %bb.853:
	v_cmp_ne_u16_e32 vcc_lo, 0, v6
	v_mov_b32_e32 v2, 0
	v_mov_b32_e32 v3, 0
	s_and_not1_b32 s0, s25, exec_lo
	s_and_b32 s1, vcc_lo, exec_lo
	s_delay_alu instid0(SALU_CYCLE_1)
	s_or_b32 s25, s0, s1
; %bb.854:
	s_or_b32 exec_lo, exec_lo, s26
	s_and_saveexec_b32 s0, s25
	s_cbranch_execz .LBB6_856
; %bb.855:
	v_and_b32_e32 v2, 0xffff, v6
	v_lshlrev_b32_e32 v6, 24, v6
	s_delay_alu instid0(VALU_DEP_2) | instskip(NEXT) | instid1(VALU_DEP_2)
	v_and_b32_e32 v3, 7, v2
	v_and_b32_e32 v6, 0x80000000, v6
	s_delay_alu instid0(VALU_DEP_2) | instskip(NEXT) | instid1(VALU_DEP_1)
	v_clz_i32_u32_e32 v7, v3
	v_min_u32_e32 v7, 32, v7
	s_delay_alu instid0(VALU_DEP_1) | instskip(SKIP_1) | instid1(VALU_DEP_2)
	v_subrev_nc_u32_e32 v8, 28, v7
	v_sub_nc_u32_e32 v7, 29, v7
	v_lshlrev_b32_e32 v8, v8, v2
	v_bfe_u32 v2, v2, 3, 4
	s_delay_alu instid0(VALU_DEP_2) | instskip(NEXT) | instid1(VALU_DEP_2)
	v_and_b32_e32 v8, 7, v8
	v_cmp_eq_u32_e32 vcc_lo, 0, v2
	s_delay_alu instid0(VALU_DEP_2) | instskip(NEXT) | instid1(VALU_DEP_1)
	v_dual_cndmask_b32 v2, v2, v7 :: v_dual_cndmask_b32 v3, v3, v8
	v_lshl_add_u32 v2, v2, 23, 0x3b800000
	s_delay_alu instid0(VALU_DEP_2) | instskip(NEXT) | instid1(VALU_DEP_1)
	v_lshlrev_b32_e32 v3, 20, v3
	v_or3_b32 v2, v6, v2, v3
	s_delay_alu instid0(VALU_DEP_1)
	v_cvt_f64_f32_e32 v[2:3], v2
.LBB6_856:
	s_or_b32 exec_lo, exec_lo, s0
.LBB6_857:
	s_mov_b32 s0, -1
.LBB6_858:
	s_mov_b32 s1, 0
.LBB6_859:
	s_delay_alu instid0(SALU_CYCLE_1)
	s_and_b32 vcc_lo, exec_lo, s1
	s_cbranch_vccz .LBB6_890
; %bb.860:
	v_cmp_lt_i16_e32 vcc_lo, 22, v12
	s_cbranch_vccz .LBB6_872
; %bb.861:
	v_cmp_gt_i16_e32 vcc_lo, 24, v12
	s_cbranch_vccnz .LBB6_873
; %bb.862:
	v_cmp_lt_i16_e32 vcc_lo, 24, v12
	s_cbranch_vccz .LBB6_874
; %bb.863:
	global_load_u8 v6, v[0:1], off
	s_mov_b32 s25, exec_lo
                                        ; implicit-def: $sgpr0_sgpr1
	s_waitcnt vmcnt(0)
	v_cmpx_lt_i16_e32 0x7f, v6
	s_xor_b32 s25, exec_lo, s25
	s_cbranch_execz .LBB6_867
; %bb.864:
	s_mov_b32 s26, -1
	s_mov_b32 s24, exec_lo
                                        ; implicit-def: $sgpr0_sgpr1
	v_cmpx_eq_u16_e32 0x80, v6
; %bb.865:
	s_mov_b32 s1, 0x7ff80000
	s_brev_b32 s0, 4
	s_xor_b32 s26, exec_lo, -1
; %bb.866:
	s_or_b32 exec_lo, exec_lo, s24
	s_delay_alu instid0(SALU_CYCLE_1)
	s_and_b32 s24, s26, exec_lo
.LBB6_867:
	s_or_saveexec_b32 s25, s25
	v_dual_mov_b32 v3, s1 :: v_dual_mov_b32 v2, s0
	s_xor_b32 exec_lo, exec_lo, s25
; %bb.868:
	v_cmp_ne_u16_e32 vcc_lo, 0, v6
	v_mov_b32_e32 v2, 0
	v_mov_b32_e32 v3, 0
	s_and_not1_b32 s0, s24, exec_lo
	s_and_b32 s1, vcc_lo, exec_lo
	s_delay_alu instid0(SALU_CYCLE_1)
	s_or_b32 s24, s0, s1
; %bb.869:
	s_or_b32 exec_lo, exec_lo, s25
	s_and_saveexec_b32 s0, s24
	s_cbranch_execz .LBB6_871
; %bb.870:
	v_and_b32_e32 v2, 0xffff, v6
	v_lshlrev_b32_e32 v6, 24, v6
	s_delay_alu instid0(VALU_DEP_2) | instskip(NEXT) | instid1(VALU_DEP_2)
	v_and_b32_e32 v3, 3, v2
	v_and_b32_e32 v6, 0x80000000, v6
	s_delay_alu instid0(VALU_DEP_2) | instskip(NEXT) | instid1(VALU_DEP_1)
	v_clz_i32_u32_e32 v7, v3
	v_min_u32_e32 v7, 32, v7
	s_delay_alu instid0(VALU_DEP_1) | instskip(SKIP_1) | instid1(VALU_DEP_2)
	v_subrev_nc_u32_e32 v8, 29, v7
	v_sub_nc_u32_e32 v7, 30, v7
	v_lshlrev_b32_e32 v8, v8, v2
	v_bfe_u32 v2, v2, 2, 5
	s_delay_alu instid0(VALU_DEP_2) | instskip(NEXT) | instid1(VALU_DEP_2)
	v_and_b32_e32 v8, 3, v8
	v_cmp_eq_u32_e32 vcc_lo, 0, v2
	s_delay_alu instid0(VALU_DEP_2) | instskip(NEXT) | instid1(VALU_DEP_1)
	v_dual_cndmask_b32 v2, v2, v7 :: v_dual_cndmask_b32 v3, v3, v8
	v_lshl_add_u32 v2, v2, 23, 0x37800000
	s_delay_alu instid0(VALU_DEP_2) | instskip(NEXT) | instid1(VALU_DEP_1)
	v_lshlrev_b32_e32 v3, 21, v3
	v_or3_b32 v2, v6, v2, v3
	s_delay_alu instid0(VALU_DEP_1)
	v_cvt_f64_f32_e32 v[2:3], v2
.LBB6_871:
	s_or_b32 exec_lo, exec_lo, s0
	s_mov_b32 s0, 0
	s_branch .LBB6_875
.LBB6_872:
	s_mov_b32 s1, -1
                                        ; implicit-def: $vgpr2_vgpr3
	s_branch .LBB6_881
.LBB6_873:
	s_mov_b32 s0, -1
                                        ; implicit-def: $vgpr2_vgpr3
	s_branch .LBB6_878
.LBB6_874:
	s_mov_b32 s0, -1
                                        ; implicit-def: $vgpr2_vgpr3
.LBB6_875:
	s_delay_alu instid0(SALU_CYCLE_1)
	s_and_b32 vcc_lo, exec_lo, s0
	s_cbranch_vccz .LBB6_877
; %bb.876:
	global_load_u8 v2, v[0:1], off
	s_waitcnt vmcnt(0)
	v_lshlrev_b32_e32 v2, 24, v2
	s_delay_alu instid0(VALU_DEP_1) | instskip(NEXT) | instid1(VALU_DEP_1)
	v_and_b32_e32 v3, 0x7f000000, v2
	v_clz_i32_u32_e32 v6, v3
	v_cmp_ne_u32_e32 vcc_lo, 0, v3
	v_add_nc_u32_e32 v8, 0x1000000, v3
	s_delay_alu instid0(VALU_DEP_3) | instskip(NEXT) | instid1(VALU_DEP_1)
	v_min_u32_e32 v6, 32, v6
	v_sub_nc_u32_e64 v6, v6, 4 clamp
	s_delay_alu instid0(VALU_DEP_1) | instskip(SKIP_1) | instid1(VALU_DEP_2)
	v_lshlrev_b32_e32 v7, v6, v3
	v_lshlrev_b32_e32 v6, 23, v6
	v_lshrrev_b32_e32 v7, 4, v7
	s_delay_alu instid0(VALU_DEP_1) | instskip(SKIP_1) | instid1(VALU_DEP_2)
	v_sub_nc_u32_e32 v6, v7, v6
	v_ashrrev_i32_e32 v7, 8, v8
	v_add_nc_u32_e32 v6, 0x3c000000, v6
	s_delay_alu instid0(VALU_DEP_1) | instskip(NEXT) | instid1(VALU_DEP_1)
	v_and_or_b32 v6, 0x7f800000, v7, v6
	v_cndmask_b32_e32 v3, 0, v6, vcc_lo
	s_delay_alu instid0(VALU_DEP_1) | instskip(NEXT) | instid1(VALU_DEP_1)
	v_and_or_b32 v2, 0x80000000, v2, v3
	v_cvt_f64_f32_e32 v[2:3], v2
.LBB6_877:
	s_mov_b32 s0, 0
.LBB6_878:
	s_delay_alu instid0(SALU_CYCLE_1)
	s_and_not1_b32 vcc_lo, exec_lo, s0
	s_cbranch_vccnz .LBB6_880
; %bb.879:
	global_load_u8 v2, v[0:1], off
	s_waitcnt vmcnt(0)
	v_lshlrev_b32_e32 v3, 25, v2
	v_lshlrev_b16 v2, 8, v2
	s_delay_alu instid0(VALU_DEP_2) | instskip(NEXT) | instid1(VALU_DEP_2)
	v_lshrrev_b32_e32 v6, 4, v3
	v_and_or_b32 v7, 0x7f00, v2, 0.5
	v_cmp_gt_u32_e32 vcc_lo, 0x8000000, v3
	v_bfe_i32 v2, v2, 0, 16
	s_delay_alu instid0(VALU_DEP_4) | instskip(NEXT) | instid1(VALU_DEP_1)
	v_or_b32_e32 v6, 0x70000000, v6
	v_dual_add_f32 v7, -0.5, v7 :: v_dual_mul_f32 v6, 0x7800000, v6
	s_delay_alu instid0(VALU_DEP_1) | instskip(NEXT) | instid1(VALU_DEP_1)
	v_cndmask_b32_e32 v3, v6, v7, vcc_lo
	v_and_or_b32 v2, 0x80000000, v2, v3
	s_delay_alu instid0(VALU_DEP_1)
	v_cvt_f64_f32_e32 v[2:3], v2
.LBB6_880:
	s_mov_b32 s1, 0
	s_mov_b32 s0, -1
.LBB6_881:
	s_and_not1_b32 vcc_lo, exec_lo, s1
	s_mov_b32 s24, 0
	s_cbranch_vccnz .LBB6_890
; %bb.882:
	v_cmp_lt_i16_e32 vcc_lo, 14, v12
	s_cbranch_vccz .LBB6_885
; %bb.883:
	v_cmp_eq_u16_e32 vcc_lo, 15, v12
	s_cbranch_vccz .LBB6_886
; %bb.884:
	global_load_u16 v2, v[0:1], off
	s_mov_b32 s23, 0
	s_mov_b32 s0, -1
	s_waitcnt vmcnt(0)
	v_lshlrev_b32_e32 v2, 16, v2
	s_delay_alu instid0(VALU_DEP_1)
	v_cvt_f64_f32_e32 v[2:3], v2
	s_branch .LBB6_887
.LBB6_885:
	s_mov_b32 s1, -1
                                        ; implicit-def: $vgpr2_vgpr3
	s_branch .LBB6_888
.LBB6_886:
	s_mov_b32 s23, -1
                                        ; implicit-def: $vgpr2_vgpr3
.LBB6_887:
	s_mov_b32 s1, 0
.LBB6_888:
	s_delay_alu instid0(SALU_CYCLE_1)
	s_and_b32 vcc_lo, exec_lo, s1
	s_cbranch_vccz .LBB6_890
; %bb.889:
	v_cmp_ne_u16_e32 vcc_lo, 11, v12
	s_and_not1_b32 s1, s23, exec_lo
	s_mov_b32 s24, -1
                                        ; implicit-def: $vgpr2_vgpr3
	s_and_b32 s23, vcc_lo, exec_lo
	s_delay_alu instid0(SALU_CYCLE_1)
	s_or_b32 s23, s1, s23
.LBB6_890:
	s_mov_b32 s1, 0
.LBB6_891:
	s_and_not1_b32 s25, s21, exec_lo
	s_and_b32 s23, s23, exec_lo
	s_and_b32 s26, s0, exec_lo
	;; [unrolled: 1-line block ×4, first 2 shown]
	s_or_b32 s25, s25, s23
.LBB6_892:
	s_or_b32 exec_lo, exec_lo, s14
	s_delay_alu instid0(SALU_CYCLE_1)
	s_and_not1_b32 s14, s21, exec_lo
	s_and_b32 s21, s25, exec_lo
	s_and_b32 s24, s26, exec_lo
	;; [unrolled: 1-line block ×4, first 2 shown]
	s_or_b32 s21, s14, s21
.LBB6_893:
	s_or_b32 exec_lo, exec_lo, s20
	s_delay_alu instid0(SALU_CYCLE_1)
	s_and_not1_b32 s0, s18, exec_lo
	s_and_b32 s14, s22, exec_lo
	s_and_b32 s20, s23, exec_lo
	s_or_b32 s18, s0, s14
	s_and_not1_b32 s14, s17, exec_lo
	s_and_b32 s17, s21, exec_lo
	s_and_b32 s0, s24, exec_lo
	;; [unrolled: 1-line block ×3, first 2 shown]
	s_or_b32 s17, s14, s17
.LBB6_894:
	s_or_b32 exec_lo, exec_lo, s19
	s_delay_alu instid0(SALU_CYCLE_1)
	s_and_not1_b32 s13, s13, exec_lo
	s_and_b32 s14, s18, exec_lo
	s_and_b32 s0, s0, exec_lo
	s_or_b32 s13, s13, s14
	s_and_not1_b32 s14, s15, exec_lo
	s_and_b32 s15, s17, exec_lo
	s_and_b32 s18, s20, exec_lo
	;; [unrolled: 1-line block ×3, first 2 shown]
	s_or_b32 s15, s14, s15
.LBB6_895:
	s_or_b32 exec_lo, exec_lo, s16
	s_mov_b32 s14, 0
	s_and_saveexec_b32 s1, s15
	s_cbranch_execnz .LBB6_907
; %bb.896:
	s_or_b32 exec_lo, exec_lo, s1
	s_and_saveexec_b32 s1, s17
	s_delay_alu instid0(SALU_CYCLE_1)
	s_xor_b32 s1, exec_lo, s1
	s_cbranch_execz .LBB6_898
.LBB6_897:
	global_load_u8 v2, v[0:1], off
	s_or_b32 s0, s0, exec_lo
	s_waitcnt vmcnt(0)
	v_cmp_ne_u16_e32 vcc_lo, 0, v2
	v_mov_b32_e32 v2, 0
	v_cndmask_b32_e64 v3, 0, 0x3ff00000, vcc_lo
.LBB6_898:
	s_or_b32 exec_lo, exec_lo, s1
	s_and_saveexec_b32 s1, s18
	s_cbranch_execz .LBB6_946
; %bb.899:
	v_cmp_gt_i16_e32 vcc_lo, 5, v12
	s_cbranch_vccnz .LBB6_904
; %bb.900:
	v_cmp_gt_i16_e32 vcc_lo, 8, v12
	s_cbranch_vccnz .LBB6_905
; %bb.901:
	v_cmp_gt_i16_e32 vcc_lo, 9, v12
	s_cbranch_vccnz .LBB6_906
; %bb.902:
	v_cmp_lt_i16_e32 vcc_lo, 9, v12
	s_cbranch_vccz .LBB6_909
; %bb.903:
	global_load_b64 v[2:3], v[0:1], off
	s_mov_b32 s15, 0
	s_branch .LBB6_910
.LBB6_904:
                                        ; implicit-def: $vgpr2_vgpr3
	s_branch .LBB6_927
.LBB6_905:
                                        ; implicit-def: $vgpr2_vgpr3
	s_branch .LBB6_916
.LBB6_906:
	s_mov_b32 s15, -1
                                        ; implicit-def: $vgpr2_vgpr3
	s_branch .LBB6_913
.LBB6_907:
	s_cbranch_execnz .LBB6_967
; %bb.908:
	s_mov_b32 s14, exec_lo
	s_and_not1_b32 s17, s17, exec_lo
                                        ; implicit-def: $vgpr2_vgpr3
	s_or_b32 exec_lo, exec_lo, s1
	s_and_saveexec_b32 s1, s17
	s_delay_alu instid0(SALU_CYCLE_1)
	s_xor_b32 s1, exec_lo, s1
	s_cbranch_execnz .LBB6_897
	s_branch .LBB6_898
.LBB6_909:
	s_mov_b32 s15, -1
                                        ; implicit-def: $vgpr2_vgpr3
.LBB6_910:
	s_delay_alu instid0(SALU_CYCLE_1)
	s_and_not1_b32 vcc_lo, exec_lo, s15
	s_cbranch_vccnz .LBB6_912
; %bb.911:
	global_load_b32 v2, v[0:1], off
	s_waitcnt vmcnt(0)
	v_cvt_f64_f32_e32 v[2:3], v2
.LBB6_912:
	s_mov_b32 s15, 0
.LBB6_913:
	s_delay_alu instid0(SALU_CYCLE_1)
	s_and_not1_b32 vcc_lo, exec_lo, s15
	s_cbranch_vccnz .LBB6_915
; %bb.914:
	global_load_b32 v2, v[0:1], off
	s_waitcnt vmcnt(0)
	v_cvt_f32_f16_e32 v2, v2
	s_delay_alu instid0(VALU_DEP_1)
	v_cvt_f64_f32_e32 v[2:3], v2
.LBB6_915:
	s_cbranch_execnz .LBB6_926
.LBB6_916:
	v_cmp_gt_i16_e32 vcc_lo, 6, v12
	s_cbranch_vccnz .LBB6_919
; %bb.917:
	v_cmp_lt_i16_e32 vcc_lo, 6, v12
	s_cbranch_vccz .LBB6_920
; %bb.918:
	global_load_b64 v[2:3], v[0:1], off
	s_mov_b32 s15, 0
	s_branch .LBB6_921
.LBB6_919:
	s_mov_b32 s15, -1
                                        ; implicit-def: $vgpr2_vgpr3
	s_branch .LBB6_924
.LBB6_920:
	s_mov_b32 s15, -1
                                        ; implicit-def: $vgpr2_vgpr3
.LBB6_921:
	s_delay_alu instid0(SALU_CYCLE_1)
	s_and_not1_b32 vcc_lo, exec_lo, s15
	s_cbranch_vccnz .LBB6_923
; %bb.922:
	global_load_b32 v2, v[0:1], off
	s_waitcnt vmcnt(0)
	v_cvt_f64_f32_e32 v[2:3], v2
.LBB6_923:
	s_mov_b32 s15, 0
.LBB6_924:
	s_delay_alu instid0(SALU_CYCLE_1)
	s_and_not1_b32 vcc_lo, exec_lo, s15
	s_cbranch_vccnz .LBB6_926
; %bb.925:
	global_load_u16 v2, v[0:1], off
	s_waitcnt vmcnt(0)
	v_cvt_f32_f16_e32 v2, v2
	s_delay_alu instid0(VALU_DEP_1)
	v_cvt_f64_f32_e32 v[2:3], v2
.LBB6_926:
	s_cbranch_execnz .LBB6_945
.LBB6_927:
	v_cmp_gt_i16_e32 vcc_lo, 2, v12
	s_cbranch_vccnz .LBB6_931
; %bb.928:
	v_cmp_gt_i16_e32 vcc_lo, 3, v12
	s_cbranch_vccnz .LBB6_932
; %bb.929:
	v_cmp_lt_i16_e32 vcc_lo, 3, v12
	s_cbranch_vccz .LBB6_933
; %bb.930:
	global_load_b64 v[2:3], v[0:1], off
	s_mov_b32 s15, 0
	s_waitcnt vmcnt(0)
	v_cvt_f64_i32_e32 v[6:7], v3
	v_cvt_f64_u32_e32 v[2:3], v2
	s_delay_alu instid0(VALU_DEP_2) | instskip(NEXT) | instid1(VALU_DEP_1)
	v_ldexp_f64 v[6:7], v[6:7], 32
	v_add_f64 v[2:3], v[6:7], v[2:3]
	s_branch .LBB6_934
.LBB6_931:
                                        ; implicit-def: $vgpr2_vgpr3
	s_branch .LBB6_940
.LBB6_932:
	s_mov_b32 s15, -1
                                        ; implicit-def: $vgpr2_vgpr3
	s_branch .LBB6_937
.LBB6_933:
	s_mov_b32 s15, -1
                                        ; implicit-def: $vgpr2_vgpr3
.LBB6_934:
	s_delay_alu instid0(SALU_CYCLE_1)
	s_and_not1_b32 vcc_lo, exec_lo, s15
	s_cbranch_vccnz .LBB6_936
; %bb.935:
	global_load_b32 v2, v[0:1], off
	s_waitcnt vmcnt(0)
	v_cvt_f64_i32_e32 v[2:3], v2
.LBB6_936:
	s_mov_b32 s15, 0
.LBB6_937:
	s_delay_alu instid0(SALU_CYCLE_1)
	s_and_not1_b32 vcc_lo, exec_lo, s15
	s_cbranch_vccnz .LBB6_939
; %bb.938:
	global_load_i16 v2, v[0:1], off
	s_waitcnt vmcnt(0)
	v_cvt_f64_i32_e32 v[2:3], v2
.LBB6_939:
	s_cbranch_execnz .LBB6_945
.LBB6_940:
	v_cmp_lt_i16_e32 vcc_lo, 0, v12
	s_mov_b32 s15, 0
	s_cbranch_vccz .LBB6_942
; %bb.941:
	global_load_i8 v2, v[0:1], off
	s_waitcnt vmcnt(0)
	v_cvt_f64_i32_e32 v[2:3], v2
	s_branch .LBB6_943
.LBB6_942:
	s_mov_b32 s15, -1
                                        ; implicit-def: $vgpr2_vgpr3
.LBB6_943:
	s_delay_alu instid0(SALU_CYCLE_1)
	s_and_not1_b32 vcc_lo, exec_lo, s15
	s_cbranch_vccnz .LBB6_945
; %bb.944:
	global_load_u8 v0, v[0:1], off
	s_waitcnt vmcnt(0)
	v_cvt_f64_u32_e32 v[2:3], v0
.LBB6_945:
	s_or_b32 s0, s0, exec_lo
.LBB6_946:
	s_or_b32 exec_lo, exec_lo, s1
	s_mov_b32 s16, 0
	s_mov_b32 s1, 0
                                        ; implicit-def: $vgpr8
                                        ; implicit-def: $vgpr6_vgpr7
                                        ; implicit-def: $vgpr0_vgpr1
	s_and_saveexec_b32 s15, s0
	s_cbranch_execz .LBB6_1038
; %bb.947:
	s_waitcnt vmcnt(0)
	s_delay_alu instid0(VALU_DEP_1) | instskip(SKIP_2) | instid1(VALU_DEP_2)
	v_trunc_f64_e32 v[0:1], v[2:3]
	v_cmp_class_f64_e64 vcc_lo, v[2:3], 0x1f8
	s_mov_b32 s16, exec_lo
	v_ldexp_f64 v[6:7], v[0:1], 0xffffffe0
	s_delay_alu instid0(VALU_DEP_1) | instskip(NEXT) | instid1(VALU_DEP_1)
	v_floor_f64_e32 v[6:7], v[6:7]
	v_fma_f64 v[0:1], 0xc1f00000, v[6:7], v[0:1]
	v_cvt_i32_f64_e32 v6, v[6:7]
	s_delay_alu instid0(VALU_DEP_2) | instskip(NEXT) | instid1(VALU_DEP_1)
	v_cvt_u32_f64_e32 v0, v[0:1]
	v_dual_cndmask_b32 v3, -1, v6 :: v_dual_cndmask_b32 v2, -1, v0
	v_mov_b32_e32 v0, 0
	v_mov_b32_e32 v1, 0
	s_delay_alu instid0(VALU_DEP_3)
	v_cmpx_lt_i64_e32 -1, v[2:3]
	s_cbranch_execz .LBB6_959
; %bb.948:
	v_mov_b32_e32 v0, 0
	v_mov_b32_e32 v1, 0x3ff00000
	s_mov_b32 s17, exec_lo
	v_cmpx_lt_i64_e32 0, v[2:3]
	s_cbranch_execz .LBB6_958
; %bb.949:
                                        ; implicit-def: $vgpr0_vgpr1
	s_mov_b32 s0, exec_lo
	v_cmpx_ne_u64_e32 1, v[2:3]
	s_xor_b32 s18, exec_lo, s0
	s_cbranch_execz .LBB6_955
; %bb.950:
	v_mov_b32_e32 v0, 0
	v_mov_b32_e32 v1, 0x7ff80000
	s_mov_b32 s19, exec_lo
	v_cmpx_gt_u64_e32 0x201, v[2:3]
	s_cbranch_execz .LBB6_954
; %bb.951:
	v_mov_b32_e32 v6, 0
	v_lshlrev_b64 v[2:3], 1, v[2:3]
	v_dual_mov_b32 v7, 0x3ff00000 :: v_dual_mov_b32 v0, v4
	v_mov_b32_e32 v1, v5
	s_mov_b64 s[0:1], 2
	s_mov_b32 s20, 0
	.p2align	6
.LBB6_952:                              ; =>This Inner Loop Header: Depth=1
	v_cvt_f64_u32_e32 v[8:9], s1
	v_cvt_f64_u32_e32 v[10:11], s0
	s_add_u32 s0, s0, 2
	s_addc_u32 s1, s1, 0
	s_delay_alu instid0(SALU_CYCLE_1) | instskip(SKIP_1) | instid1(VALU_DEP_3)
	v_cmp_ge_u64_e32 vcc_lo, s[0:1], v[2:3]
	s_or_b32 s20, vcc_lo, s20
	v_ldexp_f64 v[8:9], v[8:9], 32
	s_delay_alu instid0(VALU_DEP_1) | instskip(NEXT) | instid1(VALU_DEP_1)
	v_add_f64 v[8:9], v[8:9], v[10:11]
	v_mul_f64 v[6:7], v[6:7], v[8:9]
	v_dual_mov_b32 v9, v1 :: v_dual_mov_b32 v8, v0
	s_delay_alu instid0(VALU_DEP_1)
	v_fma_f64 v[0:1], v[4:5], v[8:9], -v[6:7]
	v_dual_mov_b32 v6, v8 :: v_dual_mov_b32 v7, v9
	s_and_not1_b32 exec_lo, exec_lo, s20
	s_cbranch_execnz .LBB6_952
; %bb.953:
	s_or_b32 exec_lo, exec_lo, s20
.LBB6_954:
	s_delay_alu instid0(SALU_CYCLE_1)
	s_or_b32 exec_lo, exec_lo, s19
                                        ; implicit-def: $vgpr4_vgpr5
.LBB6_955:
	s_and_not1_saveexec_b32 s0, s18
; %bb.956:
	v_dual_mov_b32 v0, v4 :: v_dual_mov_b32 v1, v5
; %bb.957:
	s_or_b32 exec_lo, exec_lo, s0
.LBB6_958:
	s_delay_alu instid0(SALU_CYCLE_1)
	s_or_b32 exec_lo, exec_lo, s17
.LBB6_959:
	s_delay_alu instid0(SALU_CYCLE_1) | instskip(SKIP_2) | instid1(VALU_DEP_1)
	s_or_b32 exec_lo, exec_lo, s16
	v_mul_lo_u32 v2, v14, s2
	v_and_b32_e64 v8, 0xff, s10
	v_cmp_gt_i16_e32 vcc_lo, 11, v8
	s_delay_alu instid0(VALU_DEP_3) | instskip(SKIP_1) | instid1(VALU_DEP_1)
	v_ashrrev_i32_e32 v3, 31, v2
	v_add_co_u32 v6, s0, s4, v2
	v_add_co_ci_u32_e64 v7, s0, s5, v3, s0
	s_cbranch_vccnz .LBB6_966
; %bb.960:
	v_cmp_lt_i16_e32 vcc_lo, 25, v8
	s_mov_b32 s1, -1
	s_mov_b32 s0, s13
	s_cbranch_vccz .LBB6_996
; %bb.961:
	v_cmp_lt_i16_e32 vcc_lo, 28, v8
	s_mov_b32 s0, s13
	s_cbranch_vccz .LBB6_980
; %bb.962:
	v_cmp_lt_i16_e32 vcc_lo, 43, v8
	;; [unrolled: 4-line block ×3, first 2 shown]
	s_mov_b32 s0, s13
	s_cbranch_vccz .LBB6_970
; %bb.964:
	v_cmp_eq_u16_e32 vcc_lo, 46, v8
	s_mov_b32 s0, -1
	s_cbranch_vccz .LBB6_969
; %bb.965:
	v_cvt_f32_f64_e32 v2, v[0:1]
	s_mov_b32 s0, 0
	s_mov_b32 s1, 0
	s_delay_alu instid0(VALU_DEP_1) | instskip(SKIP_1) | instid1(VALU_DEP_2)
	v_bfe_u32 v3, v2, 16, 1
	v_cmp_o_f32_e32 vcc_lo, v2, v2
	v_add3_u32 v3, v2, v3, 0x7fff
	s_delay_alu instid0(VALU_DEP_1) | instskip(NEXT) | instid1(VALU_DEP_1)
	v_lshrrev_b32_e32 v3, 16, v3
	v_cndmask_b32_e32 v2, 0x7fc0, v3, vcc_lo
	global_store_b32 v[6:7], v2, off
	s_branch .LBB6_970
.LBB6_966:
	s_mov_b32 s16, 0
	s_mov_b32 s1, -1
	s_mov_b32 s0, s13
	s_branch .LBB6_1037
.LBB6_967:
	s_trap 2
	s_sendmsg_rtn_b32 s0, sendmsg(MSG_RTN_GET_DOORBELL)
	s_mov_b32 ttmp2, m0
	s_waitcnt lgkmcnt(0)
	s_and_b32 s0, s0, 0x3ff
	s_delay_alu instid0(SALU_CYCLE_1) | instskip(NEXT) | instid1(SALU_CYCLE_1)
	s_bitset1_b32 s0, 10
	s_mov_b32 m0, s0
	s_sendmsg sendmsg(MSG_INTERRUPT)
	s_mov_b32 m0, ttmp2
.LBB6_968:                              ; =>This Inner Loop Header: Depth=1
	s_sethalt 5
	s_branch .LBB6_968
.LBB6_969:
	s_mov_b32 s1, 0
.LBB6_970:
	s_delay_alu instid0(SALU_CYCLE_1)
	s_and_b32 vcc_lo, exec_lo, s1
	s_cbranch_vccz .LBB6_975
; %bb.971:
	v_cmp_eq_u16_e32 vcc_lo, 44, v8
	s_mov_b32 s0, -1
	s_cbranch_vccz .LBB6_975
; %bb.972:
	v_cvt_f32_f64_e32 v2, v[0:1]
	v_mov_b32_e32 v3, 0xff
	s_mov_b32 s1, exec_lo
	s_delay_alu instid0(VALU_DEP_2) | instskip(NEXT) | instid1(VALU_DEP_1)
	v_bfe_u32 v4, v2, 23, 8
	v_cmpx_ne_u32_e32 0xff, v4
; %bb.973:
	v_and_b32_e32 v3, 0x400000, v2
	v_and_or_b32 v4, 0x3fffff, v2, v4
	v_lshrrev_b32_e32 v2, 23, v2
	s_delay_alu instid0(VALU_DEP_3) | instskip(NEXT) | instid1(VALU_DEP_3)
	v_cmp_ne_u32_e32 vcc_lo, 0, v3
	v_cmp_ne_u32_e64 s0, 0, v4
	s_delay_alu instid0(VALU_DEP_1) | instskip(NEXT) | instid1(SALU_CYCLE_1)
	s_and_b32 s0, vcc_lo, s0
	v_cndmask_b32_e64 v3, 0, 1, s0
	s_delay_alu instid0(VALU_DEP_1)
	v_add_nc_u32_e32 v3, v2, v3
; %bb.974:
	s_or_b32 exec_lo, exec_lo, s1
	s_mov_b32 s0, 0
	global_store_b8 v[6:7], v3, off
.LBB6_975:
	s_mov_b32 s1, 0
.LBB6_976:
	s_delay_alu instid0(SALU_CYCLE_1)
	s_and_b32 vcc_lo, exec_lo, s1
	s_cbranch_vccz .LBB6_979
; %bb.977:
	v_cmp_eq_u16_e32 vcc_lo, 29, v8
	s_mov_b32 s0, -1
	s_cbranch_vccz .LBB6_979
; %bb.978:
	v_trunc_f64_e32 v[2:3], v[0:1]
	s_mov_b32 s0, 0
	s_mov_b32 s1, 0
	s_delay_alu instid0(VALU_DEP_1) | instskip(NEXT) | instid1(VALU_DEP_1)
	v_ldexp_f64 v[4:5], v[2:3], 0xffffffe0
	v_floor_f64_e32 v[4:5], v[4:5]
	s_delay_alu instid0(VALU_DEP_1) | instskip(SKIP_1) | instid1(VALU_DEP_2)
	v_fma_f64 v[2:3], 0xc1f00000, v[4:5], v[2:3]
	v_cvt_u32_f64_e32 v4, v[4:5]
	v_cvt_u32_f64_e32 v3, v[2:3]
	global_store_b64 v[6:7], v[3:4], off
	s_branch .LBB6_980
.LBB6_979:
	s_mov_b32 s1, 0
.LBB6_980:
	s_delay_alu instid0(SALU_CYCLE_1)
	s_and_b32 vcc_lo, exec_lo, s1
	s_cbranch_vccz .LBB6_995
; %bb.981:
	v_cmp_gt_i16_e32 vcc_lo, 27, v8
	s_mov_b32 s1, -1
	s_cbranch_vccnz .LBB6_987
; %bb.982:
	v_cvt_u32_f64_e32 v2, v[0:1]
	v_cmp_lt_i16_e32 vcc_lo, 27, v8
	s_cbranch_vccz .LBB6_984
; %bb.983:
	s_mov_b32 s1, 0
	global_store_b32 v[6:7], v2, off
.LBB6_984:
	s_and_not1_b32 vcc_lo, exec_lo, s1
	s_cbranch_vccnz .LBB6_986
; %bb.985:
	global_store_b16 v[6:7], v2, off
.LBB6_986:
	s_mov_b32 s1, 0
.LBB6_987:
	s_delay_alu instid0(SALU_CYCLE_1)
	s_and_not1_b32 vcc_lo, exec_lo, s1
	s_cbranch_vccnz .LBB6_995
; %bb.988:
	v_cvt_f32_f64_e32 v2, v[0:1]
	v_mov_b32_e32 v4, 0x80
	s_mov_b32 s1, exec_lo
	s_delay_alu instid0(VALU_DEP_2) | instskip(NEXT) | instid1(VALU_DEP_1)
	v_and_b32_e32 v3, 0x7fffffff, v2
	v_cmpx_gt_u32_e32 0x43800000, v3
	s_cbranch_execz .LBB6_994
; %bb.989:
	v_cmp_lt_u32_e32 vcc_lo, 0x3bffffff, v3
	s_mov_b32 s16, 0
                                        ; implicit-def: $vgpr3
	s_and_saveexec_b32 s17, vcc_lo
	s_delay_alu instid0(SALU_CYCLE_1)
	s_xor_b32 s17, exec_lo, s17
	s_cbranch_execz .LBB6_1241
; %bb.990:
	v_bfe_u32 v3, v2, 20, 1
	s_mov_b32 s16, exec_lo
	s_delay_alu instid0(VALU_DEP_1) | instskip(NEXT) | instid1(VALU_DEP_1)
	v_add3_u32 v3, v2, v3, 0x487ffff
	v_lshrrev_b32_e32 v3, 20, v3
	s_or_saveexec_b32 s17, s17
                                        ; implicit-def: $sgpr18
	s_delay_alu instid0(SALU_CYCLE_1)
	s_xor_b32 exec_lo, exec_lo, s17
	s_cbranch_execnz .LBB6_1242
.LBB6_991:
	s_or_b32 exec_lo, exec_lo, s17
	v_mov_b32_e32 v4, s18
	s_and_saveexec_b32 s17, s16
.LBB6_992:
	v_lshrrev_b32_e32 v2, 24, v2
	s_delay_alu instid0(VALU_DEP_1)
	v_and_or_b32 v4, 0x80, v2, v3
.LBB6_993:
	s_or_b32 exec_lo, exec_lo, s17
.LBB6_994:
	s_delay_alu instid0(SALU_CYCLE_1)
	s_or_b32 exec_lo, exec_lo, s1
	global_store_b8 v[6:7], v4, off
.LBB6_995:
	s_mov_b32 s1, 0
.LBB6_996:
	s_delay_alu instid0(SALU_CYCLE_1)
	s_and_b32 vcc_lo, exec_lo, s1
	s_mov_b32 s1, 0
	s_cbranch_vccz .LBB6_1036
; %bb.997:
	v_cmp_lt_i16_e32 vcc_lo, 22, v8
	s_mov_b32 s16, -1
	s_cbranch_vccz .LBB6_1029
; %bb.998:
	v_cmp_gt_i16_e32 vcc_lo, 24, v8
	s_cbranch_vccnz .LBB6_1018
; %bb.999:
	v_cmp_lt_i16_e32 vcc_lo, 24, v8
	s_cbranch_vccz .LBB6_1007
; %bb.1000:
	v_cvt_f32_f64_e32 v2, v[0:1]
	v_mov_b32_e32 v4, 0x80
	s_mov_b32 s16, exec_lo
	s_delay_alu instid0(VALU_DEP_2) | instskip(NEXT) | instid1(VALU_DEP_1)
	v_and_b32_e32 v3, 0x7fffffff, v2
	v_cmpx_gt_u32_e32 0x47800000, v3
	s_cbranch_execz .LBB6_1006
; %bb.1001:
	v_cmp_lt_u32_e32 vcc_lo, 0x37ffffff, v3
	s_mov_b32 s17, 0
                                        ; implicit-def: $vgpr3
	s_and_saveexec_b32 s18, vcc_lo
	s_delay_alu instid0(SALU_CYCLE_1)
	s_xor_b32 s18, exec_lo, s18
	s_cbranch_execz .LBB6_1285
; %bb.1002:
	v_bfe_u32 v3, v2, 21, 1
	s_mov_b32 s17, exec_lo
	s_delay_alu instid0(VALU_DEP_1) | instskip(NEXT) | instid1(VALU_DEP_1)
	v_add3_u32 v3, v2, v3, 0x88fffff
	v_lshrrev_b32_e32 v3, 21, v3
	s_or_saveexec_b32 s18, s18
                                        ; implicit-def: $sgpr19
	s_delay_alu instid0(SALU_CYCLE_1)
	s_xor_b32 exec_lo, exec_lo, s18
	s_cbranch_execnz .LBB6_1286
.LBB6_1003:
	s_or_b32 exec_lo, exec_lo, s18
	v_mov_b32_e32 v4, s19
	s_and_saveexec_b32 s18, s17
.LBB6_1004:
	v_lshrrev_b32_e32 v2, 24, v2
	s_delay_alu instid0(VALU_DEP_1)
	v_and_or_b32 v4, 0x80, v2, v3
.LBB6_1005:
	s_or_b32 exec_lo, exec_lo, s18
.LBB6_1006:
	s_delay_alu instid0(SALU_CYCLE_1)
	s_or_b32 exec_lo, exec_lo, s16
	s_mov_b32 s16, 0
	global_store_b8 v[6:7], v4, off
.LBB6_1007:
	s_and_b32 vcc_lo, exec_lo, s16
	s_cbranch_vccz .LBB6_1017
; %bb.1008:
	v_cvt_f32_f64_e32 v2, v[0:1]
	s_mov_b32 s16, exec_lo
                                        ; implicit-def: $vgpr3
	s_delay_alu instid0(VALU_DEP_1) | instskip(NEXT) | instid1(VALU_DEP_1)
	v_and_b32_e32 v4, 0x7fffffff, v2
	v_cmpx_gt_u32_e32 0x43f00000, v4
	s_xor_b32 s16, exec_lo, s16
	s_cbranch_execz .LBB6_1014
; %bb.1009:
	s_mov_b32 s17, exec_lo
                                        ; implicit-def: $vgpr3
	v_cmpx_lt_u32_e32 0x3c7fffff, v4
	s_xor_b32 s17, exec_lo, s17
; %bb.1010:
	v_bfe_u32 v3, v2, 20, 1
	s_delay_alu instid0(VALU_DEP_1) | instskip(NEXT) | instid1(VALU_DEP_1)
	v_add3_u32 v3, v2, v3, 0x407ffff
	v_and_b32_e32 v4, 0xff00000, v3
	v_lshrrev_b32_e32 v3, 20, v3
	s_delay_alu instid0(VALU_DEP_2) | instskip(NEXT) | instid1(VALU_DEP_2)
	v_cmp_ne_u32_e32 vcc_lo, 0x7f00000, v4
	v_cndmask_b32_e32 v3, 0x7e, v3, vcc_lo
; %bb.1011:
	s_and_not1_saveexec_b32 s17, s17
; %bb.1012:
	v_add_f32_e64 v3, 0x46800000, |v2|
; %bb.1013:
	s_or_b32 exec_lo, exec_lo, s17
                                        ; implicit-def: $vgpr4
.LBB6_1014:
	s_and_not1_saveexec_b32 s16, s16
; %bb.1015:
	v_mov_b32_e32 v3, 0x7f
	v_cmp_lt_u32_e32 vcc_lo, 0x7f800000, v4
	s_delay_alu instid0(VALU_DEP_2)
	v_cndmask_b32_e32 v3, 0x7e, v3, vcc_lo
; %bb.1016:
	s_or_b32 exec_lo, exec_lo, s16
	v_lshrrev_b32_e32 v2, 24, v2
	s_delay_alu instid0(VALU_DEP_1)
	v_and_or_b32 v2, 0x80, v2, v3
	global_store_b8 v[6:7], v2, off
.LBB6_1017:
	s_mov_b32 s16, 0
.LBB6_1018:
	s_delay_alu instid0(SALU_CYCLE_1)
	s_and_not1_b32 vcc_lo, exec_lo, s16
	s_cbranch_vccnz .LBB6_1028
; %bb.1019:
	v_cvt_f32_f64_e32 v2, v[0:1]
	s_mov_b32 s16, exec_lo
                                        ; implicit-def: $vgpr3
	s_delay_alu instid0(VALU_DEP_1) | instskip(NEXT) | instid1(VALU_DEP_1)
	v_and_b32_e32 v4, 0x7fffffff, v2
	v_cmpx_gt_u32_e32 0x47800000, v4
	s_xor_b32 s16, exec_lo, s16
	s_cbranch_execz .LBB6_1025
; %bb.1020:
	s_mov_b32 s17, exec_lo
                                        ; implicit-def: $vgpr3
	v_cmpx_lt_u32_e32 0x387fffff, v4
	s_xor_b32 s17, exec_lo, s17
; %bb.1021:
	v_bfe_u32 v3, v2, 21, 1
	s_delay_alu instid0(VALU_DEP_1) | instskip(NEXT) | instid1(VALU_DEP_1)
	v_add3_u32 v3, v2, v3, 0x80fffff
	v_lshrrev_b32_e32 v3, 21, v3
; %bb.1022:
	s_and_not1_saveexec_b32 s17, s17
; %bb.1023:
	v_add_f32_e64 v3, 0x43000000, |v2|
; %bb.1024:
	s_or_b32 exec_lo, exec_lo, s17
                                        ; implicit-def: $vgpr4
.LBB6_1025:
	s_and_not1_saveexec_b32 s16, s16
; %bb.1026:
	v_mov_b32_e32 v3, 0x7f
	v_cmp_lt_u32_e32 vcc_lo, 0x7f800000, v4
	s_delay_alu instid0(VALU_DEP_2)
	v_cndmask_b32_e32 v3, 0x7c, v3, vcc_lo
; %bb.1027:
	s_or_b32 exec_lo, exec_lo, s16
	v_lshrrev_b32_e32 v2, 24, v2
	s_delay_alu instid0(VALU_DEP_1)
	v_and_or_b32 v2, 0x80, v2, v3
	global_store_b8 v[6:7], v2, off
.LBB6_1028:
	s_mov_b32 s16, 0
.LBB6_1029:
	s_delay_alu instid0(SALU_CYCLE_1)
	s_and_not1_b32 vcc_lo, exec_lo, s16
	s_mov_b32 s16, 0
	s_cbranch_vccnz .LBB6_1037
; %bb.1030:
	v_cmp_lt_i16_e32 vcc_lo, 14, v8
	s_mov_b32 s16, -1
	s_cbranch_vccz .LBB6_1034
; %bb.1031:
	v_cmp_eq_u16_e32 vcc_lo, 15, v8
	s_mov_b32 s0, -1
	s_cbranch_vccz .LBB6_1033
; %bb.1032:
	v_cvt_f32_f64_e32 v2, v[0:1]
	s_mov_b32 s0, 0
	s_delay_alu instid0(VALU_DEP_1) | instskip(SKIP_1) | instid1(VALU_DEP_2)
	v_bfe_u32 v3, v2, 16, 1
	v_cmp_o_f32_e32 vcc_lo, v2, v2
	v_add3_u32 v3, v2, v3, 0x7fff
	s_delay_alu instid0(VALU_DEP_1) | instskip(NEXT) | instid1(VALU_DEP_1)
	v_lshrrev_b32_e32 v3, 16, v3
	v_cndmask_b32_e32 v2, 0x7fc0, v3, vcc_lo
	global_store_b16 v[6:7], v2, off
.LBB6_1033:
	s_mov_b32 s16, 0
.LBB6_1034:
	s_delay_alu instid0(SALU_CYCLE_1)
	s_and_b32 vcc_lo, exec_lo, s16
	s_mov_b32 s16, 0
	s_cbranch_vccz .LBB6_1037
; %bb.1035:
	v_cmp_ne_u16_e32 vcc_lo, 11, v8
	s_and_not1_b32 s0, s0, exec_lo
	s_mov_b32 s16, -1
	s_and_b32 s17, vcc_lo, exec_lo
	s_delay_alu instid0(SALU_CYCLE_1)
	s_or_b32 s0, s0, s17
	s_branch .LBB6_1037
.LBB6_1036:
	s_mov_b32 s16, 0
.LBB6_1037:
	s_and_not1_b32 s13, s13, exec_lo
	s_and_b32 s0, s0, exec_lo
	s_and_b32 s1, s1, exec_lo
	s_and_b32 s16, s16, exec_lo
	s_or_b32 s13, s13, s0
.LBB6_1038:
	s_or_b32 exec_lo, exec_lo, s15
	s_and_saveexec_b32 s0, s13
	s_cbranch_execnz .LBB6_1100
; %bb.1039:
	s_or_b32 exec_lo, exec_lo, s0
	s_and_saveexec_b32 s0, s16
	s_delay_alu instid0(SALU_CYCLE_1)
	s_xor_b32 s0, exec_lo, s0
	s_cbranch_execz .LBB6_1041
.LBB6_1040:
	v_cmp_neq_f64_e32 vcc_lo, 0, v[0:1]
	s_waitcnt vmcnt(0)
	v_cndmask_b32_e64 v2, 0, 1, vcc_lo
	global_store_b8 v[6:7], v2, off
.LBB6_1041:
	s_or_b32 exec_lo, exec_lo, s0
	s_and_saveexec_b32 s0, s1
	s_delay_alu instid0(SALU_CYCLE_1)
	s_xor_b32 s0, exec_lo, s0
	s_cbranch_execz .LBB6_1079
; %bb.1042:
	v_cmp_gt_i16_e32 vcc_lo, 5, v8
	s_mov_b32 s1, -1
	s_cbranch_vccnz .LBB6_1063
; %bb.1043:
	v_cmp_gt_i16_e32 vcc_lo, 8, v8
	s_cbranch_vccnz .LBB6_1053
; %bb.1044:
	v_cmp_gt_i16_e32 vcc_lo, 9, v8
	s_cbranch_vccnz .LBB6_1050
; %bb.1045:
	v_cmp_lt_i16_e32 vcc_lo, 9, v8
	s_cbranch_vccz .LBB6_1047
; %bb.1046:
	s_waitcnt vmcnt(0)
	v_mov_b32_e32 v2, 0
	s_mov_b32 s1, 0
	s_delay_alu instid0(VALU_DEP_1)
	v_mov_b32_e32 v3, v2
	global_store_b128 v[6:7], v[0:3], off
.LBB6_1047:
	s_and_not1_b32 vcc_lo, exec_lo, s1
	s_cbranch_vccnz .LBB6_1049
; %bb.1048:
	s_waitcnt vmcnt(0)
	v_cvt_f32_f64_e32 v2, v[0:1]
	v_mov_b32_e32 v3, 0
	global_store_b64 v[6:7], v[2:3], off
.LBB6_1049:
	s_mov_b32 s1, 0
.LBB6_1050:
	s_delay_alu instid0(SALU_CYCLE_1)
	s_and_not1_b32 vcc_lo, exec_lo, s1
	s_cbranch_vccnz .LBB6_1052
; %bb.1051:
	s_waitcnt vmcnt(0)
	v_cvt_f32_f64_e32 v2, v[0:1]
	s_delay_alu instid0(VALU_DEP_1) | instskip(NEXT) | instid1(VALU_DEP_1)
	v_cvt_f16_f32_e32 v2, v2
	v_and_b32_e32 v2, 0xffff, v2
	global_store_b32 v[6:7], v2, off
.LBB6_1052:
	s_mov_b32 s1, 0
.LBB6_1053:
	s_delay_alu instid0(SALU_CYCLE_1)
	s_and_not1_b32 vcc_lo, exec_lo, s1
	s_cbranch_vccnz .LBB6_1062
; %bb.1054:
	v_cmp_gt_i16_e32 vcc_lo, 6, v8
	s_mov_b32 s1, -1
	s_cbranch_vccnz .LBB6_1060
; %bb.1055:
	v_cmp_lt_i16_e32 vcc_lo, 6, v8
	s_cbranch_vccz .LBB6_1057
; %bb.1056:
	s_mov_b32 s1, 0
	global_store_b64 v[6:7], v[0:1], off
.LBB6_1057:
	s_and_not1_b32 vcc_lo, exec_lo, s1
	s_cbranch_vccnz .LBB6_1059
; %bb.1058:
	s_waitcnt vmcnt(0)
	v_cvt_f32_f64_e32 v2, v[0:1]
	global_store_b32 v[6:7], v2, off
.LBB6_1059:
	s_mov_b32 s1, 0
.LBB6_1060:
	s_delay_alu instid0(SALU_CYCLE_1)
	s_and_not1_b32 vcc_lo, exec_lo, s1
	s_cbranch_vccnz .LBB6_1062
; %bb.1061:
	s_waitcnt vmcnt(0)
	v_cvt_f32_f64_e32 v2, v[0:1]
	s_delay_alu instid0(VALU_DEP_1)
	v_cvt_f16_f32_e32 v2, v2
	global_store_b16 v[6:7], v2, off
.LBB6_1062:
	s_mov_b32 s1, 0
.LBB6_1063:
	s_delay_alu instid0(SALU_CYCLE_1)
	s_and_not1_b32 vcc_lo, exec_lo, s1
	s_cbranch_vccnz .LBB6_1079
; %bb.1064:
	v_cmp_gt_i16_e32 vcc_lo, 2, v8
	s_mov_b32 s1, -1
	s_cbranch_vccnz .LBB6_1074
; %bb.1065:
	v_cmp_gt_i16_e32 vcc_lo, 3, v8
	s_cbranch_vccnz .LBB6_1071
; %bb.1066:
	v_cmp_lt_i16_e32 vcc_lo, 3, v8
	s_cbranch_vccz .LBB6_1068
; %bb.1067:
	s_waitcnt vmcnt(0)
	v_trunc_f64_e32 v[2:3], v[0:1]
	s_mov_b32 s1, 0
	s_delay_alu instid0(VALU_DEP_1) | instskip(NEXT) | instid1(VALU_DEP_1)
	v_ldexp_f64 v[4:5], v[2:3], 0xffffffe0
	v_floor_f64_e32 v[4:5], v[4:5]
	s_delay_alu instid0(VALU_DEP_1) | instskip(SKIP_1) | instid1(VALU_DEP_2)
	v_fma_f64 v[2:3], 0xc1f00000, v[4:5], v[2:3]
	v_cvt_i32_f64_e32 v4, v[4:5]
	v_cvt_u32_f64_e32 v3, v[2:3]
	global_store_b64 v[6:7], v[3:4], off
.LBB6_1068:
	s_and_not1_b32 vcc_lo, exec_lo, s1
	s_cbranch_vccnz .LBB6_1070
; %bb.1069:
	s_waitcnt vmcnt(0)
	v_cvt_i32_f64_e32 v2, v[0:1]
	global_store_b32 v[6:7], v2, off
.LBB6_1070:
	s_mov_b32 s1, 0
.LBB6_1071:
	s_delay_alu instid0(SALU_CYCLE_1)
	s_and_not1_b32 vcc_lo, exec_lo, s1
	s_cbranch_vccnz .LBB6_1073
; %bb.1072:
	s_waitcnt vmcnt(0)
	v_cvt_i32_f64_e32 v2, v[0:1]
	global_store_b16 v[6:7], v2, off
.LBB6_1073:
	s_mov_b32 s1, 0
.LBB6_1074:
	s_delay_alu instid0(SALU_CYCLE_1)
	s_and_not1_b32 vcc_lo, exec_lo, s1
	s_cbranch_vccnz .LBB6_1079
; %bb.1075:
	v_cmp_lt_i16_e32 vcc_lo, 0, v8
	s_mov_b32 s1, -1
	s_cbranch_vccz .LBB6_1077
; %bb.1076:
	s_waitcnt vmcnt(0)
	v_cvt_i32_f64_e32 v2, v[0:1]
	s_mov_b32 s1, 0
	global_store_b8 v[6:7], v2, off
.LBB6_1077:
	s_and_not1_b32 vcc_lo, exec_lo, s1
	s_cbranch_vccnz .LBB6_1079
; %bb.1078:
	v_trunc_f64_e32 v[0:1], v[0:1]
	s_waitcnt vmcnt(0)
	s_delay_alu instid0(VALU_DEP_1) | instskip(NEXT) | instid1(VALU_DEP_1)
	v_ldexp_f64 v[2:3], v[0:1], 0xffffffe0
	v_floor_f64_e32 v[2:3], v[2:3]
	s_delay_alu instid0(VALU_DEP_1) | instskip(NEXT) | instid1(VALU_DEP_1)
	v_fma_f64 v[0:1], 0xc1f00000, v[2:3], v[0:1]
	v_cvt_u32_f64_e32 v0, v[0:1]
	global_store_b8 v[6:7], v0, off
.LBB6_1079:
	s_or_b32 exec_lo, exec_lo, s0
	s_delay_alu instid0(SALU_CYCLE_1)
	s_and_b32 s13, s14, exec_lo
                                        ; implicit-def: $vgpr14
                                        ; implicit-def: $vgpr12
.LBB6_1080:
	s_or_saveexec_b32 s12, s12
	s_mov_b32 s0, 0
                                        ; implicit-def: $vgpr15
                                        ; implicit-def: $vgpr0_vgpr1
                                        ; implicit-def: $vgpr8_vgpr9
	s_xor_b32 exec_lo, exec_lo, s12
	s_cbranch_execz .LBB6_1738
; %bb.1081:
	v_mul_lo_u32 v8, s3, v14
	v_cmp_gt_i16_e32 vcc_lo, 11, v12
	s_delay_alu instid0(VALU_DEP_2) | instskip(SKIP_1) | instid1(VALU_DEP_1)
	v_ashrrev_i32_e32 v1, 31, v8
	v_add_co_u32 v0, s0, s6, v8
	v_add_co_ci_u32_e64 v1, s0, s7, v1, s0
	s_cbranch_vccnz .LBB6_1088
; %bb.1082:
	v_cmp_lt_i16_e32 vcc_lo, 25, v12
	s_mov_b32 s14, 0
	s_cbranch_vccz .LBB6_1094
; %bb.1083:
	v_cmp_lt_i16_e32 vcc_lo, 28, v12
	s_cbranch_vccz .LBB6_1096
; %bb.1084:
	v_cmp_lt_i16_e32 vcc_lo, 43, v12
	s_cbranch_vccz .LBB6_1098
; %bb.1085:
	v_cmp_lt_i16_e32 vcc_lo, 45, v12
	s_cbranch_vccz .LBB6_1102
; %bb.1086:
	v_cmp_eq_u16_e32 vcc_lo, 46, v12
	s_mov_b32 s1, 0
	s_cbranch_vccz .LBB6_1142
; %bb.1087:
	global_load_b32 v2, v[0:1], off
	s_mov_b32 s11, 0
	s_mov_b32 s0, -1
	s_waitcnt vmcnt(0)
	v_lshlrev_b32_e32 v2, 16, v2
	s_delay_alu instid0(VALU_DEP_1)
	v_cvt_f64_f32_e32 v[2:3], v2
	s_branch .LBB6_1144
.LBB6_1088:
	s_mov_b32 s0, 0
	s_mov_b32 s11, s13
                                        ; implicit-def: $vgpr2_vgpr3
	s_cbranch_execz .LBB6_1207
; %bb.1089:
	v_cmp_gt_i16_e32 vcc_lo, 5, v12
	s_cbranch_vccnz .LBB6_1095
; %bb.1090:
	v_cmp_gt_i16_e32 vcc_lo, 8, v12
	s_cbranch_vccnz .LBB6_1097
	;; [unrolled: 3-line block ×3, first 2 shown]
; %bb.1092:
	v_cmp_lt_i16_e32 vcc_lo, 9, v12
	s_cbranch_vccz .LBB6_1103
; %bb.1093:
	global_load_b64 v[2:3], v[0:1], off
	s_mov_b32 s0, 0
	s_branch .LBB6_1104
.LBB6_1094:
	s_mov_b32 s0, 0
	s_mov_b32 s11, 0
                                        ; implicit-def: $vgpr2_vgpr3
	s_cbranch_execnz .LBB6_1174
	s_branch .LBB6_1203
.LBB6_1095:
                                        ; implicit-def: $vgpr2_vgpr3
	s_branch .LBB6_1121
.LBB6_1096:
	s_mov_b32 s1, -1
	s_mov_b32 s0, 0
	s_mov_b32 s11, 0
                                        ; implicit-def: $vgpr2_vgpr3
	s_branch .LBB6_1153
.LBB6_1097:
                                        ; implicit-def: $vgpr2_vgpr3
	s_branch .LBB6_1110
.LBB6_1098:
	s_mov_b32 s0, 0
	s_mov_b32 s11, 0
                                        ; implicit-def: $vgpr2_vgpr3
	s_cbranch_execnz .LBB6_1149
	s_branch .LBB6_1152
.LBB6_1099:
	s_mov_b32 s0, -1
                                        ; implicit-def: $vgpr2_vgpr3
	s_branch .LBB6_1107
.LBB6_1100:
	s_cbranch_execnz .LBB6_1140
; %bb.1101:
	s_or_b32 s14, s14, exec_lo
	s_and_not1_b32 s16, s16, exec_lo
	s_or_b32 exec_lo, exec_lo, s0
	s_and_saveexec_b32 s0, s16
	s_delay_alu instid0(SALU_CYCLE_1)
	s_xor_b32 s0, exec_lo, s0
	s_cbranch_execnz .LBB6_1040
	s_branch .LBB6_1041
.LBB6_1102:
	s_mov_b32 s1, -1
	s_mov_b32 s0, 0
	s_mov_b32 s11, 0
	s_branch .LBB6_1143
.LBB6_1103:
	s_mov_b32 s0, -1
                                        ; implicit-def: $vgpr2_vgpr3
.LBB6_1104:
	s_delay_alu instid0(SALU_CYCLE_1)
	s_and_not1_b32 vcc_lo, exec_lo, s0
	s_cbranch_vccnz .LBB6_1106
; %bb.1105:
	global_load_b32 v2, v[0:1], off
	s_waitcnt vmcnt(0)
	v_cvt_f64_f32_e32 v[2:3], v2
.LBB6_1106:
	s_mov_b32 s0, 0
.LBB6_1107:
	s_delay_alu instid0(SALU_CYCLE_1)
	s_and_not1_b32 vcc_lo, exec_lo, s0
	s_cbranch_vccnz .LBB6_1109
; %bb.1108:
	global_load_b32 v2, v[0:1], off
	s_waitcnt vmcnt(0)
	v_cvt_f32_f16_e32 v2, v2
	s_delay_alu instid0(VALU_DEP_1)
	v_cvt_f64_f32_e32 v[2:3], v2
.LBB6_1109:
	s_cbranch_execnz .LBB6_1120
.LBB6_1110:
	v_cmp_gt_i16_e32 vcc_lo, 6, v12
	s_cbranch_vccnz .LBB6_1113
; %bb.1111:
	v_cmp_lt_i16_e32 vcc_lo, 6, v12
	s_cbranch_vccz .LBB6_1114
; %bb.1112:
	global_load_b64 v[2:3], v[0:1], off
	s_mov_b32 s0, 0
	s_branch .LBB6_1115
.LBB6_1113:
	s_mov_b32 s0, -1
                                        ; implicit-def: $vgpr2_vgpr3
	s_branch .LBB6_1118
.LBB6_1114:
	s_mov_b32 s0, -1
                                        ; implicit-def: $vgpr2_vgpr3
.LBB6_1115:
	s_delay_alu instid0(SALU_CYCLE_1)
	s_and_not1_b32 vcc_lo, exec_lo, s0
	s_cbranch_vccnz .LBB6_1117
; %bb.1116:
	global_load_b32 v2, v[0:1], off
	s_waitcnt vmcnt(0)
	v_cvt_f64_f32_e32 v[2:3], v2
.LBB6_1117:
	s_mov_b32 s0, 0
.LBB6_1118:
	s_delay_alu instid0(SALU_CYCLE_1)
	s_and_not1_b32 vcc_lo, exec_lo, s0
	s_cbranch_vccnz .LBB6_1120
; %bb.1119:
	global_load_u16 v2, v[0:1], off
	s_waitcnt vmcnt(0)
	v_cvt_f32_f16_e32 v2, v2
	s_delay_alu instid0(VALU_DEP_1)
	v_cvt_f64_f32_e32 v[2:3], v2
.LBB6_1120:
	s_cbranch_execnz .LBB6_1139
.LBB6_1121:
	v_cmp_gt_i16_e32 vcc_lo, 2, v12
	s_cbranch_vccnz .LBB6_1125
; %bb.1122:
	v_cmp_gt_i16_e32 vcc_lo, 3, v12
	s_cbranch_vccnz .LBB6_1126
; %bb.1123:
	v_cmp_lt_i16_e32 vcc_lo, 3, v12
	s_cbranch_vccz .LBB6_1127
; %bb.1124:
	global_load_b64 v[2:3], v[0:1], off
	s_mov_b32 s0, 0
	s_waitcnt vmcnt(0)
	v_cvt_f64_i32_e32 v[3:4], v3
	v_cvt_f64_u32_e32 v[5:6], v2
	s_delay_alu instid0(VALU_DEP_2) | instskip(NEXT) | instid1(VALU_DEP_1)
	v_ldexp_f64 v[3:4], v[3:4], 32
	v_add_f64 v[2:3], v[3:4], v[5:6]
	s_branch .LBB6_1128
.LBB6_1125:
                                        ; implicit-def: $vgpr2_vgpr3
	s_branch .LBB6_1134
.LBB6_1126:
	s_mov_b32 s0, -1
                                        ; implicit-def: $vgpr2_vgpr3
	s_branch .LBB6_1131
.LBB6_1127:
	s_mov_b32 s0, -1
                                        ; implicit-def: $vgpr2_vgpr3
.LBB6_1128:
	s_delay_alu instid0(SALU_CYCLE_1)
	s_and_not1_b32 vcc_lo, exec_lo, s0
	s_cbranch_vccnz .LBB6_1130
; %bb.1129:
	global_load_b32 v2, v[0:1], off
	s_waitcnt vmcnt(0)
	v_cvt_f64_i32_e32 v[2:3], v2
.LBB6_1130:
	s_mov_b32 s0, 0
.LBB6_1131:
	s_delay_alu instid0(SALU_CYCLE_1)
	s_and_not1_b32 vcc_lo, exec_lo, s0
	s_cbranch_vccnz .LBB6_1133
; %bb.1132:
	global_load_i16 v2, v[0:1], off
	s_waitcnt vmcnt(0)
	v_cvt_f64_i32_e32 v[2:3], v2
.LBB6_1133:
	s_cbranch_execnz .LBB6_1139
.LBB6_1134:
	v_cmp_lt_i16_e32 vcc_lo, 0, v12
	s_mov_b32 s0, 0
	s_cbranch_vccz .LBB6_1136
; %bb.1135:
	global_load_i8 v2, v[0:1], off
	s_waitcnt vmcnt(0)
	v_cvt_f64_i32_e32 v[2:3], v2
	s_branch .LBB6_1137
.LBB6_1136:
	s_mov_b32 s0, -1
                                        ; implicit-def: $vgpr2_vgpr3
.LBB6_1137:
	s_delay_alu instid0(SALU_CYCLE_1)
	s_and_not1_b32 vcc_lo, exec_lo, s0
	s_cbranch_vccnz .LBB6_1139
; %bb.1138:
	global_load_u8 v0, v[0:1], off
	s_waitcnt vmcnt(0)
	v_cvt_f64_u32_e32 v[2:3], v0
.LBB6_1139:
                                        ; implicit-def: $vgpr10_vgpr11
	s_branch .LBB6_1208
.LBB6_1140:
	s_trap 2
	s_sendmsg_rtn_b32 s0, sendmsg(MSG_RTN_GET_DOORBELL)
	s_mov_b32 ttmp2, m0
	s_waitcnt lgkmcnt(0)
	s_and_b32 s0, s0, 0x3ff
	s_delay_alu instid0(SALU_CYCLE_1) | instskip(NEXT) | instid1(SALU_CYCLE_1)
	s_bitset1_b32 s0, 10
	s_mov_b32 m0, s0
	s_sendmsg sendmsg(MSG_INTERRUPT)
	s_mov_b32 m0, ttmp2
.LBB6_1141:                             ; =>This Inner Loop Header: Depth=1
	s_sethalt 5
	s_branch .LBB6_1141
.LBB6_1142:
	s_mov_b32 s11, -1
	s_mov_b32 s0, 0
.LBB6_1143:
                                        ; implicit-def: $vgpr2_vgpr3
.LBB6_1144:
	s_and_b32 vcc_lo, exec_lo, s1
	s_cbranch_vccz .LBB6_1147
; %bb.1145:
	v_cmp_eq_u16_e32 vcc_lo, 44, v12
	s_cbranch_vccz .LBB6_1148
; %bb.1146:
	global_load_u8 v4, v[0:1], off
	s_mov_b32 s11, 0
	s_mov_b32 s0, -1
	s_waitcnt vmcnt(0)
	v_cmp_ne_u32_e32 vcc_lo, 0xff, v4
	v_lshlrev_b32_e32 v2, 23, v4
	s_delay_alu instid0(VALU_DEP_1) | instskip(NEXT) | instid1(VALU_DEP_1)
	v_cvt_f64_f32_e32 v[2:3], v2
	v_cndmask_b32_e32 v3, 0x7ff80000, v3, vcc_lo
	s_delay_alu instid0(VALU_DEP_2) | instskip(SKIP_1) | instid1(VALU_DEP_3)
	v_cndmask_b32_e32 v2, 0x20000000, v2, vcc_lo
	v_cmp_ne_u32_e32 vcc_lo, 0, v4
	v_cndmask_b32_e32 v3, 0x38000000, v3, vcc_lo
	s_delay_alu instid0(VALU_DEP_3)
	v_cndmask_b32_e32 v2, 0, v2, vcc_lo
.LBB6_1147:
	s_branch .LBB6_1152
.LBB6_1148:
	s_mov_b32 s11, -1
                                        ; implicit-def: $vgpr2_vgpr3
	s_branch .LBB6_1152
.LBB6_1149:
	v_cmp_eq_u16_e32 vcc_lo, 29, v12
	s_cbranch_vccz .LBB6_1151
; %bb.1150:
	global_load_b64 v[2:3], v[0:1], off
	s_mov_b32 s11, 0
	s_mov_b32 s0, -1
	s_mov_b32 s1, 0
	s_waitcnt vmcnt(0)
	v_cvt_f64_u32_e32 v[3:4], v3
	v_cvt_f64_u32_e32 v[5:6], v2
	s_delay_alu instid0(VALU_DEP_2) | instskip(NEXT) | instid1(VALU_DEP_1)
	v_ldexp_f64 v[3:4], v[3:4], 32
	v_add_f64 v[2:3], v[3:4], v[5:6]
	s_branch .LBB6_1153
.LBB6_1151:
	s_mov_b32 s11, -1
                                        ; implicit-def: $vgpr2_vgpr3
.LBB6_1152:
	s_mov_b32 s1, 0
.LBB6_1153:
	s_delay_alu instid0(SALU_CYCLE_1)
	s_and_b32 vcc_lo, exec_lo, s1
	s_cbranch_vccz .LBB6_1173
; %bb.1154:
	v_cmp_gt_i16_e32 vcc_lo, 27, v12
	s_cbranch_vccnz .LBB6_1157
; %bb.1155:
	v_cmp_lt_i16_e32 vcc_lo, 27, v12
	s_cbranch_vccz .LBB6_1158
; %bb.1156:
	global_load_b32 v2, v[0:1], off
	s_mov_b32 s0, 0
	s_waitcnt vmcnt(0)
	v_cvt_f64_u32_e32 v[2:3], v2
	s_branch .LBB6_1159
.LBB6_1157:
	s_mov_b32 s0, -1
                                        ; implicit-def: $vgpr2_vgpr3
	s_branch .LBB6_1162
.LBB6_1158:
	s_mov_b32 s0, -1
                                        ; implicit-def: $vgpr2_vgpr3
.LBB6_1159:
	s_delay_alu instid0(SALU_CYCLE_1)
	s_and_not1_b32 vcc_lo, exec_lo, s0
	s_cbranch_vccnz .LBB6_1161
; %bb.1160:
	global_load_u16 v2, v[0:1], off
	s_waitcnt vmcnt(0)
	v_cvt_f64_u32_e32 v[2:3], v2
.LBB6_1161:
	s_mov_b32 s0, 0
.LBB6_1162:
	s_delay_alu instid0(SALU_CYCLE_1)
	s_and_not1_b32 vcc_lo, exec_lo, s0
	s_cbranch_vccnz .LBB6_1172
; %bb.1163:
	global_load_u8 v4, v[0:1], off
	s_mov_b32 s15, 0
	s_mov_b32 s16, exec_lo
                                        ; implicit-def: $sgpr0_sgpr1
	s_waitcnt vmcnt(0)
	v_cmpx_lt_i16_e32 0x7f, v4
	s_xor_b32 s16, exec_lo, s16
	s_cbranch_execz .LBB6_1167
; %bb.1164:
	s_mov_b32 s17, -1
	s_mov_b32 s15, exec_lo
                                        ; implicit-def: $sgpr0_sgpr1
	v_cmpx_eq_u16_e32 0x80, v4
; %bb.1165:
	s_mov_b32 s1, 0x7ff80000
	s_brev_b32 s0, 4
	s_xor_b32 s17, exec_lo, -1
; %bb.1166:
	s_or_b32 exec_lo, exec_lo, s15
	s_delay_alu instid0(SALU_CYCLE_1)
	s_and_b32 s15, s17, exec_lo
.LBB6_1167:
	s_or_saveexec_b32 s16, s16
	v_dual_mov_b32 v3, s1 :: v_dual_mov_b32 v2, s0
	s_xor_b32 exec_lo, exec_lo, s16
; %bb.1168:
	v_cmp_ne_u16_e32 vcc_lo, 0, v4
	v_mov_b32_e32 v2, 0
	v_mov_b32_e32 v3, 0
	s_and_not1_b32 s0, s15, exec_lo
	s_and_b32 s1, vcc_lo, exec_lo
	s_delay_alu instid0(SALU_CYCLE_1)
	s_or_b32 s15, s0, s1
; %bb.1169:
	s_or_b32 exec_lo, exec_lo, s16
	s_and_saveexec_b32 s0, s15
	s_cbranch_execz .LBB6_1171
; %bb.1170:
	v_and_b32_e32 v2, 0xffff, v4
	v_lshlrev_b32_e32 v4, 24, v4
	s_delay_alu instid0(VALU_DEP_2) | instskip(NEXT) | instid1(VALU_DEP_2)
	v_and_b32_e32 v3, 7, v2
	v_and_b32_e32 v4, 0x80000000, v4
	s_delay_alu instid0(VALU_DEP_2) | instskip(NEXT) | instid1(VALU_DEP_1)
	v_clz_i32_u32_e32 v5, v3
	v_min_u32_e32 v5, 32, v5
	s_delay_alu instid0(VALU_DEP_1) | instskip(SKIP_1) | instid1(VALU_DEP_2)
	v_subrev_nc_u32_e32 v6, 28, v5
	v_sub_nc_u32_e32 v5, 29, v5
	v_lshlrev_b32_e32 v6, v6, v2
	v_bfe_u32 v2, v2, 3, 4
	s_delay_alu instid0(VALU_DEP_2) | instskip(NEXT) | instid1(VALU_DEP_2)
	v_and_b32_e32 v6, 7, v6
	v_cmp_eq_u32_e32 vcc_lo, 0, v2
	s_delay_alu instid0(VALU_DEP_2) | instskip(NEXT) | instid1(VALU_DEP_1)
	v_dual_cndmask_b32 v2, v2, v5 :: v_dual_cndmask_b32 v3, v3, v6
	v_lshl_add_u32 v2, v2, 23, 0x3b800000
	s_delay_alu instid0(VALU_DEP_2) | instskip(NEXT) | instid1(VALU_DEP_1)
	v_lshlrev_b32_e32 v3, 20, v3
	v_or3_b32 v2, v4, v2, v3
	s_delay_alu instid0(VALU_DEP_1)
	v_cvt_f64_f32_e32 v[2:3], v2
.LBB6_1171:
	s_or_b32 exec_lo, exec_lo, s0
.LBB6_1172:
	s_mov_b32 s0, -1
.LBB6_1173:
	s_branch .LBB6_1203
.LBB6_1174:
	v_cmp_lt_i16_e32 vcc_lo, 22, v12
	s_cbranch_vccz .LBB6_1186
; %bb.1175:
	v_cmp_gt_i16_e32 vcc_lo, 24, v12
	s_cbranch_vccnz .LBB6_1187
; %bb.1176:
	v_cmp_lt_i16_e32 vcc_lo, 24, v12
	s_cbranch_vccz .LBB6_1188
; %bb.1177:
	global_load_u8 v4, v[0:1], off
	s_mov_b32 s15, exec_lo
                                        ; implicit-def: $sgpr0_sgpr1
	s_waitcnt vmcnt(0)
	v_cmpx_lt_i16_e32 0x7f, v4
	s_xor_b32 s15, exec_lo, s15
	s_cbranch_execz .LBB6_1181
; %bb.1178:
	s_mov_b32 s16, -1
	s_mov_b32 s14, exec_lo
                                        ; implicit-def: $sgpr0_sgpr1
	v_cmpx_eq_u16_e32 0x80, v4
; %bb.1179:
	s_mov_b32 s1, 0x7ff80000
	s_brev_b32 s0, 4
	s_xor_b32 s16, exec_lo, -1
; %bb.1180:
	s_or_b32 exec_lo, exec_lo, s14
	s_delay_alu instid0(SALU_CYCLE_1)
	s_and_b32 s14, s16, exec_lo
.LBB6_1181:
	s_or_saveexec_b32 s15, s15
	v_dual_mov_b32 v3, s1 :: v_dual_mov_b32 v2, s0
	s_xor_b32 exec_lo, exec_lo, s15
; %bb.1182:
	v_cmp_ne_u16_e32 vcc_lo, 0, v4
	v_mov_b32_e32 v2, 0
	v_mov_b32_e32 v3, 0
	s_and_not1_b32 s0, s14, exec_lo
	s_and_b32 s1, vcc_lo, exec_lo
	s_delay_alu instid0(SALU_CYCLE_1)
	s_or_b32 s14, s0, s1
; %bb.1183:
	s_or_b32 exec_lo, exec_lo, s15
	s_and_saveexec_b32 s0, s14
	s_cbranch_execz .LBB6_1185
; %bb.1184:
	v_and_b32_e32 v2, 0xffff, v4
	v_lshlrev_b32_e32 v4, 24, v4
	s_delay_alu instid0(VALU_DEP_2) | instskip(NEXT) | instid1(VALU_DEP_2)
	v_and_b32_e32 v3, 3, v2
	v_and_b32_e32 v4, 0x80000000, v4
	s_delay_alu instid0(VALU_DEP_2) | instskip(NEXT) | instid1(VALU_DEP_1)
	v_clz_i32_u32_e32 v5, v3
	v_min_u32_e32 v5, 32, v5
	s_delay_alu instid0(VALU_DEP_1) | instskip(SKIP_1) | instid1(VALU_DEP_2)
	v_subrev_nc_u32_e32 v6, 29, v5
	v_sub_nc_u32_e32 v5, 30, v5
	v_lshlrev_b32_e32 v6, v6, v2
	v_bfe_u32 v2, v2, 2, 5
	s_delay_alu instid0(VALU_DEP_2) | instskip(NEXT) | instid1(VALU_DEP_2)
	v_and_b32_e32 v6, 3, v6
	v_cmp_eq_u32_e32 vcc_lo, 0, v2
	s_delay_alu instid0(VALU_DEP_2) | instskip(NEXT) | instid1(VALU_DEP_1)
	v_dual_cndmask_b32 v2, v2, v5 :: v_dual_cndmask_b32 v3, v3, v6
	v_lshl_add_u32 v2, v2, 23, 0x37800000
	s_delay_alu instid0(VALU_DEP_2) | instskip(NEXT) | instid1(VALU_DEP_1)
	v_lshlrev_b32_e32 v3, 21, v3
	v_or3_b32 v2, v4, v2, v3
	s_delay_alu instid0(VALU_DEP_1)
	v_cvt_f64_f32_e32 v[2:3], v2
.LBB6_1185:
	s_or_b32 exec_lo, exec_lo, s0
	s_mov_b32 s0, 0
	s_branch .LBB6_1189
.LBB6_1186:
                                        ; implicit-def: $vgpr2_vgpr3
	s_mov_b32 s14, 0
	s_branch .LBB6_1195
.LBB6_1187:
	s_mov_b32 s0, -1
                                        ; implicit-def: $vgpr2_vgpr3
	s_branch .LBB6_1192
.LBB6_1188:
	s_mov_b32 s0, -1
                                        ; implicit-def: $vgpr2_vgpr3
.LBB6_1189:
	s_delay_alu instid0(SALU_CYCLE_1)
	s_and_b32 vcc_lo, exec_lo, s0
	s_cbranch_vccz .LBB6_1191
; %bb.1190:
	global_load_u8 v2, v[0:1], off
	s_waitcnt vmcnt(0)
	v_lshlrev_b32_e32 v2, 24, v2
	s_delay_alu instid0(VALU_DEP_1) | instskip(NEXT) | instid1(VALU_DEP_1)
	v_and_b32_e32 v3, 0x7f000000, v2
	v_clz_i32_u32_e32 v4, v3
	v_add_nc_u32_e32 v6, 0x1000000, v3
	v_cmp_ne_u32_e32 vcc_lo, 0, v3
	s_delay_alu instid0(VALU_DEP_3) | instskip(NEXT) | instid1(VALU_DEP_1)
	v_min_u32_e32 v4, 32, v4
	v_sub_nc_u32_e64 v4, v4, 4 clamp
	s_delay_alu instid0(VALU_DEP_1) | instskip(SKIP_1) | instid1(VALU_DEP_2)
	v_lshlrev_b32_e32 v5, v4, v3
	v_lshlrev_b32_e32 v4, 23, v4
	v_lshrrev_b32_e32 v5, 4, v5
	s_delay_alu instid0(VALU_DEP_1) | instskip(SKIP_1) | instid1(VALU_DEP_2)
	v_sub_nc_u32_e32 v4, v5, v4
	v_ashrrev_i32_e32 v5, 8, v6
	v_add_nc_u32_e32 v4, 0x3c000000, v4
	s_delay_alu instid0(VALU_DEP_1) | instskip(NEXT) | instid1(VALU_DEP_1)
	v_and_or_b32 v4, 0x7f800000, v5, v4
	v_cndmask_b32_e32 v3, 0, v4, vcc_lo
	s_delay_alu instid0(VALU_DEP_1) | instskip(NEXT) | instid1(VALU_DEP_1)
	v_and_or_b32 v2, 0x80000000, v2, v3
	v_cvt_f64_f32_e32 v[2:3], v2
.LBB6_1191:
	s_mov_b32 s0, 0
.LBB6_1192:
	s_delay_alu instid0(SALU_CYCLE_1)
	s_and_not1_b32 vcc_lo, exec_lo, s0
	s_cbranch_vccnz .LBB6_1194
; %bb.1193:
	global_load_u8 v2, v[0:1], off
	s_waitcnt vmcnt(0)
	v_lshlrev_b32_e32 v3, 25, v2
	v_lshlrev_b16 v2, 8, v2
	s_delay_alu instid0(VALU_DEP_2) | instskip(NEXT) | instid1(VALU_DEP_2)
	v_lshrrev_b32_e32 v4, 4, v3
	v_and_or_b32 v5, 0x7f00, v2, 0.5
	v_bfe_i32 v2, v2, 0, 16
	s_delay_alu instid0(VALU_DEP_3) | instskip(NEXT) | instid1(VALU_DEP_1)
	v_or_b32_e32 v4, 0x70000000, v4
	v_dual_add_f32 v5, -0.5, v5 :: v_dual_mul_f32 v4, 0x7800000, v4
	v_cmp_gt_u32_e32 vcc_lo, 0x8000000, v3
	s_delay_alu instid0(VALU_DEP_2) | instskip(NEXT) | instid1(VALU_DEP_1)
	v_cndmask_b32_e32 v3, v4, v5, vcc_lo
	v_and_or_b32 v2, 0x80000000, v2, v3
	s_delay_alu instid0(VALU_DEP_1)
	v_cvt_f64_f32_e32 v[2:3], v2
.LBB6_1194:
	s_mov_b32 s0, -1
	s_mov_b32 s14, 0
	s_cbranch_execnz .LBB6_1203
.LBB6_1195:
	v_cmp_lt_i16_e32 vcc_lo, 14, v12
	s_cbranch_vccz .LBB6_1198
; %bb.1196:
	v_cmp_eq_u16_e32 vcc_lo, 15, v12
	s_cbranch_vccz .LBB6_1199
; %bb.1197:
	global_load_u16 v2, v[0:1], off
	s_mov_b32 s11, 0
	s_mov_b32 s0, -1
	s_waitcnt vmcnt(0)
	v_lshlrev_b32_e32 v2, 16, v2
	s_delay_alu instid0(VALU_DEP_1)
	v_cvt_f64_f32_e32 v[2:3], v2
	s_branch .LBB6_1200
.LBB6_1198:
	s_mov_b32 s1, -1
                                        ; implicit-def: $vgpr2_vgpr3
	s_branch .LBB6_1201
.LBB6_1199:
	s_mov_b32 s11, -1
                                        ; implicit-def: $vgpr2_vgpr3
.LBB6_1200:
	s_mov_b32 s1, 0
.LBB6_1201:
	s_delay_alu instid0(SALU_CYCLE_1)
	s_and_b32 vcc_lo, exec_lo, s1
	s_cbranch_vccz .LBB6_1203
; %bb.1202:
	v_cmp_ne_u16_e64 s11, 11, v12
	s_mov_b32 s14, -1
                                        ; implicit-def: $vgpr2_vgpr3
.LBB6_1203:
	s_delay_alu instid0(VALU_DEP_1)
	s_and_b32 vcc_lo, exec_lo, s11
	s_mov_b32 s11, s13
	s_cbranch_vccnz .LBB6_1239
; %bb.1204:
	s_and_not1_b32 vcc_lo, exec_lo, s14
	s_cbranch_vccnz .LBB6_1206
.LBB6_1205:
	global_load_u8 v2, v[0:1], off
	s_mov_b32 s0, -1
	s_waitcnt vmcnt(0)
	v_cmp_ne_u16_e32 vcc_lo, 0, v2
	v_mov_b32_e32 v2, 0
	v_cndmask_b32_e64 v3, 0, 0x3ff00000, vcc_lo
.LBB6_1206:
.LBB6_1207:
	s_and_not1_b32 vcc_lo, exec_lo, s0
                                        ; implicit-def: $vgpr10_vgpr11
	s_cbranch_vccnz .LBB6_1736
.LBB6_1208:
	s_waitcnt vmcnt(0)
	s_delay_alu instid0(VALU_DEP_1) | instskip(SKIP_2) | instid1(VALU_DEP_2)
	v_trunc_f64_e32 v[0:1], v[2:3]
	v_cmp_class_f64_e64 vcc_lo, v[2:3], 0x1f8
	s_mov_b32 s14, exec_lo
	v_ldexp_f64 v[4:5], v[0:1], 0xffffffe0
	s_delay_alu instid0(VALU_DEP_1) | instskip(NEXT) | instid1(VALU_DEP_1)
	v_floor_f64_e32 v[4:5], v[4:5]
	v_fma_f64 v[0:1], 0xc1f00000, v[4:5], v[0:1]
	v_cvt_i32_f64_e32 v4, v[4:5]
	s_delay_alu instid0(VALU_DEP_2) | instskip(NEXT) | instid1(VALU_DEP_2)
	v_cvt_u32_f64_e32 v0, v[0:1]
	v_cndmask_b32_e32 v3, -1, v4, vcc_lo
	s_delay_alu instid0(VALU_DEP_2) | instskip(SKIP_2) | instid1(VALU_DEP_3)
	v_cndmask_b32_e32 v2, -1, v0, vcc_lo
	v_mov_b32_e32 v0, 0
	v_mov_b32_e32 v1, 0
	v_cmpx_lt_i64_e32 -1, v[2:3]
	s_cbranch_execz .LBB6_1220
; %bb.1209:
	v_mov_b32_e32 v0, 0
	v_mov_b32_e32 v1, 0x3ff00000
	s_mov_b32 s15, exec_lo
	v_cmpx_lt_i64_e32 0, v[2:3]
	s_cbranch_execz .LBB6_1219
; %bb.1210:
                                        ; implicit-def: $vgpr0_vgpr1
	s_mov_b32 s0, exec_lo
	v_cmpx_ne_u64_e32 1, v[2:3]
	s_xor_b32 s16, exec_lo, s0
	s_cbranch_execz .LBB6_1216
; %bb.1211:
	v_mov_b32_e32 v0, 0
	v_mov_b32_e32 v1, 0x7ff80000
	s_mov_b32 s17, exec_lo
	v_cmpx_gt_u64_e32 0x201, v[2:3]
	s_cbranch_execz .LBB6_1215
; %bb.1212:
	v_add_f64 v[4:5], s[8:9], s[8:9]
	v_mov_b32_e32 v6, 0
	v_lshlrev_b64 v[2:3], 1, v[2:3]
	v_mov_b32_e32 v7, 0x3ff00000
	s_mov_b64 s[0:1], 2
	s_mov_b32 s18, 0
	s_delay_alu instid0(VALU_DEP_4)
	v_dual_mov_b32 v0, v4 :: v_dual_mov_b32 v1, v5
	.p2align	6
.LBB6_1213:                             ; =>This Inner Loop Header: Depth=1
	v_cvt_f64_u32_e32 v[9:10], s1
	v_cvt_f64_u32_e32 v[15:16], s0
	s_add_u32 s0, s0, 2
	s_addc_u32 s1, s1, 0
	s_delay_alu instid0(SALU_CYCLE_1) | instskip(SKIP_1) | instid1(VALU_DEP_3)
	v_cmp_ge_u64_e32 vcc_lo, s[0:1], v[2:3]
	s_or_b32 s18, vcc_lo, s18
	v_ldexp_f64 v[9:10], v[9:10], 32
	s_delay_alu instid0(VALU_DEP_1) | instskip(NEXT) | instid1(VALU_DEP_1)
	v_add_f64 v[9:10], v[9:10], v[15:16]
	v_mul_f64 v[6:7], v[6:7], v[9:10]
	v_dual_mov_b32 v10, v1 :: v_dual_mov_b32 v9, v0
	s_delay_alu instid0(VALU_DEP_1)
	v_fma_f64 v[0:1], v[4:5], v[9:10], -v[6:7]
	v_dual_mov_b32 v6, v9 :: v_dual_mov_b32 v7, v10
	s_and_not1_b32 exec_lo, exec_lo, s18
	s_cbranch_execnz .LBB6_1213
; %bb.1214:
	s_or_b32 exec_lo, exec_lo, s18
.LBB6_1215:
	s_delay_alu instid0(SALU_CYCLE_1)
	s_or_b32 exec_lo, exec_lo, s17
.LBB6_1216:
	s_and_not1_saveexec_b32 s0, s16
; %bb.1217:
	v_add_f64 v[0:1], s[8:9], s[8:9]
; %bb.1218:
	s_or_b32 exec_lo, exec_lo, s0
.LBB6_1219:
	s_delay_alu instid0(SALU_CYCLE_1)
	s_or_b32 exec_lo, exec_lo, s15
.LBB6_1220:
	s_delay_alu instid0(SALU_CYCLE_1) | instskip(SKIP_3) | instid1(VALU_DEP_1)
	s_or_b32 exec_lo, exec_lo, s14
	s_lshl_b32 s3, s3, 7
	v_cmp_gt_i16_e32 vcc_lo, 11, v12
	v_add_nc_u32_e32 v10, s3, v8
	v_ashrrev_i32_e32 v3, 31, v10
	v_add_co_u32 v2, s0, s6, v10
	s_delay_alu instid0(VALU_DEP_1)
	v_add_co_ci_u32_e64 v3, s0, s7, v3, s0
	s_cbranch_vccnz .LBB6_1227
; %bb.1221:
	v_cmp_lt_i16_e32 vcc_lo, 25, v12
	s_mov_b32 s15, 0
	s_cbranch_vccz .LBB6_1233
; %bb.1222:
	v_cmp_lt_i16_e32 vcc_lo, 28, v12
	s_cbranch_vccz .LBB6_1235
; %bb.1223:
	v_cmp_lt_i16_e32 vcc_lo, 43, v12
	;; [unrolled: 3-line block ×3, first 2 shown]
	s_cbranch_vccz .LBB6_1243
; %bb.1225:
	v_cmp_eq_u16_e32 vcc_lo, 46, v12
	s_mov_b32 s1, 0
	s_cbranch_vccz .LBB6_1287
; %bb.1226:
	global_load_b32 v4, v[2:3], off
	s_mov_b32 s14, 0
	s_mov_b32 s0, -1
	s_waitcnt vmcnt(0)
	v_lshlrev_b32_e32 v4, 16, v4
	s_delay_alu instid0(VALU_DEP_1)
	v_cvt_f64_f32_e32 v[4:5], v4
	s_branch .LBB6_1289
.LBB6_1227:
	s_mov_b32 s0, 0
                                        ; implicit-def: $vgpr4_vgpr5
	s_cbranch_execz .LBB6_1354
; %bb.1228:
	v_cmp_gt_i16_e32 vcc_lo, 5, v12
	s_cbranch_vccnz .LBB6_1234
; %bb.1229:
	v_cmp_gt_i16_e32 vcc_lo, 8, v12
	s_cbranch_vccnz .LBB6_1236
	;; [unrolled: 3-line block ×3, first 2 shown]
; %bb.1231:
	v_cmp_lt_i16_e32 vcc_lo, 9, v12
	s_cbranch_vccz .LBB6_1244
; %bb.1232:
	global_load_b64 v[4:5], v[2:3], off
	s_mov_b32 s0, 0
	s_branch .LBB6_1245
.LBB6_1233:
	s_mov_b32 s0, 0
	s_mov_b32 s14, 0
                                        ; implicit-def: $vgpr4_vgpr5
	s_cbranch_execnz .LBB6_1320
	s_branch .LBB6_1350
.LBB6_1234:
                                        ; implicit-def: $vgpr4_vgpr5
	s_branch .LBB6_1263
.LBB6_1235:
	s_mov_b32 s1, -1
	s_mov_b32 s0, 0
	s_mov_b32 s14, 0
                                        ; implicit-def: $vgpr4_vgpr5
	s_branch .LBB6_1299
.LBB6_1236:
	s_mov_b32 s0, -1
                                        ; implicit-def: $vgpr4_vgpr5
	s_branch .LBB6_1251
.LBB6_1237:
	s_mov_b32 s1, -1
	s_mov_b32 s0, 0
	s_mov_b32 s14, 0
                                        ; implicit-def: $vgpr4_vgpr5
	s_branch .LBB6_1294
.LBB6_1238:
	s_mov_b32 s0, -1
                                        ; implicit-def: $vgpr4_vgpr5
	s_branch .LBB6_1248
.LBB6_1239:
	s_cbranch_execnz .LBB6_1283
; %bb.1240:
	s_or_b32 s11, s13, exec_lo
                                        ; implicit-def: $vgpr2_vgpr3
	s_cbranch_execz .LBB6_1205
	s_branch .LBB6_1206
.LBB6_1241:
	s_or_saveexec_b32 s17, s17
                                        ; implicit-def: $sgpr18
	s_delay_alu instid0(SALU_CYCLE_1)
	s_xor_b32 exec_lo, exec_lo, s17
	s_cbranch_execz .LBB6_991
.LBB6_1242:
	v_add_f32_e64 v3, 0x46000000, |v2|
	s_and_not1_b32 s16, s16, exec_lo
	s_mov_b32 s18, 0
	s_delay_alu instid0(VALU_DEP_1) | instskip(NEXT) | instid1(VALU_DEP_1)
	v_and_b32_e32 v3, 0xff, v3
	v_cmp_ne_u32_e32 vcc_lo, 0, v3
	s_and_b32 s19, vcc_lo, exec_lo
	s_delay_alu instid0(SALU_CYCLE_1)
	s_or_b32 s16, s16, s19
	s_or_b32 exec_lo, exec_lo, s17
	v_mov_b32_e32 v4, s18
	s_and_saveexec_b32 s17, s16
	s_cbranch_execnz .LBB6_992
	s_branch .LBB6_993
.LBB6_1243:
	s_mov_b32 s1, -1
	s_mov_b32 s0, 0
	s_mov_b32 s14, 0
	s_branch .LBB6_1288
.LBB6_1244:
	s_mov_b32 s0, -1
                                        ; implicit-def: $vgpr4_vgpr5
.LBB6_1245:
	s_delay_alu instid0(SALU_CYCLE_1)
	s_and_not1_b32 vcc_lo, exec_lo, s0
	s_cbranch_vccnz .LBB6_1247
; %bb.1246:
	global_load_b32 v4, v[2:3], off
	s_waitcnt vmcnt(0)
	v_cvt_f64_f32_e32 v[4:5], v4
.LBB6_1247:
	s_mov_b32 s0, 0
.LBB6_1248:
	s_delay_alu instid0(SALU_CYCLE_1)
	s_and_not1_b32 vcc_lo, exec_lo, s0
	s_cbranch_vccnz .LBB6_1250
; %bb.1249:
	global_load_b32 v4, v[2:3], off
	s_waitcnt vmcnt(0)
	v_cvt_f32_f16_e32 v4, v4
	s_delay_alu instid0(VALU_DEP_1)
	v_cvt_f64_f32_e32 v[4:5], v4
.LBB6_1250:
	s_mov_b32 s0, 0
.LBB6_1251:
	s_delay_alu instid0(SALU_CYCLE_1)
	s_and_not1_b32 vcc_lo, exec_lo, s0
	s_cbranch_vccnz .LBB6_1262
; %bb.1252:
	v_cmp_gt_i16_e32 vcc_lo, 6, v12
	s_cbranch_vccnz .LBB6_1255
; %bb.1253:
	v_cmp_lt_i16_e32 vcc_lo, 6, v12
	s_cbranch_vccz .LBB6_1256
; %bb.1254:
	global_load_b64 v[4:5], v[2:3], off
	s_mov_b32 s0, 0
	s_branch .LBB6_1257
.LBB6_1255:
	s_mov_b32 s0, -1
                                        ; implicit-def: $vgpr4_vgpr5
	s_branch .LBB6_1260
.LBB6_1256:
	s_mov_b32 s0, -1
                                        ; implicit-def: $vgpr4_vgpr5
.LBB6_1257:
	s_delay_alu instid0(SALU_CYCLE_1)
	s_and_not1_b32 vcc_lo, exec_lo, s0
	s_cbranch_vccnz .LBB6_1259
; %bb.1258:
	global_load_b32 v4, v[2:3], off
	s_waitcnt vmcnt(0)
	v_cvt_f64_f32_e32 v[4:5], v4
.LBB6_1259:
	s_mov_b32 s0, 0
.LBB6_1260:
	s_delay_alu instid0(SALU_CYCLE_1)
	s_and_not1_b32 vcc_lo, exec_lo, s0
	s_cbranch_vccnz .LBB6_1262
; %bb.1261:
	global_load_u16 v4, v[2:3], off
	s_waitcnt vmcnt(0)
	v_cvt_f32_f16_e32 v4, v4
	s_delay_alu instid0(VALU_DEP_1)
	v_cvt_f64_f32_e32 v[4:5], v4
.LBB6_1262:
	s_cbranch_execnz .LBB6_1282
.LBB6_1263:
	v_cmp_gt_i16_e32 vcc_lo, 2, v12
	s_cbranch_vccnz .LBB6_1267
; %bb.1264:
	v_cmp_gt_i16_e32 vcc_lo, 3, v12
	s_cbranch_vccnz .LBB6_1268
; %bb.1265:
	v_cmp_lt_i16_e32 vcc_lo, 3, v12
	s_cbranch_vccz .LBB6_1269
; %bb.1266:
	global_load_b64 v[4:5], v[2:3], off
	s_mov_b32 s0, 0
	s_waitcnt vmcnt(0)
	v_cvt_f64_i32_e32 v[5:6], v5
	v_cvt_f64_u32_e32 v[7:8], v4
	s_delay_alu instid0(VALU_DEP_2) | instskip(NEXT) | instid1(VALU_DEP_1)
	v_ldexp_f64 v[5:6], v[5:6], 32
	v_add_f64 v[4:5], v[5:6], v[7:8]
	s_branch .LBB6_1270
.LBB6_1267:
	s_mov_b32 s0, -1
                                        ; implicit-def: $vgpr4_vgpr5
	s_branch .LBB6_1276
.LBB6_1268:
	s_mov_b32 s0, -1
                                        ; implicit-def: $vgpr4_vgpr5
	s_branch .LBB6_1273
.LBB6_1269:
	s_mov_b32 s0, -1
                                        ; implicit-def: $vgpr4_vgpr5
.LBB6_1270:
	s_delay_alu instid0(SALU_CYCLE_1)
	s_and_not1_b32 vcc_lo, exec_lo, s0
	s_cbranch_vccnz .LBB6_1272
; %bb.1271:
	global_load_b32 v4, v[2:3], off
	s_waitcnt vmcnt(0)
	v_cvt_f64_i32_e32 v[4:5], v4
.LBB6_1272:
	s_mov_b32 s0, 0
.LBB6_1273:
	s_delay_alu instid0(SALU_CYCLE_1)
	s_and_not1_b32 vcc_lo, exec_lo, s0
	s_cbranch_vccnz .LBB6_1275
; %bb.1274:
	global_load_i16 v4, v[2:3], off
	s_waitcnt vmcnt(0)
	v_cvt_f64_i32_e32 v[4:5], v4
.LBB6_1275:
	s_mov_b32 s0, 0
.LBB6_1276:
	s_delay_alu instid0(SALU_CYCLE_1)
	s_and_not1_b32 vcc_lo, exec_lo, s0
	s_cbranch_vccnz .LBB6_1282
; %bb.1277:
	v_cmp_lt_i16_e32 vcc_lo, 0, v12
	s_mov_b32 s0, 0
	s_cbranch_vccz .LBB6_1279
; %bb.1278:
	global_load_i8 v4, v[2:3], off
	s_waitcnt vmcnt(0)
	v_cvt_f64_i32_e32 v[4:5], v4
	s_branch .LBB6_1280
.LBB6_1279:
	s_mov_b32 s0, -1
                                        ; implicit-def: $vgpr4_vgpr5
.LBB6_1280:
	s_delay_alu instid0(SALU_CYCLE_1)
	s_and_not1_b32 vcc_lo, exec_lo, s0
	s_cbranch_vccnz .LBB6_1282
; %bb.1281:
	global_load_u8 v2, v[2:3], off
	s_waitcnt vmcnt(0)
	v_cvt_f64_u32_e32 v[4:5], v2
.LBB6_1282:
	s_branch .LBB6_1355
.LBB6_1283:
	s_trap 2
	s_sendmsg_rtn_b32 s0, sendmsg(MSG_RTN_GET_DOORBELL)
	s_mov_b32 ttmp2, m0
	s_waitcnt lgkmcnt(0)
	s_and_b32 s0, s0, 0x3ff
	s_delay_alu instid0(SALU_CYCLE_1) | instskip(NEXT) | instid1(SALU_CYCLE_1)
	s_bitset1_b32 s0, 10
	s_mov_b32 m0, s0
	s_sendmsg sendmsg(MSG_INTERRUPT)
	s_mov_b32 m0, ttmp2
.LBB6_1284:                             ; =>This Inner Loop Header: Depth=1
	s_sethalt 5
	s_branch .LBB6_1284
.LBB6_1285:
	s_or_saveexec_b32 s18, s18
                                        ; implicit-def: $sgpr19
	s_delay_alu instid0(SALU_CYCLE_1)
	s_xor_b32 exec_lo, exec_lo, s18
	s_cbranch_execz .LBB6_1003
.LBB6_1286:
	v_add_f32_e64 v3, 0x42800000, |v2|
	s_and_not1_b32 s17, s17, exec_lo
	s_mov_b32 s19, 0
	s_delay_alu instid0(VALU_DEP_1) | instskip(NEXT) | instid1(VALU_DEP_1)
	v_and_b32_e32 v3, 0xff, v3
	v_cmp_ne_u32_e32 vcc_lo, 0, v3
	s_and_b32 s20, vcc_lo, exec_lo
	s_delay_alu instid0(SALU_CYCLE_1)
	s_or_b32 s17, s17, s20
	s_or_b32 exec_lo, exec_lo, s18
	v_mov_b32_e32 v4, s19
	s_and_saveexec_b32 s18, s17
	s_cbranch_execnz .LBB6_1004
	s_branch .LBB6_1005
.LBB6_1287:
	s_mov_b32 s14, -1
	s_mov_b32 s0, 0
.LBB6_1288:
                                        ; implicit-def: $vgpr4_vgpr5
.LBB6_1289:
	s_and_b32 vcc_lo, exec_lo, s1
	s_cbranch_vccz .LBB6_1293
; %bb.1290:
	v_cmp_eq_u16_e32 vcc_lo, 44, v12
	s_cbranch_vccz .LBB6_1292
; %bb.1291:
	global_load_u8 v6, v[2:3], off
	s_mov_b32 s14, 0
	s_mov_b32 s0, -1
	s_waitcnt vmcnt(0)
	v_cmp_ne_u32_e32 vcc_lo, 0xff, v6
	v_lshlrev_b32_e32 v4, 23, v6
	s_delay_alu instid0(VALU_DEP_1) | instskip(NEXT) | instid1(VALU_DEP_1)
	v_cvt_f64_f32_e32 v[4:5], v4
	v_cndmask_b32_e32 v5, 0x7ff80000, v5, vcc_lo
	s_delay_alu instid0(VALU_DEP_2) | instskip(SKIP_1) | instid1(VALU_DEP_3)
	v_cndmask_b32_e32 v4, 0x20000000, v4, vcc_lo
	v_cmp_ne_u32_e32 vcc_lo, 0, v6
	v_cndmask_b32_e32 v5, 0x38000000, v5, vcc_lo
	s_delay_alu instid0(VALU_DEP_3)
	v_cndmask_b32_e32 v4, 0, v4, vcc_lo
	s_branch .LBB6_1293
.LBB6_1292:
	s_mov_b32 s14, -1
                                        ; implicit-def: $vgpr4_vgpr5
.LBB6_1293:
	s_mov_b32 s1, 0
.LBB6_1294:
	s_delay_alu instid0(SALU_CYCLE_1)
	s_and_b32 vcc_lo, exec_lo, s1
	s_cbranch_vccz .LBB6_1298
; %bb.1295:
	v_cmp_eq_u16_e32 vcc_lo, 29, v12
	s_cbranch_vccz .LBB6_1297
; %bb.1296:
	global_load_b64 v[4:5], v[2:3], off
	s_mov_b32 s14, 0
	s_mov_b32 s0, -1
	s_mov_b32 s1, 0
	s_waitcnt vmcnt(0)
	v_cvt_f64_u32_e32 v[5:6], v5
	v_cvt_f64_u32_e32 v[7:8], v4
	s_delay_alu instid0(VALU_DEP_2) | instskip(NEXT) | instid1(VALU_DEP_1)
	v_ldexp_f64 v[5:6], v[5:6], 32
	v_add_f64 v[4:5], v[5:6], v[7:8]
	s_branch .LBB6_1299
.LBB6_1297:
	s_mov_b32 s14, -1
                                        ; implicit-def: $vgpr4_vgpr5
.LBB6_1298:
	s_mov_b32 s1, 0
.LBB6_1299:
	s_delay_alu instid0(SALU_CYCLE_1)
	s_and_b32 vcc_lo, exec_lo, s1
	s_cbranch_vccz .LBB6_1319
; %bb.1300:
	v_cmp_gt_i16_e32 vcc_lo, 27, v12
	s_cbranch_vccnz .LBB6_1303
; %bb.1301:
	v_cmp_lt_i16_e32 vcc_lo, 27, v12
	s_cbranch_vccz .LBB6_1304
; %bb.1302:
	global_load_b32 v4, v[2:3], off
	s_mov_b32 s0, 0
	s_waitcnt vmcnt(0)
	v_cvt_f64_u32_e32 v[4:5], v4
	s_branch .LBB6_1305
.LBB6_1303:
	s_mov_b32 s0, -1
                                        ; implicit-def: $vgpr4_vgpr5
	s_branch .LBB6_1308
.LBB6_1304:
	s_mov_b32 s0, -1
                                        ; implicit-def: $vgpr4_vgpr5
.LBB6_1305:
	s_delay_alu instid0(SALU_CYCLE_1)
	s_and_not1_b32 vcc_lo, exec_lo, s0
	s_cbranch_vccnz .LBB6_1307
; %bb.1306:
	global_load_u16 v4, v[2:3], off
	s_waitcnt vmcnt(0)
	v_cvt_f64_u32_e32 v[4:5], v4
.LBB6_1307:
	s_mov_b32 s0, 0
.LBB6_1308:
	s_delay_alu instid0(SALU_CYCLE_1)
	s_and_not1_b32 vcc_lo, exec_lo, s0
	s_cbranch_vccnz .LBB6_1318
; %bb.1309:
	global_load_u8 v6, v[2:3], off
	s_mov_b32 s16, 0
	s_mov_b32 s17, exec_lo
                                        ; implicit-def: $sgpr0_sgpr1
	s_waitcnt vmcnt(0)
	v_cmpx_lt_i16_e32 0x7f, v6
	s_xor_b32 s17, exec_lo, s17
	s_cbranch_execz .LBB6_1313
; %bb.1310:
	s_mov_b32 s18, -1
	s_mov_b32 s16, exec_lo
                                        ; implicit-def: $sgpr0_sgpr1
	v_cmpx_eq_u16_e32 0x80, v6
; %bb.1311:
	s_mov_b32 s1, 0x7ff80000
	s_brev_b32 s0, 4
	s_xor_b32 s18, exec_lo, -1
; %bb.1312:
	s_or_b32 exec_lo, exec_lo, s16
	s_delay_alu instid0(SALU_CYCLE_1)
	s_and_b32 s16, s18, exec_lo
.LBB6_1313:
	s_or_saveexec_b32 s17, s17
	v_dual_mov_b32 v5, s1 :: v_dual_mov_b32 v4, s0
	s_xor_b32 exec_lo, exec_lo, s17
; %bb.1314:
	v_cmp_ne_u16_e32 vcc_lo, 0, v6
	v_mov_b32_e32 v4, 0
	v_mov_b32_e32 v5, 0
	s_and_not1_b32 s0, s16, exec_lo
	s_and_b32 s1, vcc_lo, exec_lo
	s_delay_alu instid0(SALU_CYCLE_1)
	s_or_b32 s16, s0, s1
; %bb.1315:
	s_or_b32 exec_lo, exec_lo, s17
	s_and_saveexec_b32 s0, s16
	s_cbranch_execz .LBB6_1317
; %bb.1316:
	v_and_b32_e32 v4, 0xffff, v6
	v_lshlrev_b32_e32 v6, 24, v6
	s_delay_alu instid0(VALU_DEP_2) | instskip(NEXT) | instid1(VALU_DEP_2)
	v_and_b32_e32 v5, 7, v4
	v_and_b32_e32 v6, 0x80000000, v6
	s_delay_alu instid0(VALU_DEP_2) | instskip(NEXT) | instid1(VALU_DEP_1)
	v_clz_i32_u32_e32 v7, v5
	v_min_u32_e32 v7, 32, v7
	s_delay_alu instid0(VALU_DEP_1) | instskip(SKIP_1) | instid1(VALU_DEP_2)
	v_subrev_nc_u32_e32 v8, 28, v7
	v_sub_nc_u32_e32 v7, 29, v7
	v_lshlrev_b32_e32 v8, v8, v4
	v_bfe_u32 v4, v4, 3, 4
	s_delay_alu instid0(VALU_DEP_2) | instskip(NEXT) | instid1(VALU_DEP_2)
	v_and_b32_e32 v8, 7, v8
	v_cmp_eq_u32_e32 vcc_lo, 0, v4
	s_delay_alu instid0(VALU_DEP_2) | instskip(NEXT) | instid1(VALU_DEP_1)
	v_dual_cndmask_b32 v4, v4, v7 :: v_dual_cndmask_b32 v5, v5, v8
	v_lshl_add_u32 v4, v4, 23, 0x3b800000
	s_delay_alu instid0(VALU_DEP_2) | instskip(NEXT) | instid1(VALU_DEP_1)
	v_lshlrev_b32_e32 v5, 20, v5
	v_or3_b32 v4, v6, v4, v5
	s_delay_alu instid0(VALU_DEP_1)
	v_cvt_f64_f32_e32 v[4:5], v4
.LBB6_1317:
	s_or_b32 exec_lo, exec_lo, s0
.LBB6_1318:
	s_mov_b32 s0, -1
.LBB6_1319:
	s_branch .LBB6_1350
.LBB6_1320:
	v_cmp_lt_i16_e32 vcc_lo, 22, v12
	s_cbranch_vccz .LBB6_1332
; %bb.1321:
	v_cmp_gt_i16_e32 vcc_lo, 24, v12
	s_cbranch_vccnz .LBB6_1333
; %bb.1322:
	v_cmp_lt_i16_e32 vcc_lo, 24, v12
	s_cbranch_vccz .LBB6_1334
; %bb.1323:
	global_load_u8 v6, v[2:3], off
	s_mov_b32 s16, exec_lo
                                        ; implicit-def: $sgpr0_sgpr1
	s_waitcnt vmcnt(0)
	v_cmpx_lt_i16_e32 0x7f, v6
	s_xor_b32 s16, exec_lo, s16
	s_cbranch_execz .LBB6_1327
; %bb.1324:
	s_mov_b32 s17, -1
	s_mov_b32 s15, exec_lo
                                        ; implicit-def: $sgpr0_sgpr1
	v_cmpx_eq_u16_e32 0x80, v6
; %bb.1325:
	s_mov_b32 s1, 0x7ff80000
	s_brev_b32 s0, 4
	s_xor_b32 s17, exec_lo, -1
; %bb.1326:
	s_or_b32 exec_lo, exec_lo, s15
	s_delay_alu instid0(SALU_CYCLE_1)
	s_and_b32 s15, s17, exec_lo
.LBB6_1327:
	s_or_saveexec_b32 s16, s16
	v_dual_mov_b32 v5, s1 :: v_dual_mov_b32 v4, s0
	s_xor_b32 exec_lo, exec_lo, s16
; %bb.1328:
	v_cmp_ne_u16_e32 vcc_lo, 0, v6
	v_mov_b32_e32 v4, 0
	v_mov_b32_e32 v5, 0
	s_and_not1_b32 s0, s15, exec_lo
	s_and_b32 s1, vcc_lo, exec_lo
	s_delay_alu instid0(SALU_CYCLE_1)
	s_or_b32 s15, s0, s1
; %bb.1329:
	s_or_b32 exec_lo, exec_lo, s16
	s_and_saveexec_b32 s0, s15
	s_cbranch_execz .LBB6_1331
; %bb.1330:
	v_and_b32_e32 v4, 0xffff, v6
	v_lshlrev_b32_e32 v6, 24, v6
	s_delay_alu instid0(VALU_DEP_2) | instskip(NEXT) | instid1(VALU_DEP_2)
	v_and_b32_e32 v5, 3, v4
	v_and_b32_e32 v6, 0x80000000, v6
	s_delay_alu instid0(VALU_DEP_2) | instskip(NEXT) | instid1(VALU_DEP_1)
	v_clz_i32_u32_e32 v7, v5
	v_min_u32_e32 v7, 32, v7
	s_delay_alu instid0(VALU_DEP_1) | instskip(SKIP_1) | instid1(VALU_DEP_2)
	v_subrev_nc_u32_e32 v8, 29, v7
	v_sub_nc_u32_e32 v7, 30, v7
	v_lshlrev_b32_e32 v8, v8, v4
	v_bfe_u32 v4, v4, 2, 5
	s_delay_alu instid0(VALU_DEP_2) | instskip(NEXT) | instid1(VALU_DEP_2)
	v_and_b32_e32 v8, 3, v8
	v_cmp_eq_u32_e32 vcc_lo, 0, v4
	s_delay_alu instid0(VALU_DEP_2) | instskip(NEXT) | instid1(VALU_DEP_1)
	v_dual_cndmask_b32 v4, v4, v7 :: v_dual_cndmask_b32 v5, v5, v8
	v_lshl_add_u32 v4, v4, 23, 0x37800000
	s_delay_alu instid0(VALU_DEP_2) | instskip(NEXT) | instid1(VALU_DEP_1)
	v_lshlrev_b32_e32 v5, 21, v5
	v_or3_b32 v4, v6, v4, v5
	s_delay_alu instid0(VALU_DEP_1)
	v_cvt_f64_f32_e32 v[4:5], v4
.LBB6_1331:
	s_or_b32 exec_lo, exec_lo, s0
	s_mov_b32 s0, 0
	s_branch .LBB6_1335
.LBB6_1332:
	s_mov_b32 s1, -1
                                        ; implicit-def: $vgpr4_vgpr5
	s_branch .LBB6_1341
.LBB6_1333:
	s_mov_b32 s0, -1
                                        ; implicit-def: $vgpr4_vgpr5
	s_branch .LBB6_1338
.LBB6_1334:
	s_mov_b32 s0, -1
                                        ; implicit-def: $vgpr4_vgpr5
.LBB6_1335:
	s_delay_alu instid0(SALU_CYCLE_1)
	s_and_b32 vcc_lo, exec_lo, s0
	s_cbranch_vccz .LBB6_1337
; %bb.1336:
	global_load_u8 v4, v[2:3], off
	s_waitcnt vmcnt(0)
	v_lshlrev_b32_e32 v4, 24, v4
	s_delay_alu instid0(VALU_DEP_1) | instskip(NEXT) | instid1(VALU_DEP_1)
	v_and_b32_e32 v5, 0x7f000000, v4
	v_clz_i32_u32_e32 v6, v5
	v_add_nc_u32_e32 v8, 0x1000000, v5
	v_cmp_ne_u32_e32 vcc_lo, 0, v5
	s_delay_alu instid0(VALU_DEP_3) | instskip(NEXT) | instid1(VALU_DEP_1)
	v_min_u32_e32 v6, 32, v6
	v_sub_nc_u32_e64 v6, v6, 4 clamp
	s_delay_alu instid0(VALU_DEP_1) | instskip(SKIP_1) | instid1(VALU_DEP_2)
	v_lshlrev_b32_e32 v7, v6, v5
	v_lshlrev_b32_e32 v6, 23, v6
	v_lshrrev_b32_e32 v7, 4, v7
	s_delay_alu instid0(VALU_DEP_1) | instskip(SKIP_1) | instid1(VALU_DEP_2)
	v_sub_nc_u32_e32 v6, v7, v6
	v_ashrrev_i32_e32 v7, 8, v8
	v_add_nc_u32_e32 v6, 0x3c000000, v6
	s_delay_alu instid0(VALU_DEP_1) | instskip(NEXT) | instid1(VALU_DEP_1)
	v_and_or_b32 v6, 0x7f800000, v7, v6
	v_cndmask_b32_e32 v5, 0, v6, vcc_lo
	s_delay_alu instid0(VALU_DEP_1) | instskip(NEXT) | instid1(VALU_DEP_1)
	v_and_or_b32 v4, 0x80000000, v4, v5
	v_cvt_f64_f32_e32 v[4:5], v4
.LBB6_1337:
	s_mov_b32 s0, 0
.LBB6_1338:
	s_delay_alu instid0(SALU_CYCLE_1)
	s_and_not1_b32 vcc_lo, exec_lo, s0
	s_cbranch_vccnz .LBB6_1340
; %bb.1339:
	global_load_u8 v4, v[2:3], off
	s_waitcnt vmcnt(0)
	v_lshlrev_b32_e32 v5, 25, v4
	v_lshlrev_b16 v4, 8, v4
	s_delay_alu instid0(VALU_DEP_2) | instskip(NEXT) | instid1(VALU_DEP_2)
	v_lshrrev_b32_e32 v6, 4, v5
	v_and_or_b32 v7, 0x7f00, v4, 0.5
	v_bfe_i32 v4, v4, 0, 16
	s_delay_alu instid0(VALU_DEP_3) | instskip(NEXT) | instid1(VALU_DEP_1)
	v_or_b32_e32 v6, 0x70000000, v6
	v_dual_add_f32 v7, -0.5, v7 :: v_dual_mul_f32 v6, 0x7800000, v6
	v_cmp_gt_u32_e32 vcc_lo, 0x8000000, v5
	s_delay_alu instid0(VALU_DEP_2) | instskip(NEXT) | instid1(VALU_DEP_1)
	v_cndmask_b32_e32 v5, v6, v7, vcc_lo
	v_and_or_b32 v4, 0x80000000, v4, v5
	s_delay_alu instid0(VALU_DEP_1)
	v_cvt_f64_f32_e32 v[4:5], v4
.LBB6_1340:
	s_mov_b32 s1, 0
	s_mov_b32 s0, -1
.LBB6_1341:
	s_and_not1_b32 vcc_lo, exec_lo, s1
	s_mov_b32 s15, 0
	s_cbranch_vccnz .LBB6_1350
; %bb.1342:
	v_cmp_lt_i16_e32 vcc_lo, 14, v12
	s_cbranch_vccz .LBB6_1345
; %bb.1343:
	v_cmp_eq_u16_e32 vcc_lo, 15, v12
	s_cbranch_vccz .LBB6_1346
; %bb.1344:
	global_load_u16 v4, v[2:3], off
	s_mov_b32 s14, 0
	s_mov_b32 s0, -1
	s_waitcnt vmcnt(0)
	v_lshlrev_b32_e32 v4, 16, v4
	s_delay_alu instid0(VALU_DEP_1)
	v_cvt_f64_f32_e32 v[4:5], v4
	s_branch .LBB6_1347
.LBB6_1345:
	s_mov_b32 s1, -1
                                        ; implicit-def: $vgpr4_vgpr5
	s_branch .LBB6_1348
.LBB6_1346:
	s_mov_b32 s14, -1
                                        ; implicit-def: $vgpr4_vgpr5
.LBB6_1347:
	s_mov_b32 s1, 0
.LBB6_1348:
	s_delay_alu instid0(SALU_CYCLE_1)
	s_and_b32 vcc_lo, exec_lo, s1
	s_cbranch_vccz .LBB6_1350
; %bb.1349:
	v_cmp_ne_u16_e64 s14, 11, v12
	s_mov_b32 s15, -1
                                        ; implicit-def: $vgpr4_vgpr5
.LBB6_1350:
	s_delay_alu instid0(VALU_DEP_1)
	s_and_b32 vcc_lo, exec_lo, s14
	s_cbranch_vccnz .LBB6_1386
; %bb.1351:
	s_and_not1_b32 vcc_lo, exec_lo, s15
	s_cbranch_vccnz .LBB6_1353
.LBB6_1352:
	global_load_u8 v4, v[2:3], off
	s_mov_b32 s0, -1
	s_waitcnt vmcnt(0)
	v_cmp_ne_u16_e32 vcc_lo, 0, v4
	v_mov_b32_e32 v4, 0
	v_cndmask_b32_e64 v5, 0, 0x3ff00000, vcc_lo
.LBB6_1353:
.LBB6_1354:
	s_and_not1_b32 vcc_lo, exec_lo, s0
	s_cbranch_vccnz .LBB6_1736
.LBB6_1355:
	s_waitcnt vmcnt(0)
	s_delay_alu instid0(VALU_DEP_1) | instskip(SKIP_4) | instid1(VALU_DEP_4)
	v_trunc_f64_e32 v[2:3], v[4:5]
	v_cmp_class_f64_e64 vcc_lo, v[4:5], 0x1f8
	s_mov_b32 s14, exec_lo
	v_mov_b32_e32 v4, 0
	v_mov_b32_e32 v5, 0
	v_ldexp_f64 v[6:7], v[2:3], 0xffffffe0
	s_delay_alu instid0(VALU_DEP_1) | instskip(NEXT) | instid1(VALU_DEP_1)
	v_floor_f64_e32 v[6:7], v[6:7]
	v_fma_f64 v[2:3], 0xc1f00000, v[6:7], v[2:3]
	v_cvt_i32_f64_e32 v6, v[6:7]
	s_delay_alu instid0(VALU_DEP_2) | instskip(NEXT) | instid1(VALU_DEP_2)
	v_cvt_u32_f64_e32 v2, v[2:3]
	v_cndmask_b32_e32 v3, -1, v6, vcc_lo
	s_delay_alu instid0(VALU_DEP_2) | instskip(NEXT) | instid1(VALU_DEP_1)
	v_cndmask_b32_e32 v2, -1, v2, vcc_lo
	v_cmpx_lt_i64_e32 -1, v[2:3]
	s_cbranch_execz .LBB6_1367
; %bb.1356:
	v_mov_b32_e32 v4, 0
	v_mov_b32_e32 v5, 0x3ff00000
	s_mov_b32 s15, exec_lo
	v_cmpx_lt_i64_e32 0, v[2:3]
	s_cbranch_execz .LBB6_1366
; %bb.1357:
                                        ; implicit-def: $vgpr4_vgpr5
	s_mov_b32 s0, exec_lo
	v_cmpx_ne_u64_e32 1, v[2:3]
	s_xor_b32 s16, exec_lo, s0
	s_cbranch_execz .LBB6_1363
; %bb.1358:
	v_mov_b32_e32 v4, 0
	v_mov_b32_e32 v5, 0x7ff80000
	s_mov_b32 s17, exec_lo
	v_cmpx_gt_u64_e32 0x201, v[2:3]
	s_cbranch_execz .LBB6_1362
; %bb.1359:
	v_add_f64 v[6:7], s[8:9], s[8:9]
	v_mov_b32_e32 v8, 0
	v_lshlrev_b64 v[2:3], 1, v[2:3]
	v_mov_b32_e32 v9, 0x3ff00000
	s_mov_b64 s[0:1], 2
	s_mov_b32 s18, 0
	s_delay_alu instid0(VALU_DEP_4)
	v_dual_mov_b32 v4, v6 :: v_dual_mov_b32 v5, v7
	.p2align	6
.LBB6_1360:                             ; =>This Inner Loop Header: Depth=1
	v_cvt_f64_u32_e32 v[15:16], s1
	v_cvt_f64_u32_e32 v[17:18], s0
	s_add_u32 s0, s0, 2
	s_addc_u32 s1, s1, 0
	s_delay_alu instid0(SALU_CYCLE_1) | instskip(SKIP_1) | instid1(VALU_DEP_3)
	v_cmp_ge_u64_e32 vcc_lo, s[0:1], v[2:3]
	s_or_b32 s18, vcc_lo, s18
	v_ldexp_f64 v[15:16], v[15:16], 32
	s_delay_alu instid0(VALU_DEP_1) | instskip(NEXT) | instid1(VALU_DEP_1)
	v_add_f64 v[15:16], v[15:16], v[17:18]
	v_mul_f64 v[8:9], v[8:9], v[15:16]
	v_dual_mov_b32 v16, v5 :: v_dual_mov_b32 v15, v4
	s_delay_alu instid0(VALU_DEP_1)
	v_fma_f64 v[4:5], v[6:7], v[15:16], -v[8:9]
	v_dual_mov_b32 v8, v15 :: v_dual_mov_b32 v9, v16
	s_and_not1_b32 exec_lo, exec_lo, s18
	s_cbranch_execnz .LBB6_1360
; %bb.1361:
	s_or_b32 exec_lo, exec_lo, s18
.LBB6_1362:
	s_delay_alu instid0(SALU_CYCLE_1)
	s_or_b32 exec_lo, exec_lo, s17
.LBB6_1363:
	s_and_not1_saveexec_b32 s0, s16
; %bb.1364:
	v_add_f64 v[4:5], s[8:9], s[8:9]
; %bb.1365:
	s_or_b32 exec_lo, exec_lo, s0
.LBB6_1366:
	s_delay_alu instid0(SALU_CYCLE_1)
	s_or_b32 exec_lo, exec_lo, s15
.LBB6_1367:
	s_delay_alu instid0(SALU_CYCLE_1) | instskip(SKIP_2) | instid1(VALU_DEP_2)
	s_or_b32 exec_lo, exec_lo, s14
	v_add_nc_u32_e32 v13, s3, v10
	v_cmp_gt_i16_e32 vcc_lo, 11, v12
	v_ashrrev_i32_e32 v3, 31, v13
	v_add_co_u32 v2, s0, s6, v13
	s_delay_alu instid0(VALU_DEP_1)
	v_add_co_ci_u32_e64 v3, s0, s7, v3, s0
	s_cbranch_vccnz .LBB6_1374
; %bb.1368:
	v_cmp_lt_i16_e32 vcc_lo, 25, v12
	s_mov_b32 s15, 0
	s_cbranch_vccz .LBB6_1380
; %bb.1369:
	v_cmp_lt_i16_e32 vcc_lo, 28, v12
	s_cbranch_vccz .LBB6_1382
; %bb.1370:
	v_cmp_lt_i16_e32 vcc_lo, 43, v12
	s_cbranch_vccz .LBB6_1384
; %bb.1371:
	v_cmp_lt_i16_e32 vcc_lo, 45, v12
	s_cbranch_vccz .LBB6_1388
; %bb.1372:
	v_cmp_eq_u16_e32 vcc_lo, 46, v12
	s_mov_b32 s1, 0
	s_cbranch_vccz .LBB6_1431
; %bb.1373:
	global_load_b32 v6, v[2:3], off
	s_mov_b32 s14, 0
	s_mov_b32 s0, -1
	s_waitcnt vmcnt(0)
	v_lshlrev_b32_e32 v6, 16, v6
	s_delay_alu instid0(VALU_DEP_1)
	v_cvt_f64_f32_e32 v[6:7], v6
	s_branch .LBB6_1433
.LBB6_1374:
	s_mov_b32 s0, 0
                                        ; implicit-def: $vgpr6_vgpr7
	s_cbranch_execz .LBB6_1499
; %bb.1375:
	v_cmp_gt_i16_e32 vcc_lo, 5, v12
	s_cbranch_vccnz .LBB6_1381
; %bb.1376:
	v_cmp_gt_i16_e32 vcc_lo, 8, v12
	s_cbranch_vccnz .LBB6_1383
	;; [unrolled: 3-line block ×3, first 2 shown]
; %bb.1378:
	v_cmp_lt_i16_e32 vcc_lo, 9, v12
	s_cbranch_vccz .LBB6_1389
; %bb.1379:
	global_load_b64 v[6:7], v[2:3], off
	s_mov_b32 s0, 0
	s_branch .LBB6_1390
.LBB6_1380:
	s_mov_b32 s1, -1
	s_mov_b32 s0, 0
	s_mov_b32 s14, 0
                                        ; implicit-def: $vgpr6_vgpr7
	s_branch .LBB6_1464
.LBB6_1381:
	s_mov_b32 s0, -1
                                        ; implicit-def: $vgpr6_vgpr7
	s_branch .LBB6_1408
.LBB6_1382:
	s_mov_b32 s1, -1
	s_mov_b32 s0, 0
	s_mov_b32 s14, 0
                                        ; implicit-def: $vgpr6_vgpr7
	s_branch .LBB6_1443
.LBB6_1383:
	s_mov_b32 s0, -1
                                        ; implicit-def: $vgpr6_vgpr7
	s_branch .LBB6_1396
.LBB6_1384:
	s_mov_b32 s1, -1
	s_mov_b32 s0, 0
	s_mov_b32 s14, 0
                                        ; implicit-def: $vgpr6_vgpr7
	s_branch .LBB6_1438
.LBB6_1385:
	s_mov_b32 s0, -1
                                        ; implicit-def: $vgpr6_vgpr7
	s_branch .LBB6_1393
.LBB6_1386:
	s_cbranch_execnz .LBB6_1429
; %bb.1387:
	s_or_b32 s11, s11, exec_lo
                                        ; implicit-def: $vgpr4_vgpr5
	s_cbranch_execz .LBB6_1352
	s_branch .LBB6_1353
.LBB6_1388:
	s_mov_b32 s1, -1
	s_mov_b32 s0, 0
	s_mov_b32 s14, 0
	s_branch .LBB6_1432
.LBB6_1389:
	s_mov_b32 s0, -1
                                        ; implicit-def: $vgpr6_vgpr7
.LBB6_1390:
	s_delay_alu instid0(SALU_CYCLE_1)
	s_and_not1_b32 vcc_lo, exec_lo, s0
	s_cbranch_vccnz .LBB6_1392
; %bb.1391:
	global_load_b32 v6, v[2:3], off
	s_waitcnt vmcnt(0)
	v_cvt_f64_f32_e32 v[6:7], v6
.LBB6_1392:
	s_mov_b32 s0, 0
.LBB6_1393:
	s_delay_alu instid0(SALU_CYCLE_1)
	s_and_not1_b32 vcc_lo, exec_lo, s0
	s_cbranch_vccnz .LBB6_1395
; %bb.1394:
	global_load_b32 v6, v[2:3], off
	s_waitcnt vmcnt(0)
	v_cvt_f32_f16_e32 v6, v6
	s_delay_alu instid0(VALU_DEP_1)
	v_cvt_f64_f32_e32 v[6:7], v6
.LBB6_1395:
	s_mov_b32 s0, 0
.LBB6_1396:
	s_delay_alu instid0(SALU_CYCLE_1)
	s_and_not1_b32 vcc_lo, exec_lo, s0
	s_cbranch_vccnz .LBB6_1407
; %bb.1397:
	v_cmp_gt_i16_e32 vcc_lo, 6, v12
	s_cbranch_vccnz .LBB6_1400
; %bb.1398:
	v_cmp_lt_i16_e32 vcc_lo, 6, v12
	s_cbranch_vccz .LBB6_1401
; %bb.1399:
	global_load_b64 v[6:7], v[2:3], off
	s_mov_b32 s0, 0
	s_branch .LBB6_1402
.LBB6_1400:
	s_mov_b32 s0, -1
                                        ; implicit-def: $vgpr6_vgpr7
	s_branch .LBB6_1405
.LBB6_1401:
	s_mov_b32 s0, -1
                                        ; implicit-def: $vgpr6_vgpr7
.LBB6_1402:
	s_delay_alu instid0(SALU_CYCLE_1)
	s_and_not1_b32 vcc_lo, exec_lo, s0
	s_cbranch_vccnz .LBB6_1404
; %bb.1403:
	global_load_b32 v6, v[2:3], off
	s_waitcnt vmcnt(0)
	v_cvt_f64_f32_e32 v[6:7], v6
.LBB6_1404:
	s_mov_b32 s0, 0
.LBB6_1405:
	s_delay_alu instid0(SALU_CYCLE_1)
	s_and_not1_b32 vcc_lo, exec_lo, s0
	s_cbranch_vccnz .LBB6_1407
; %bb.1406:
	global_load_u16 v6, v[2:3], off
	s_waitcnt vmcnt(0)
	v_cvt_f32_f16_e32 v6, v6
	s_delay_alu instid0(VALU_DEP_1)
	v_cvt_f64_f32_e32 v[6:7], v6
.LBB6_1407:
	s_mov_b32 s0, 0
.LBB6_1408:
	s_delay_alu instid0(SALU_CYCLE_1)
	s_and_not1_b32 vcc_lo, exec_lo, s0
	s_cbranch_vccnz .LBB6_1428
; %bb.1409:
	v_cmp_gt_i16_e32 vcc_lo, 2, v12
	s_cbranch_vccnz .LBB6_1413
; %bb.1410:
	v_cmp_gt_i16_e32 vcc_lo, 3, v12
	s_cbranch_vccnz .LBB6_1414
; %bb.1411:
	v_cmp_lt_i16_e32 vcc_lo, 3, v12
	s_cbranch_vccz .LBB6_1415
; %bb.1412:
	global_load_b64 v[6:7], v[2:3], off
	s_mov_b32 s0, 0
	s_waitcnt vmcnt(0)
	v_cvt_f64_i32_e32 v[7:8], v7
	v_cvt_f64_u32_e32 v[9:10], v6
	s_delay_alu instid0(VALU_DEP_2) | instskip(NEXT) | instid1(VALU_DEP_1)
	v_ldexp_f64 v[7:8], v[7:8], 32
	v_add_f64 v[6:7], v[7:8], v[9:10]
	s_branch .LBB6_1416
.LBB6_1413:
	s_mov_b32 s0, -1
                                        ; implicit-def: $vgpr6_vgpr7
	s_branch .LBB6_1422
.LBB6_1414:
	s_mov_b32 s0, -1
                                        ; implicit-def: $vgpr6_vgpr7
	s_branch .LBB6_1419
.LBB6_1415:
	s_mov_b32 s0, -1
                                        ; implicit-def: $vgpr6_vgpr7
.LBB6_1416:
	s_delay_alu instid0(SALU_CYCLE_1)
	s_and_not1_b32 vcc_lo, exec_lo, s0
	s_cbranch_vccnz .LBB6_1418
; %bb.1417:
	global_load_b32 v6, v[2:3], off
	s_waitcnt vmcnt(0)
	v_cvt_f64_i32_e32 v[6:7], v6
.LBB6_1418:
	s_mov_b32 s0, 0
.LBB6_1419:
	s_delay_alu instid0(SALU_CYCLE_1)
	s_and_not1_b32 vcc_lo, exec_lo, s0
	s_cbranch_vccnz .LBB6_1421
; %bb.1420:
	global_load_i16 v6, v[2:3], off
	s_waitcnt vmcnt(0)
	v_cvt_f64_i32_e32 v[6:7], v6
.LBB6_1421:
	s_mov_b32 s0, 0
.LBB6_1422:
	s_delay_alu instid0(SALU_CYCLE_1)
	s_and_not1_b32 vcc_lo, exec_lo, s0
	s_cbranch_vccnz .LBB6_1428
; %bb.1423:
	v_cmp_lt_i16_e32 vcc_lo, 0, v12
	s_mov_b32 s0, 0
	s_cbranch_vccz .LBB6_1425
; %bb.1424:
	global_load_i8 v6, v[2:3], off
	s_waitcnt vmcnt(0)
	v_cvt_f64_i32_e32 v[6:7], v6
	s_branch .LBB6_1426
.LBB6_1425:
	s_mov_b32 s0, -1
                                        ; implicit-def: $vgpr6_vgpr7
.LBB6_1426:
	s_delay_alu instid0(SALU_CYCLE_1)
	s_and_not1_b32 vcc_lo, exec_lo, s0
	s_cbranch_vccnz .LBB6_1428
; %bb.1427:
	global_load_u8 v2, v[2:3], off
	s_waitcnt vmcnt(0)
	v_cvt_f64_u32_e32 v[6:7], v2
.LBB6_1428:
	s_branch .LBB6_1500
.LBB6_1429:
	s_trap 2
	s_sendmsg_rtn_b32 s0, sendmsg(MSG_RTN_GET_DOORBELL)
	s_mov_b32 ttmp2, m0
	s_waitcnt lgkmcnt(0)
	s_and_b32 s0, s0, 0x3ff
	s_delay_alu instid0(SALU_CYCLE_1) | instskip(NEXT) | instid1(SALU_CYCLE_1)
	s_bitset1_b32 s0, 10
	s_mov_b32 m0, s0
	s_sendmsg sendmsg(MSG_INTERRUPT)
	s_mov_b32 m0, ttmp2
.LBB6_1430:                             ; =>This Inner Loop Header: Depth=1
	s_sethalt 5
	s_branch .LBB6_1430
.LBB6_1431:
	s_mov_b32 s14, -1
	s_mov_b32 s0, 0
.LBB6_1432:
                                        ; implicit-def: $vgpr6_vgpr7
.LBB6_1433:
	s_and_b32 vcc_lo, exec_lo, s1
	s_cbranch_vccz .LBB6_1437
; %bb.1434:
	v_cmp_eq_u16_e32 vcc_lo, 44, v12
	s_cbranch_vccz .LBB6_1436
; %bb.1435:
	global_load_u8 v8, v[2:3], off
	s_mov_b32 s14, 0
	s_mov_b32 s0, -1
	s_waitcnt vmcnt(0)
	v_cmp_ne_u32_e32 vcc_lo, 0xff, v8
	v_lshlrev_b32_e32 v6, 23, v8
	s_delay_alu instid0(VALU_DEP_1) | instskip(NEXT) | instid1(VALU_DEP_1)
	v_cvt_f64_f32_e32 v[6:7], v6
	v_cndmask_b32_e32 v7, 0x7ff80000, v7, vcc_lo
	s_delay_alu instid0(VALU_DEP_2) | instskip(SKIP_1) | instid1(VALU_DEP_3)
	v_cndmask_b32_e32 v6, 0x20000000, v6, vcc_lo
	v_cmp_ne_u32_e32 vcc_lo, 0, v8
	v_cndmask_b32_e32 v7, 0x38000000, v7, vcc_lo
	s_delay_alu instid0(VALU_DEP_3)
	v_cndmask_b32_e32 v6, 0, v6, vcc_lo
	s_branch .LBB6_1437
.LBB6_1436:
	s_mov_b32 s14, -1
                                        ; implicit-def: $vgpr6_vgpr7
.LBB6_1437:
	s_mov_b32 s1, 0
.LBB6_1438:
	s_delay_alu instid0(SALU_CYCLE_1)
	s_and_b32 vcc_lo, exec_lo, s1
	s_cbranch_vccz .LBB6_1442
; %bb.1439:
	v_cmp_eq_u16_e32 vcc_lo, 29, v12
	s_cbranch_vccz .LBB6_1441
; %bb.1440:
	global_load_b64 v[6:7], v[2:3], off
	s_mov_b32 s14, 0
	s_mov_b32 s0, -1
	s_mov_b32 s1, 0
	s_waitcnt vmcnt(0)
	v_cvt_f64_u32_e32 v[7:8], v7
	v_cvt_f64_u32_e32 v[9:10], v6
	s_delay_alu instid0(VALU_DEP_2) | instskip(NEXT) | instid1(VALU_DEP_1)
	v_ldexp_f64 v[7:8], v[7:8], 32
	v_add_f64 v[6:7], v[7:8], v[9:10]
	s_branch .LBB6_1443
.LBB6_1441:
	s_mov_b32 s14, -1
                                        ; implicit-def: $vgpr6_vgpr7
.LBB6_1442:
	s_mov_b32 s1, 0
.LBB6_1443:
	s_delay_alu instid0(SALU_CYCLE_1)
	s_and_b32 vcc_lo, exec_lo, s1
	s_cbranch_vccz .LBB6_1463
; %bb.1444:
	v_cmp_gt_i16_e32 vcc_lo, 27, v12
	s_cbranch_vccnz .LBB6_1447
; %bb.1445:
	v_cmp_lt_i16_e32 vcc_lo, 27, v12
	s_cbranch_vccz .LBB6_1448
; %bb.1446:
	global_load_b32 v6, v[2:3], off
	s_mov_b32 s0, 0
	s_waitcnt vmcnt(0)
	v_cvt_f64_u32_e32 v[6:7], v6
	s_branch .LBB6_1449
.LBB6_1447:
	s_mov_b32 s0, -1
                                        ; implicit-def: $vgpr6_vgpr7
	s_branch .LBB6_1452
.LBB6_1448:
	s_mov_b32 s0, -1
                                        ; implicit-def: $vgpr6_vgpr7
.LBB6_1449:
	s_delay_alu instid0(SALU_CYCLE_1)
	s_and_not1_b32 vcc_lo, exec_lo, s0
	s_cbranch_vccnz .LBB6_1451
; %bb.1450:
	global_load_u16 v6, v[2:3], off
	s_waitcnt vmcnt(0)
	v_cvt_f64_u32_e32 v[6:7], v6
.LBB6_1451:
	s_mov_b32 s0, 0
.LBB6_1452:
	s_delay_alu instid0(SALU_CYCLE_1)
	s_and_not1_b32 vcc_lo, exec_lo, s0
	s_cbranch_vccnz .LBB6_1462
; %bb.1453:
	global_load_u8 v8, v[2:3], off
	s_mov_b32 s16, 0
	s_mov_b32 s17, exec_lo
                                        ; implicit-def: $sgpr0_sgpr1
	s_waitcnt vmcnt(0)
	v_cmpx_lt_i16_e32 0x7f, v8
	s_xor_b32 s17, exec_lo, s17
	s_cbranch_execz .LBB6_1457
; %bb.1454:
	s_mov_b32 s18, -1
	s_mov_b32 s16, exec_lo
                                        ; implicit-def: $sgpr0_sgpr1
	v_cmpx_eq_u16_e32 0x80, v8
; %bb.1455:
	s_mov_b32 s1, 0x7ff80000
	s_brev_b32 s0, 4
	s_xor_b32 s18, exec_lo, -1
; %bb.1456:
	s_or_b32 exec_lo, exec_lo, s16
	s_delay_alu instid0(SALU_CYCLE_1)
	s_and_b32 s16, s18, exec_lo
.LBB6_1457:
	s_or_saveexec_b32 s17, s17
	v_dual_mov_b32 v7, s1 :: v_dual_mov_b32 v6, s0
	s_xor_b32 exec_lo, exec_lo, s17
; %bb.1458:
	v_cmp_ne_u16_e32 vcc_lo, 0, v8
	v_mov_b32_e32 v6, 0
	v_mov_b32_e32 v7, 0
	s_and_not1_b32 s0, s16, exec_lo
	s_and_b32 s1, vcc_lo, exec_lo
	s_delay_alu instid0(SALU_CYCLE_1)
	s_or_b32 s16, s0, s1
; %bb.1459:
	s_or_b32 exec_lo, exec_lo, s17
	s_and_saveexec_b32 s0, s16
	s_cbranch_execz .LBB6_1461
; %bb.1460:
	v_and_b32_e32 v6, 0xffff, v8
	v_lshlrev_b32_e32 v8, 24, v8
	s_delay_alu instid0(VALU_DEP_2) | instskip(NEXT) | instid1(VALU_DEP_2)
	v_and_b32_e32 v7, 7, v6
	v_and_b32_e32 v8, 0x80000000, v8
	s_delay_alu instid0(VALU_DEP_2) | instskip(NEXT) | instid1(VALU_DEP_1)
	v_clz_i32_u32_e32 v9, v7
	v_min_u32_e32 v9, 32, v9
	s_delay_alu instid0(VALU_DEP_1) | instskip(SKIP_1) | instid1(VALU_DEP_2)
	v_subrev_nc_u32_e32 v10, 28, v9
	v_sub_nc_u32_e32 v9, 29, v9
	v_lshlrev_b32_e32 v10, v10, v6
	v_bfe_u32 v6, v6, 3, 4
	s_delay_alu instid0(VALU_DEP_2) | instskip(NEXT) | instid1(VALU_DEP_2)
	v_and_b32_e32 v10, 7, v10
	v_cmp_eq_u32_e32 vcc_lo, 0, v6
	s_delay_alu instid0(VALU_DEP_2) | instskip(NEXT) | instid1(VALU_DEP_1)
	v_dual_cndmask_b32 v6, v6, v9 :: v_dual_cndmask_b32 v7, v7, v10
	v_lshl_add_u32 v6, v6, 23, 0x3b800000
	s_delay_alu instid0(VALU_DEP_2) | instskip(NEXT) | instid1(VALU_DEP_1)
	v_lshlrev_b32_e32 v7, 20, v7
	v_or3_b32 v6, v8, v6, v7
	s_delay_alu instid0(VALU_DEP_1)
	v_cvt_f64_f32_e32 v[6:7], v6
.LBB6_1461:
	s_or_b32 exec_lo, exec_lo, s0
.LBB6_1462:
	s_mov_b32 s0, -1
.LBB6_1463:
	s_mov_b32 s1, 0
.LBB6_1464:
	s_delay_alu instid0(SALU_CYCLE_1)
	s_and_b32 vcc_lo, exec_lo, s1
	s_cbranch_vccz .LBB6_1495
; %bb.1465:
	v_cmp_lt_i16_e32 vcc_lo, 22, v12
	s_cbranch_vccz .LBB6_1477
; %bb.1466:
	v_cmp_gt_i16_e32 vcc_lo, 24, v12
	s_cbranch_vccnz .LBB6_1478
; %bb.1467:
	v_cmp_lt_i16_e32 vcc_lo, 24, v12
	s_cbranch_vccz .LBB6_1479
; %bb.1468:
	global_load_u8 v8, v[2:3], off
	s_mov_b32 s16, exec_lo
                                        ; implicit-def: $sgpr0_sgpr1
	s_waitcnt vmcnt(0)
	v_cmpx_lt_i16_e32 0x7f, v8
	s_xor_b32 s16, exec_lo, s16
	s_cbranch_execz .LBB6_1472
; %bb.1469:
	s_mov_b32 s17, -1
	s_mov_b32 s15, exec_lo
                                        ; implicit-def: $sgpr0_sgpr1
	v_cmpx_eq_u16_e32 0x80, v8
; %bb.1470:
	s_mov_b32 s1, 0x7ff80000
	s_brev_b32 s0, 4
	s_xor_b32 s17, exec_lo, -1
; %bb.1471:
	s_or_b32 exec_lo, exec_lo, s15
	s_delay_alu instid0(SALU_CYCLE_1)
	s_and_b32 s15, s17, exec_lo
.LBB6_1472:
	s_or_saveexec_b32 s16, s16
	v_dual_mov_b32 v7, s1 :: v_dual_mov_b32 v6, s0
	s_xor_b32 exec_lo, exec_lo, s16
; %bb.1473:
	v_cmp_ne_u16_e32 vcc_lo, 0, v8
	v_mov_b32_e32 v6, 0
	v_mov_b32_e32 v7, 0
	s_and_not1_b32 s0, s15, exec_lo
	s_and_b32 s1, vcc_lo, exec_lo
	s_delay_alu instid0(SALU_CYCLE_1)
	s_or_b32 s15, s0, s1
; %bb.1474:
	s_or_b32 exec_lo, exec_lo, s16
	s_and_saveexec_b32 s0, s15
	s_cbranch_execz .LBB6_1476
; %bb.1475:
	v_and_b32_e32 v6, 0xffff, v8
	v_lshlrev_b32_e32 v8, 24, v8
	s_delay_alu instid0(VALU_DEP_2) | instskip(NEXT) | instid1(VALU_DEP_2)
	v_and_b32_e32 v7, 3, v6
	v_and_b32_e32 v8, 0x80000000, v8
	s_delay_alu instid0(VALU_DEP_2) | instskip(NEXT) | instid1(VALU_DEP_1)
	v_clz_i32_u32_e32 v9, v7
	v_min_u32_e32 v9, 32, v9
	s_delay_alu instid0(VALU_DEP_1) | instskip(SKIP_1) | instid1(VALU_DEP_2)
	v_subrev_nc_u32_e32 v10, 29, v9
	v_sub_nc_u32_e32 v9, 30, v9
	v_lshlrev_b32_e32 v10, v10, v6
	v_bfe_u32 v6, v6, 2, 5
	s_delay_alu instid0(VALU_DEP_2) | instskip(NEXT) | instid1(VALU_DEP_2)
	v_and_b32_e32 v10, 3, v10
	v_cmp_eq_u32_e32 vcc_lo, 0, v6
	s_delay_alu instid0(VALU_DEP_2) | instskip(NEXT) | instid1(VALU_DEP_1)
	v_dual_cndmask_b32 v6, v6, v9 :: v_dual_cndmask_b32 v7, v7, v10
	v_lshl_add_u32 v6, v6, 23, 0x37800000
	s_delay_alu instid0(VALU_DEP_2) | instskip(NEXT) | instid1(VALU_DEP_1)
	v_lshlrev_b32_e32 v7, 21, v7
	v_or3_b32 v6, v8, v6, v7
	s_delay_alu instid0(VALU_DEP_1)
	v_cvt_f64_f32_e32 v[6:7], v6
.LBB6_1476:
	s_or_b32 exec_lo, exec_lo, s0
	s_mov_b32 s0, 0
	s_branch .LBB6_1480
.LBB6_1477:
	s_mov_b32 s1, -1
                                        ; implicit-def: $vgpr6_vgpr7
	s_branch .LBB6_1486
.LBB6_1478:
	s_mov_b32 s0, -1
                                        ; implicit-def: $vgpr6_vgpr7
	s_branch .LBB6_1483
.LBB6_1479:
	s_mov_b32 s0, -1
                                        ; implicit-def: $vgpr6_vgpr7
.LBB6_1480:
	s_delay_alu instid0(SALU_CYCLE_1)
	s_and_b32 vcc_lo, exec_lo, s0
	s_cbranch_vccz .LBB6_1482
; %bb.1481:
	global_load_u8 v6, v[2:3], off
	s_waitcnt vmcnt(0)
	v_lshlrev_b32_e32 v6, 24, v6
	s_delay_alu instid0(VALU_DEP_1) | instskip(NEXT) | instid1(VALU_DEP_1)
	v_and_b32_e32 v7, 0x7f000000, v6
	v_clz_i32_u32_e32 v8, v7
	v_add_nc_u32_e32 v10, 0x1000000, v7
	v_cmp_ne_u32_e32 vcc_lo, 0, v7
	s_delay_alu instid0(VALU_DEP_3) | instskip(NEXT) | instid1(VALU_DEP_1)
	v_min_u32_e32 v8, 32, v8
	v_sub_nc_u32_e64 v8, v8, 4 clamp
	s_delay_alu instid0(VALU_DEP_1) | instskip(SKIP_1) | instid1(VALU_DEP_2)
	v_lshlrev_b32_e32 v9, v8, v7
	v_lshlrev_b32_e32 v8, 23, v8
	v_lshrrev_b32_e32 v9, 4, v9
	s_delay_alu instid0(VALU_DEP_1) | instskip(SKIP_1) | instid1(VALU_DEP_2)
	v_sub_nc_u32_e32 v8, v9, v8
	v_ashrrev_i32_e32 v9, 8, v10
	v_add_nc_u32_e32 v8, 0x3c000000, v8
	s_delay_alu instid0(VALU_DEP_1) | instskip(NEXT) | instid1(VALU_DEP_1)
	v_and_or_b32 v8, 0x7f800000, v9, v8
	v_cndmask_b32_e32 v7, 0, v8, vcc_lo
	s_delay_alu instid0(VALU_DEP_1) | instskip(NEXT) | instid1(VALU_DEP_1)
	v_and_or_b32 v6, 0x80000000, v6, v7
	v_cvt_f64_f32_e32 v[6:7], v6
.LBB6_1482:
	s_mov_b32 s0, 0
.LBB6_1483:
	s_delay_alu instid0(SALU_CYCLE_1)
	s_and_not1_b32 vcc_lo, exec_lo, s0
	s_cbranch_vccnz .LBB6_1485
; %bb.1484:
	global_load_u8 v6, v[2:3], off
	s_waitcnt vmcnt(0)
	v_lshlrev_b32_e32 v7, 25, v6
	v_lshlrev_b16 v6, 8, v6
	s_delay_alu instid0(VALU_DEP_2) | instskip(NEXT) | instid1(VALU_DEP_2)
	v_lshrrev_b32_e32 v8, 4, v7
	v_and_or_b32 v9, 0x7f00, v6, 0.5
	v_bfe_i32 v6, v6, 0, 16
	s_delay_alu instid0(VALU_DEP_3) | instskip(NEXT) | instid1(VALU_DEP_1)
	v_or_b32_e32 v8, 0x70000000, v8
	v_dual_add_f32 v9, -0.5, v9 :: v_dual_mul_f32 v8, 0x7800000, v8
	v_cmp_gt_u32_e32 vcc_lo, 0x8000000, v7
	s_delay_alu instid0(VALU_DEP_2) | instskip(NEXT) | instid1(VALU_DEP_1)
	v_cndmask_b32_e32 v7, v8, v9, vcc_lo
	v_and_or_b32 v6, 0x80000000, v6, v7
	s_delay_alu instid0(VALU_DEP_1)
	v_cvt_f64_f32_e32 v[6:7], v6
.LBB6_1485:
	s_mov_b32 s1, 0
	s_mov_b32 s0, -1
.LBB6_1486:
	s_and_not1_b32 vcc_lo, exec_lo, s1
	s_mov_b32 s15, 0
	s_cbranch_vccnz .LBB6_1495
; %bb.1487:
	v_cmp_lt_i16_e32 vcc_lo, 14, v12
	s_cbranch_vccz .LBB6_1490
; %bb.1488:
	v_cmp_eq_u16_e32 vcc_lo, 15, v12
	s_cbranch_vccz .LBB6_1491
; %bb.1489:
	global_load_u16 v6, v[2:3], off
	s_mov_b32 s14, 0
	s_mov_b32 s0, -1
	s_waitcnt vmcnt(0)
	v_lshlrev_b32_e32 v6, 16, v6
	s_delay_alu instid0(VALU_DEP_1)
	v_cvt_f64_f32_e32 v[6:7], v6
	s_branch .LBB6_1492
.LBB6_1490:
	s_mov_b32 s1, -1
                                        ; implicit-def: $vgpr6_vgpr7
	s_branch .LBB6_1493
.LBB6_1491:
	s_mov_b32 s14, -1
                                        ; implicit-def: $vgpr6_vgpr7
.LBB6_1492:
	s_mov_b32 s1, 0
.LBB6_1493:
	s_delay_alu instid0(SALU_CYCLE_1)
	s_and_b32 vcc_lo, exec_lo, s1
	s_cbranch_vccz .LBB6_1495
; %bb.1494:
	v_cmp_ne_u16_e64 s14, 11, v12
	s_mov_b32 s15, -1
                                        ; implicit-def: $vgpr6_vgpr7
.LBB6_1495:
	s_delay_alu instid0(VALU_DEP_1)
	s_and_b32 vcc_lo, exec_lo, s14
	s_cbranch_vccnz .LBB6_1523
; %bb.1496:
	s_and_not1_b32 vcc_lo, exec_lo, s15
	s_cbranch_vccnz .LBB6_1498
.LBB6_1497:
	global_load_u8 v6, v[2:3], off
	s_mov_b32 s0, -1
	s_waitcnt vmcnt(0)
	v_cmp_ne_u16_e32 vcc_lo, 0, v6
	v_mov_b32_e32 v6, 0
	v_cndmask_b32_e64 v7, 0, 0x3ff00000, vcc_lo
.LBB6_1498:
.LBB6_1499:
	s_and_not1_b32 vcc_lo, exec_lo, s0
	s_cbranch_vccnz .LBB6_1736
.LBB6_1500:
	s_waitcnt vmcnt(0)
	s_delay_alu instid0(VALU_DEP_1) | instskip(SKIP_4) | instid1(VALU_DEP_4)
	v_trunc_f64_e32 v[2:3], v[6:7]
	v_cmp_class_f64_e64 vcc_lo, v[6:7], 0x1f8
	v_mov_b32_e32 v10, 0
	v_mov_b32_e32 v11, 0
	s_mov_b32 s14, exec_lo
	v_ldexp_f64 v[8:9], v[2:3], 0xffffffe0
	s_delay_alu instid0(VALU_DEP_1) | instskip(NEXT) | instid1(VALU_DEP_1)
	v_floor_f64_e32 v[8:9], v[8:9]
	v_fma_f64 v[2:3], 0xc1f00000, v[8:9], v[2:3]
	v_cvt_i32_f64_e32 v8, v[8:9]
	s_delay_alu instid0(VALU_DEP_2) | instskip(NEXT) | instid1(VALU_DEP_1)
	v_cvt_u32_f64_e32 v2, v[2:3]
	v_dual_cndmask_b32 v3, -1, v8 :: v_dual_cndmask_b32 v2, -1, v2
	s_delay_alu instid0(VALU_DEP_1)
	v_cmpx_lt_i64_e32 -1, v[2:3]
	s_cbranch_execz .LBB6_1512
; %bb.1501:
	v_mov_b32_e32 v10, 0
	v_mov_b32_e32 v11, 0x3ff00000
	s_mov_b32 s15, exec_lo
	v_cmpx_lt_i64_e32 0, v[2:3]
	s_cbranch_execz .LBB6_1511
; %bb.1502:
                                        ; implicit-def: $vgpr10_vgpr11
	s_mov_b32 s0, exec_lo
	v_cmpx_ne_u64_e32 1, v[2:3]
	s_xor_b32 s16, exec_lo, s0
	s_cbranch_execz .LBB6_1508
; %bb.1503:
	v_mov_b32_e32 v10, 0
	v_mov_b32_e32 v11, 0x7ff80000
	s_mov_b32 s17, exec_lo
	v_cmpx_gt_u64_e32 0x201, v[2:3]
	s_cbranch_execz .LBB6_1507
; %bb.1504:
	v_add_f64 v[6:7], s[8:9], s[8:9]
	v_lshlrev_b64 v[2:3], 1, v[2:3]
	v_mov_b32_e32 v8, 0
	v_mov_b32_e32 v9, 0x3ff00000
	s_mov_b64 s[0:1], 2
	s_mov_b32 s18, 0
	s_delay_alu instid0(VALU_DEP_4)
	v_dual_mov_b32 v11, v7 :: v_dual_mov_b32 v10, v6
.LBB6_1505:                             ; =>This Inner Loop Header: Depth=1
	v_cvt_f64_u32_e32 v[15:16], s1
	v_cvt_f64_u32_e32 v[17:18], s0
	s_add_u32 s0, s0, 2
	s_addc_u32 s1, s1, 0
	s_delay_alu instid0(SALU_CYCLE_1) | instskip(SKIP_1) | instid1(VALU_DEP_3)
	v_cmp_ge_u64_e32 vcc_lo, s[0:1], v[2:3]
	s_or_b32 s18, vcc_lo, s18
	v_ldexp_f64 v[15:16], v[15:16], 32
	s_delay_alu instid0(VALU_DEP_1) | instskip(NEXT) | instid1(VALU_DEP_1)
	v_add_f64 v[15:16], v[15:16], v[17:18]
	v_mul_f64 v[8:9], v[8:9], v[15:16]
	v_dual_mov_b32 v16, v11 :: v_dual_mov_b32 v15, v10
	s_delay_alu instid0(VALU_DEP_1)
	v_fma_f64 v[10:11], v[6:7], v[15:16], -v[8:9]
	v_dual_mov_b32 v8, v15 :: v_dual_mov_b32 v9, v16
	s_and_not1_b32 exec_lo, exec_lo, s18
	s_cbranch_execnz .LBB6_1505
; %bb.1506:
	s_or_b32 exec_lo, exec_lo, s18
.LBB6_1507:
	s_delay_alu instid0(SALU_CYCLE_1)
	s_or_b32 exec_lo, exec_lo, s17
.LBB6_1508:
	s_and_not1_saveexec_b32 s0, s16
; %bb.1509:
	v_add_f64 v[10:11], s[8:9], s[8:9]
; %bb.1510:
	s_or_b32 exec_lo, exec_lo, s0
.LBB6_1511:
	s_delay_alu instid0(SALU_CYCLE_1)
	s_or_b32 exec_lo, exec_lo, s15
.LBB6_1512:
	s_delay_alu instid0(SALU_CYCLE_1) | instskip(SKIP_2) | instid1(VALU_DEP_2)
	s_or_b32 exec_lo, exec_lo, s14
	v_add_nc_u32_e32 v2, s3, v13
	v_cmp_gt_i16_e32 vcc_lo, 11, v12
	v_ashrrev_i32_e32 v3, 31, v2
	v_add_co_u32 v2, s0, s6, v2
	s_delay_alu instid0(VALU_DEP_1)
	v_add_co_ci_u32_e64 v3, s0, s7, v3, s0
	s_cbranch_vccnz .LBB6_1519
; %bb.1513:
	v_cmp_lt_i16_e32 vcc_lo, 25, v12
	s_mov_b32 s6, 0
	s_cbranch_vccz .LBB6_1520
; %bb.1514:
	v_cmp_lt_i16_e32 vcc_lo, 28, v12
	s_cbranch_vccz .LBB6_1521
; %bb.1515:
	v_cmp_lt_i16_e32 vcc_lo, 43, v12
	;; [unrolled: 3-line block ×3, first 2 shown]
	s_cbranch_vccz .LBB6_1525
; %bb.1517:
	v_cmp_eq_u16_e32 vcc_lo, 46, v12
	s_mov_b32 s1, 0
	s_cbranch_vccz .LBB6_1528
; %bb.1518:
	global_load_b32 v6, v[2:3], off
	s_mov_b32 s3, 0
	s_mov_b32 s0, -1
	s_waitcnt vmcnt(0)
	v_lshlrev_b32_e32 v6, 16, v6
	s_delay_alu instid0(VALU_DEP_1)
	v_cvt_f64_f32_e32 v[6:7], v6
	s_branch .LBB6_1530
.LBB6_1519:
	s_mov_b32 s1, -1
	s_mov_b32 s0, 0
                                        ; implicit-def: $vgpr6_vgpr7
	s_branch .LBB6_1596
.LBB6_1520:
	s_mov_b32 s1, -1
	s_mov_b32 s0, 0
	s_mov_b32 s3, 0
                                        ; implicit-def: $vgpr6_vgpr7
	s_branch .LBB6_1561
.LBB6_1521:
	s_mov_b32 s1, -1
	s_mov_b32 s0, 0
	s_mov_b32 s3, 0
                                        ; implicit-def: $vgpr6_vgpr7
	s_branch .LBB6_1540
.LBB6_1522:
	s_mov_b32 s1, -1
	s_mov_b32 s0, 0
	s_mov_b32 s3, 0
                                        ; implicit-def: $vgpr6_vgpr7
	s_branch .LBB6_1535
.LBB6_1523:
	s_cbranch_execnz .LBB6_1526
; %bb.1524:
	s_or_b32 s11, s11, exec_lo
                                        ; implicit-def: $vgpr6_vgpr7
	s_cbranch_execz .LBB6_1497
	s_branch .LBB6_1498
.LBB6_1525:
	s_mov_b32 s1, -1
	s_mov_b32 s0, 0
	s_mov_b32 s3, 0
	s_branch .LBB6_1529
.LBB6_1526:
	s_trap 2
	s_sendmsg_rtn_b32 s0, sendmsg(MSG_RTN_GET_DOORBELL)
	s_mov_b32 ttmp2, m0
	s_waitcnt lgkmcnt(0)
	s_and_b32 s0, s0, 0x3ff
	s_delay_alu instid0(SALU_CYCLE_1) | instskip(NEXT) | instid1(SALU_CYCLE_1)
	s_bitset1_b32 s0, 10
	s_mov_b32 m0, s0
	s_sendmsg sendmsg(MSG_INTERRUPT)
	s_mov_b32 m0, ttmp2
.LBB6_1527:                             ; =>This Inner Loop Header: Depth=1
	s_sethalt 5
	s_branch .LBB6_1527
.LBB6_1528:
	s_mov_b32 s3, -1
	s_mov_b32 s0, 0
.LBB6_1529:
                                        ; implicit-def: $vgpr6_vgpr7
.LBB6_1530:
	s_and_b32 vcc_lo, exec_lo, s1
	s_cbranch_vccz .LBB6_1534
; %bb.1531:
	v_cmp_eq_u16_e32 vcc_lo, 44, v12
	s_cbranch_vccz .LBB6_1533
; %bb.1532:
	global_load_u8 v8, v[2:3], off
	s_mov_b32 s3, 0
	s_mov_b32 s0, -1
	s_waitcnt vmcnt(0)
	v_cmp_ne_u32_e32 vcc_lo, 0xff, v8
	v_lshlrev_b32_e32 v6, 23, v8
	s_delay_alu instid0(VALU_DEP_1) | instskip(NEXT) | instid1(VALU_DEP_1)
	v_cvt_f64_f32_e32 v[6:7], v6
	v_cndmask_b32_e32 v7, 0x7ff80000, v7, vcc_lo
	s_delay_alu instid0(VALU_DEP_2) | instskip(SKIP_1) | instid1(VALU_DEP_3)
	v_cndmask_b32_e32 v6, 0x20000000, v6, vcc_lo
	v_cmp_ne_u32_e32 vcc_lo, 0, v8
	v_cndmask_b32_e32 v7, 0x38000000, v7, vcc_lo
	s_delay_alu instid0(VALU_DEP_3)
	v_cndmask_b32_e32 v6, 0, v6, vcc_lo
	s_branch .LBB6_1534
.LBB6_1533:
	s_mov_b32 s3, -1
                                        ; implicit-def: $vgpr6_vgpr7
.LBB6_1534:
	s_mov_b32 s1, 0
.LBB6_1535:
	s_delay_alu instid0(SALU_CYCLE_1)
	s_and_b32 vcc_lo, exec_lo, s1
	s_cbranch_vccz .LBB6_1539
; %bb.1536:
	v_cmp_eq_u16_e32 vcc_lo, 29, v12
	s_cbranch_vccz .LBB6_1538
; %bb.1537:
	global_load_b64 v[6:7], v[2:3], off
	s_mov_b32 s3, 0
	s_mov_b32 s0, -1
	s_mov_b32 s1, 0
	s_waitcnt vmcnt(0)
	v_cvt_f64_u32_e32 v[7:8], v7
	v_cvt_f64_u32_e32 v[15:16], v6
	s_delay_alu instid0(VALU_DEP_2) | instskip(NEXT) | instid1(VALU_DEP_1)
	v_ldexp_f64 v[7:8], v[7:8], 32
	v_add_f64 v[6:7], v[7:8], v[15:16]
	s_branch .LBB6_1540
.LBB6_1538:
	s_mov_b32 s3, -1
                                        ; implicit-def: $vgpr6_vgpr7
.LBB6_1539:
	s_mov_b32 s1, 0
.LBB6_1540:
	s_delay_alu instid0(SALU_CYCLE_1)
	s_and_b32 vcc_lo, exec_lo, s1
	s_cbranch_vccz .LBB6_1560
; %bb.1541:
	v_cmp_gt_i16_e32 vcc_lo, 27, v12
	s_cbranch_vccnz .LBB6_1544
; %bb.1542:
	v_cmp_lt_i16_e32 vcc_lo, 27, v12
	s_cbranch_vccz .LBB6_1545
; %bb.1543:
	global_load_b32 v6, v[2:3], off
	s_mov_b32 s0, 0
	s_waitcnt vmcnt(0)
	v_cvt_f64_u32_e32 v[6:7], v6
	s_branch .LBB6_1546
.LBB6_1544:
	s_mov_b32 s0, -1
                                        ; implicit-def: $vgpr6_vgpr7
	s_branch .LBB6_1549
.LBB6_1545:
	s_mov_b32 s0, -1
                                        ; implicit-def: $vgpr6_vgpr7
.LBB6_1546:
	s_delay_alu instid0(SALU_CYCLE_1)
	s_and_not1_b32 vcc_lo, exec_lo, s0
	s_cbranch_vccnz .LBB6_1548
; %bb.1547:
	global_load_u16 v6, v[2:3], off
	s_waitcnt vmcnt(0)
	v_cvt_f64_u32_e32 v[6:7], v6
.LBB6_1548:
	s_mov_b32 s0, 0
.LBB6_1549:
	s_delay_alu instid0(SALU_CYCLE_1)
	s_and_not1_b32 vcc_lo, exec_lo, s0
	s_cbranch_vccnz .LBB6_1559
; %bb.1550:
	global_load_u8 v8, v[2:3], off
	s_mov_b32 s7, 0
	s_mov_b32 s14, exec_lo
                                        ; implicit-def: $sgpr0_sgpr1
	s_waitcnt vmcnt(0)
	v_cmpx_lt_i16_e32 0x7f, v8
	s_xor_b32 s14, exec_lo, s14
	s_cbranch_execz .LBB6_1554
; %bb.1551:
	s_mov_b32 s15, -1
	s_mov_b32 s7, exec_lo
                                        ; implicit-def: $sgpr0_sgpr1
	v_cmpx_eq_u16_e32 0x80, v8
; %bb.1552:
	s_mov_b32 s1, 0x7ff80000
	s_brev_b32 s0, 4
	s_xor_b32 s15, exec_lo, -1
; %bb.1553:
	s_or_b32 exec_lo, exec_lo, s7
	s_delay_alu instid0(SALU_CYCLE_1)
	s_and_b32 s7, s15, exec_lo
.LBB6_1554:
	s_or_saveexec_b32 s14, s14
	v_dual_mov_b32 v7, s1 :: v_dual_mov_b32 v6, s0
	s_xor_b32 exec_lo, exec_lo, s14
; %bb.1555:
	v_cmp_ne_u16_e32 vcc_lo, 0, v8
	v_mov_b32_e32 v6, 0
	v_mov_b32_e32 v7, 0
	s_and_not1_b32 s0, s7, exec_lo
	s_and_b32 s1, vcc_lo, exec_lo
	s_delay_alu instid0(SALU_CYCLE_1)
	s_or_b32 s7, s0, s1
; %bb.1556:
	s_or_b32 exec_lo, exec_lo, s14
	s_and_saveexec_b32 s0, s7
	s_cbranch_execz .LBB6_1558
; %bb.1557:
	v_and_b32_e32 v6, 0xffff, v8
	v_lshlrev_b32_e32 v8, 24, v8
	s_delay_alu instid0(VALU_DEP_2) | instskip(NEXT) | instid1(VALU_DEP_2)
	v_and_b32_e32 v7, 7, v6
	v_and_b32_e32 v8, 0x80000000, v8
	s_delay_alu instid0(VALU_DEP_2) | instskip(NEXT) | instid1(VALU_DEP_1)
	v_clz_i32_u32_e32 v9, v7
	v_min_u32_e32 v9, 32, v9
	s_delay_alu instid0(VALU_DEP_1) | instskip(SKIP_1) | instid1(VALU_DEP_2)
	v_subrev_nc_u32_e32 v13, 28, v9
	v_sub_nc_u32_e32 v9, 29, v9
	v_lshlrev_b32_e32 v13, v13, v6
	v_bfe_u32 v6, v6, 3, 4
	s_delay_alu instid0(VALU_DEP_2) | instskip(NEXT) | instid1(VALU_DEP_2)
	v_and_b32_e32 v13, 7, v13
	v_cmp_eq_u32_e32 vcc_lo, 0, v6
	v_cndmask_b32_e32 v6, v6, v9, vcc_lo
	s_delay_alu instid0(VALU_DEP_3) | instskip(NEXT) | instid1(VALU_DEP_2)
	v_cndmask_b32_e32 v7, v7, v13, vcc_lo
	v_lshl_add_u32 v6, v6, 23, 0x3b800000
	s_delay_alu instid0(VALU_DEP_2) | instskip(NEXT) | instid1(VALU_DEP_1)
	v_lshlrev_b32_e32 v7, 20, v7
	v_or3_b32 v6, v8, v6, v7
	s_delay_alu instid0(VALU_DEP_1)
	v_cvt_f64_f32_e32 v[6:7], v6
.LBB6_1558:
	s_or_b32 exec_lo, exec_lo, s0
.LBB6_1559:
	s_mov_b32 s0, -1
.LBB6_1560:
	s_mov_b32 s1, 0
.LBB6_1561:
	s_delay_alu instid0(SALU_CYCLE_1)
	s_and_b32 vcc_lo, exec_lo, s1
	s_cbranch_vccz .LBB6_1592
; %bb.1562:
	v_cmp_lt_i16_e32 vcc_lo, 22, v12
	s_cbranch_vccz .LBB6_1574
; %bb.1563:
	v_cmp_gt_i16_e32 vcc_lo, 24, v12
	s_cbranch_vccnz .LBB6_1575
; %bb.1564:
	v_cmp_lt_i16_e32 vcc_lo, 24, v12
	s_cbranch_vccz .LBB6_1576
; %bb.1565:
	global_load_u8 v8, v[2:3], off
	s_mov_b32 s7, exec_lo
                                        ; implicit-def: $sgpr0_sgpr1
	s_waitcnt vmcnt(0)
	v_cmpx_lt_i16_e32 0x7f, v8
	s_xor_b32 s7, exec_lo, s7
	s_cbranch_execz .LBB6_1569
; %bb.1566:
	s_mov_b32 s14, -1
	s_mov_b32 s6, exec_lo
                                        ; implicit-def: $sgpr0_sgpr1
	v_cmpx_eq_u16_e32 0x80, v8
; %bb.1567:
	s_mov_b32 s1, 0x7ff80000
	s_brev_b32 s0, 4
	s_xor_b32 s14, exec_lo, -1
; %bb.1568:
	s_or_b32 exec_lo, exec_lo, s6
	s_delay_alu instid0(SALU_CYCLE_1)
	s_and_b32 s6, s14, exec_lo
.LBB6_1569:
	s_or_saveexec_b32 s7, s7
	v_dual_mov_b32 v7, s1 :: v_dual_mov_b32 v6, s0
	s_xor_b32 exec_lo, exec_lo, s7
; %bb.1570:
	v_cmp_ne_u16_e32 vcc_lo, 0, v8
	v_mov_b32_e32 v6, 0
	v_mov_b32_e32 v7, 0
	s_and_not1_b32 s0, s6, exec_lo
	s_and_b32 s1, vcc_lo, exec_lo
	s_delay_alu instid0(SALU_CYCLE_1)
	s_or_b32 s6, s0, s1
; %bb.1571:
	s_or_b32 exec_lo, exec_lo, s7
	s_and_saveexec_b32 s0, s6
	s_cbranch_execz .LBB6_1573
; %bb.1572:
	v_and_b32_e32 v6, 0xffff, v8
	v_lshlrev_b32_e32 v8, 24, v8
	s_delay_alu instid0(VALU_DEP_2) | instskip(NEXT) | instid1(VALU_DEP_2)
	v_and_b32_e32 v7, 3, v6
	v_and_b32_e32 v8, 0x80000000, v8
	s_delay_alu instid0(VALU_DEP_2) | instskip(NEXT) | instid1(VALU_DEP_1)
	v_clz_i32_u32_e32 v9, v7
	v_min_u32_e32 v9, 32, v9
	s_delay_alu instid0(VALU_DEP_1) | instskip(SKIP_1) | instid1(VALU_DEP_2)
	v_subrev_nc_u32_e32 v13, 29, v9
	v_sub_nc_u32_e32 v9, 30, v9
	v_lshlrev_b32_e32 v13, v13, v6
	v_bfe_u32 v6, v6, 2, 5
	s_delay_alu instid0(VALU_DEP_2) | instskip(NEXT) | instid1(VALU_DEP_2)
	v_and_b32_e32 v13, 3, v13
	v_cmp_eq_u32_e32 vcc_lo, 0, v6
	v_cndmask_b32_e32 v6, v6, v9, vcc_lo
	s_delay_alu instid0(VALU_DEP_3) | instskip(NEXT) | instid1(VALU_DEP_2)
	v_cndmask_b32_e32 v7, v7, v13, vcc_lo
	v_lshl_add_u32 v6, v6, 23, 0x37800000
	s_delay_alu instid0(VALU_DEP_2) | instskip(NEXT) | instid1(VALU_DEP_1)
	v_lshlrev_b32_e32 v7, 21, v7
	v_or3_b32 v6, v8, v6, v7
	s_delay_alu instid0(VALU_DEP_1)
	v_cvt_f64_f32_e32 v[6:7], v6
.LBB6_1573:
	s_or_b32 exec_lo, exec_lo, s0
	s_mov_b32 s0, 0
	s_branch .LBB6_1577
.LBB6_1574:
	s_mov_b32 s1, -1
                                        ; implicit-def: $vgpr6_vgpr7
	s_branch .LBB6_1583
.LBB6_1575:
	s_mov_b32 s0, -1
                                        ; implicit-def: $vgpr6_vgpr7
	s_branch .LBB6_1580
.LBB6_1576:
	s_mov_b32 s0, -1
                                        ; implicit-def: $vgpr6_vgpr7
.LBB6_1577:
	s_delay_alu instid0(SALU_CYCLE_1)
	s_and_b32 vcc_lo, exec_lo, s0
	s_cbranch_vccz .LBB6_1579
; %bb.1578:
	global_load_u8 v6, v[2:3], off
	s_waitcnt vmcnt(0)
	v_lshlrev_b32_e32 v6, 24, v6
	s_delay_alu instid0(VALU_DEP_1) | instskip(NEXT) | instid1(VALU_DEP_1)
	v_and_b32_e32 v7, 0x7f000000, v6
	v_clz_i32_u32_e32 v8, v7
	v_add_nc_u32_e32 v13, 0x1000000, v7
	v_cmp_ne_u32_e32 vcc_lo, 0, v7
	s_delay_alu instid0(VALU_DEP_3) | instskip(NEXT) | instid1(VALU_DEP_1)
	v_min_u32_e32 v8, 32, v8
	v_sub_nc_u32_e64 v8, v8, 4 clamp
	s_delay_alu instid0(VALU_DEP_1) | instskip(SKIP_1) | instid1(VALU_DEP_2)
	v_lshlrev_b32_e32 v9, v8, v7
	v_lshlrev_b32_e32 v8, 23, v8
	v_lshrrev_b32_e32 v9, 4, v9
	s_delay_alu instid0(VALU_DEP_1) | instskip(SKIP_1) | instid1(VALU_DEP_2)
	v_sub_nc_u32_e32 v8, v9, v8
	v_ashrrev_i32_e32 v9, 8, v13
	v_add_nc_u32_e32 v8, 0x3c000000, v8
	s_delay_alu instid0(VALU_DEP_1) | instskip(NEXT) | instid1(VALU_DEP_1)
	v_and_or_b32 v8, 0x7f800000, v9, v8
	v_cndmask_b32_e32 v7, 0, v8, vcc_lo
	s_delay_alu instid0(VALU_DEP_1) | instskip(NEXT) | instid1(VALU_DEP_1)
	v_and_or_b32 v6, 0x80000000, v6, v7
	v_cvt_f64_f32_e32 v[6:7], v6
.LBB6_1579:
	s_mov_b32 s0, 0
.LBB6_1580:
	s_delay_alu instid0(SALU_CYCLE_1)
	s_and_not1_b32 vcc_lo, exec_lo, s0
	s_cbranch_vccnz .LBB6_1582
; %bb.1581:
	global_load_u8 v6, v[2:3], off
	s_waitcnt vmcnt(0)
	v_lshlrev_b32_e32 v7, 25, v6
	v_lshlrev_b16 v6, 8, v6
	s_delay_alu instid0(VALU_DEP_2) | instskip(NEXT) | instid1(VALU_DEP_2)
	v_lshrrev_b32_e32 v8, 4, v7
	v_and_or_b32 v9, 0x7f00, v6, 0.5
	v_bfe_i32 v6, v6, 0, 16
	s_delay_alu instid0(VALU_DEP_3) | instskip(NEXT) | instid1(VALU_DEP_1)
	v_or_b32_e32 v8, 0x70000000, v8
	v_dual_add_f32 v9, -0.5, v9 :: v_dual_mul_f32 v8, 0x7800000, v8
	v_cmp_gt_u32_e32 vcc_lo, 0x8000000, v7
	s_delay_alu instid0(VALU_DEP_2) | instskip(NEXT) | instid1(VALU_DEP_1)
	v_cndmask_b32_e32 v7, v8, v9, vcc_lo
	v_and_or_b32 v6, 0x80000000, v6, v7
	s_delay_alu instid0(VALU_DEP_1)
	v_cvt_f64_f32_e32 v[6:7], v6
.LBB6_1582:
	s_mov_b32 s1, 0
	s_mov_b32 s0, -1
.LBB6_1583:
	s_and_not1_b32 vcc_lo, exec_lo, s1
	s_mov_b32 s6, 0
	s_cbranch_vccnz .LBB6_1592
; %bb.1584:
	v_cmp_lt_i16_e32 vcc_lo, 14, v12
	s_cbranch_vccz .LBB6_1587
; %bb.1585:
	v_cmp_eq_u16_e32 vcc_lo, 15, v12
	s_cbranch_vccz .LBB6_1588
; %bb.1586:
	global_load_u16 v6, v[2:3], off
	s_mov_b32 s3, 0
	s_mov_b32 s0, -1
	s_waitcnt vmcnt(0)
	v_lshlrev_b32_e32 v6, 16, v6
	s_delay_alu instid0(VALU_DEP_1)
	v_cvt_f64_f32_e32 v[6:7], v6
	s_branch .LBB6_1589
.LBB6_1587:
	s_mov_b32 s1, -1
                                        ; implicit-def: $vgpr6_vgpr7
	s_branch .LBB6_1590
.LBB6_1588:
	s_mov_b32 s3, -1
                                        ; implicit-def: $vgpr6_vgpr7
.LBB6_1589:
	s_mov_b32 s1, 0
.LBB6_1590:
	s_delay_alu instid0(SALU_CYCLE_1)
	s_and_b32 vcc_lo, exec_lo, s1
	s_cbranch_vccz .LBB6_1592
; %bb.1591:
	v_cmp_ne_u16_e64 s3, 11, v12
	s_mov_b32 s6, -1
                                        ; implicit-def: $vgpr6_vgpr7
.LBB6_1592:
	s_delay_alu instid0(VALU_DEP_1)
	s_and_b32 vcc_lo, exec_lo, s3
	s_cbranch_vccnz .LBB6_2138
; %bb.1593:
	s_and_not1_b32 vcc_lo, exec_lo, s6
	s_cbranch_vccnz .LBB6_1595
.LBB6_1594:
	global_load_u8 v6, v[2:3], off
	s_mov_b32 s0, -1
	s_waitcnt vmcnt(0)
	v_cmp_ne_u16_e32 vcc_lo, 0, v6
	v_mov_b32_e32 v6, 0
	v_cndmask_b32_e64 v7, 0, 0x3ff00000, vcc_lo
.LBB6_1595:
	s_mov_b32 s1, 0
.LBB6_1596:
	s_delay_alu instid0(SALU_CYCLE_1)
	s_and_b32 vcc_lo, exec_lo, s1
	s_cbranch_vccz .LBB6_1645
; %bb.1597:
	v_cmp_gt_i16_e32 vcc_lo, 5, v12
	s_cbranch_vccnz .LBB6_1602
; %bb.1598:
	v_cmp_gt_i16_e32 vcc_lo, 8, v12
	s_cbranch_vccnz .LBB6_1603
	;; [unrolled: 3-line block ×3, first 2 shown]
; %bb.1600:
	v_cmp_lt_i16_e32 vcc_lo, 9, v12
	s_cbranch_vccz .LBB6_1605
; %bb.1601:
	global_load_b64 v[6:7], v[2:3], off
	s_mov_b32 s0, 0
	s_branch .LBB6_1606
.LBB6_1602:
	s_mov_b32 s0, -1
                                        ; implicit-def: $vgpr6_vgpr7
	s_branch .LBB6_1624
.LBB6_1603:
	s_mov_b32 s0, -1
                                        ; implicit-def: $vgpr6_vgpr7
	s_branch .LBB6_1612
.LBB6_1604:
	s_mov_b32 s0, -1
                                        ; implicit-def: $vgpr6_vgpr7
	s_branch .LBB6_1609
.LBB6_1605:
	s_mov_b32 s0, -1
                                        ; implicit-def: $vgpr6_vgpr7
.LBB6_1606:
	s_delay_alu instid0(SALU_CYCLE_1)
	s_and_not1_b32 vcc_lo, exec_lo, s0
	s_cbranch_vccnz .LBB6_1608
; %bb.1607:
	global_load_b32 v6, v[2:3], off
	s_waitcnt vmcnt(0)
	v_cvt_f64_f32_e32 v[6:7], v6
.LBB6_1608:
	s_mov_b32 s0, 0
.LBB6_1609:
	s_delay_alu instid0(SALU_CYCLE_1)
	s_and_not1_b32 vcc_lo, exec_lo, s0
	s_cbranch_vccnz .LBB6_1611
; %bb.1610:
	global_load_b32 v6, v[2:3], off
	s_waitcnt vmcnt(0)
	v_cvt_f32_f16_e32 v6, v6
	s_delay_alu instid0(VALU_DEP_1)
	v_cvt_f64_f32_e32 v[6:7], v6
.LBB6_1611:
	s_mov_b32 s0, 0
.LBB6_1612:
	s_delay_alu instid0(SALU_CYCLE_1)
	s_and_not1_b32 vcc_lo, exec_lo, s0
	s_cbranch_vccnz .LBB6_1623
; %bb.1613:
	v_cmp_gt_i16_e32 vcc_lo, 6, v12
	s_cbranch_vccnz .LBB6_1616
; %bb.1614:
	v_cmp_lt_i16_e32 vcc_lo, 6, v12
	s_cbranch_vccz .LBB6_1617
; %bb.1615:
	global_load_b64 v[6:7], v[2:3], off
	s_mov_b32 s0, 0
	s_branch .LBB6_1618
.LBB6_1616:
	s_mov_b32 s0, -1
                                        ; implicit-def: $vgpr6_vgpr7
	s_branch .LBB6_1621
.LBB6_1617:
	s_mov_b32 s0, -1
                                        ; implicit-def: $vgpr6_vgpr7
.LBB6_1618:
	s_delay_alu instid0(SALU_CYCLE_1)
	s_and_not1_b32 vcc_lo, exec_lo, s0
	s_cbranch_vccnz .LBB6_1620
; %bb.1619:
	global_load_b32 v6, v[2:3], off
	s_waitcnt vmcnt(0)
	v_cvt_f64_f32_e32 v[6:7], v6
.LBB6_1620:
	s_mov_b32 s0, 0
.LBB6_1621:
	s_delay_alu instid0(SALU_CYCLE_1)
	s_and_not1_b32 vcc_lo, exec_lo, s0
	s_cbranch_vccnz .LBB6_1623
; %bb.1622:
	global_load_u16 v6, v[2:3], off
	s_waitcnt vmcnt(0)
	v_cvt_f32_f16_e32 v6, v6
	s_delay_alu instid0(VALU_DEP_1)
	v_cvt_f64_f32_e32 v[6:7], v6
.LBB6_1623:
	s_mov_b32 s0, 0
.LBB6_1624:
	s_delay_alu instid0(SALU_CYCLE_1)
	s_and_not1_b32 vcc_lo, exec_lo, s0
	s_cbranch_vccnz .LBB6_1644
; %bb.1625:
	v_cmp_gt_i16_e32 vcc_lo, 2, v12
	s_cbranch_vccnz .LBB6_1629
; %bb.1626:
	v_cmp_gt_i16_e32 vcc_lo, 3, v12
	s_cbranch_vccnz .LBB6_1630
; %bb.1627:
	v_cmp_lt_i16_e32 vcc_lo, 3, v12
	s_cbranch_vccz .LBB6_1631
; %bb.1628:
	global_load_b64 v[6:7], v[2:3], off
	s_mov_b32 s0, 0
	s_waitcnt vmcnt(0)
	v_cvt_f64_i32_e32 v[7:8], v7
	v_cvt_f64_u32_e32 v[15:16], v6
	s_delay_alu instid0(VALU_DEP_2) | instskip(NEXT) | instid1(VALU_DEP_1)
	v_ldexp_f64 v[7:8], v[7:8], 32
	v_add_f64 v[6:7], v[7:8], v[15:16]
	s_branch .LBB6_1632
.LBB6_1629:
	s_mov_b32 s0, -1
                                        ; implicit-def: $vgpr6_vgpr7
	s_branch .LBB6_1638
.LBB6_1630:
	s_mov_b32 s0, -1
                                        ; implicit-def: $vgpr6_vgpr7
	s_branch .LBB6_1635
.LBB6_1631:
	s_mov_b32 s0, -1
                                        ; implicit-def: $vgpr6_vgpr7
.LBB6_1632:
	s_delay_alu instid0(SALU_CYCLE_1)
	s_and_not1_b32 vcc_lo, exec_lo, s0
	s_cbranch_vccnz .LBB6_1634
; %bb.1633:
	global_load_b32 v6, v[2:3], off
	s_waitcnt vmcnt(0)
	v_cvt_f64_i32_e32 v[6:7], v6
.LBB6_1634:
	s_mov_b32 s0, 0
.LBB6_1635:
	s_delay_alu instid0(SALU_CYCLE_1)
	s_and_not1_b32 vcc_lo, exec_lo, s0
	s_cbranch_vccnz .LBB6_1637
; %bb.1636:
	global_load_i16 v6, v[2:3], off
	s_waitcnt vmcnt(0)
	v_cvt_f64_i32_e32 v[6:7], v6
.LBB6_1637:
	s_mov_b32 s0, 0
.LBB6_1638:
	s_delay_alu instid0(SALU_CYCLE_1)
	s_and_not1_b32 vcc_lo, exec_lo, s0
	s_cbranch_vccnz .LBB6_1644
; %bb.1639:
	v_cmp_lt_i16_e32 vcc_lo, 0, v12
	s_mov_b32 s0, 0
	s_cbranch_vccz .LBB6_1641
; %bb.1640:
	global_load_i8 v6, v[2:3], off
	s_waitcnt vmcnt(0)
	v_cvt_f64_i32_e32 v[6:7], v6
	s_branch .LBB6_1642
.LBB6_1641:
	s_mov_b32 s0, -1
                                        ; implicit-def: $vgpr6_vgpr7
.LBB6_1642:
	s_delay_alu instid0(SALU_CYCLE_1)
	s_and_not1_b32 vcc_lo, exec_lo, s0
	s_cbranch_vccnz .LBB6_1644
; %bb.1643:
	global_load_u8 v2, v[2:3], off
	s_waitcnt vmcnt(0)
	v_cvt_f64_u32_e32 v[6:7], v2
.LBB6_1644:
	s_mov_b32 s0, -1
.LBB6_1645:
	s_delay_alu instid0(SALU_CYCLE_1)
	s_and_not1_b32 vcc_lo, exec_lo, s0
	s_cbranch_vccnz .LBB6_1736
; %bb.1646:
	s_waitcnt vmcnt(0)
	s_delay_alu instid0(VALU_DEP_1) | instskip(SKIP_2) | instid1(VALU_DEP_2)
	v_trunc_f64_e32 v[2:3], v[6:7]
	v_cmp_class_f64_e64 vcc_lo, v[6:7], 0x1f8
	s_mov_b32 s3, exec_lo
	v_ldexp_f64 v[8:9], v[2:3], 0xffffffe0
	s_delay_alu instid0(VALU_DEP_1) | instskip(NEXT) | instid1(VALU_DEP_1)
	v_floor_f64_e32 v[8:9], v[8:9]
	v_fma_f64 v[2:3], 0xc1f00000, v[8:9], v[2:3]
	v_cvt_i32_f64_e32 v8, v[8:9]
	s_delay_alu instid0(VALU_DEP_2) | instskip(NEXT) | instid1(VALU_DEP_2)
	v_cvt_u32_f64_e32 v2, v[2:3]
	v_dual_cndmask_b32 v3, -1, v8 :: v_dual_mov_b32 v8, 0
	s_delay_alu instid0(VALU_DEP_2) | instskip(NEXT) | instid1(VALU_DEP_1)
	v_dual_mov_b32 v9, 0 :: v_dual_cndmask_b32 v2, -1, v2
	v_cmpx_lt_i64_e32 -1, v[2:3]
	s_cbranch_execz .LBB6_1658
; %bb.1647:
	v_mov_b32_e32 v8, 0
	v_mov_b32_e32 v9, 0x3ff00000
	s_mov_b32 s6, exec_lo
	v_cmpx_lt_i64_e32 0, v[2:3]
	s_cbranch_execz .LBB6_1657
; %bb.1648:
                                        ; implicit-def: $vgpr8_vgpr9
	s_mov_b32 s0, exec_lo
	v_cmpx_ne_u64_e32 1, v[2:3]
	s_xor_b32 s7, exec_lo, s0
	s_cbranch_execz .LBB6_1654
; %bb.1649:
	v_mov_b32_e32 v8, 0
	v_mov_b32_e32 v9, 0x7ff80000
	s_mov_b32 s14, exec_lo
	v_cmpx_gt_u64_e32 0x201, v[2:3]
	s_cbranch_execz .LBB6_1653
; %bb.1650:
	v_add_f64 v[6:7], s[8:9], s[8:9]
	v_lshlrev_b64 v[2:3], 1, v[2:3]
	v_mov_b32_e32 v12, 0
	v_mov_b32_e32 v13, 0x3ff00000
	s_mov_b64 s[0:1], 2
	s_mov_b32 s15, 0
	s_delay_alu instid0(VALU_DEP_4)
	v_dual_mov_b32 v9, v7 :: v_dual_mov_b32 v8, v6
.LBB6_1651:                             ; =>This Inner Loop Header: Depth=1
	v_cvt_f64_u32_e32 v[15:16], s1
	v_cvt_f64_u32_e32 v[17:18], s0
	s_add_u32 s0, s0, 2
	s_addc_u32 s1, s1, 0
	s_delay_alu instid0(SALU_CYCLE_1) | instskip(SKIP_1) | instid1(VALU_DEP_3)
	v_cmp_ge_u64_e32 vcc_lo, s[0:1], v[2:3]
	s_or_b32 s15, vcc_lo, s15
	v_ldexp_f64 v[15:16], v[15:16], 32
	s_delay_alu instid0(VALU_DEP_1) | instskip(NEXT) | instid1(VALU_DEP_1)
	v_add_f64 v[15:16], v[15:16], v[17:18]
	v_mul_f64 v[12:13], v[12:13], v[15:16]
	v_dual_mov_b32 v16, v9 :: v_dual_mov_b32 v15, v8
	s_delay_alu instid0(VALU_DEP_1)
	v_fma_f64 v[8:9], v[6:7], v[15:16], -v[12:13]
	v_dual_mov_b32 v12, v15 :: v_dual_mov_b32 v13, v16
	s_and_not1_b32 exec_lo, exec_lo, s15
	s_cbranch_execnz .LBB6_1651
; %bb.1652:
	s_or_b32 exec_lo, exec_lo, s15
.LBB6_1653:
	s_delay_alu instid0(SALU_CYCLE_1)
	s_or_b32 exec_lo, exec_lo, s14
.LBB6_1654:
	s_and_not1_saveexec_b32 s0, s7
; %bb.1655:
	v_add_f64 v[8:9], s[8:9], s[8:9]
; %bb.1656:
	s_or_b32 exec_lo, exec_lo, s0
.LBB6_1657:
	s_delay_alu instid0(SALU_CYCLE_1)
	s_or_b32 exec_lo, exec_lo, s6
.LBB6_1658:
	s_delay_alu instid0(SALU_CYCLE_1) | instskip(SKIP_2) | instid1(VALU_DEP_1)
	s_or_b32 exec_lo, exec_lo, s3
	v_mul_lo_u32 v12, s2, v14
	v_and_b32_e64 v15, 0xff, s10
	v_cmp_gt_i16_e32 vcc_lo, 11, v15
	s_delay_alu instid0(VALU_DEP_3) | instskip(SKIP_1) | instid1(VALU_DEP_1)
	v_ashrrev_i32_e32 v2, 31, v12
	v_add_co_u32 v6, s0, s4, v12
	v_add_co_ci_u32_e64 v7, s0, s5, v2, s0
	s_cbranch_vccnz .LBB6_1781
; %bb.1659:
	v_cmp_lt_i16_e32 vcc_lo, 25, v15
	s_mov_b32 s6, -1
	s_mov_b32 s1, 0
	s_mov_b32 s3, 0
	;; [unrolled: 1-line block ×3, first 2 shown]
	s_cbranch_vccz .LBB6_1692
; %bb.1660:
	v_cmp_lt_i16_e32 vcc_lo, 28, v15
	s_cbranch_vccz .LBB6_1675
; %bb.1661:
	v_cmp_lt_i16_e32 vcc_lo, 43, v15
	;; [unrolled: 3-line block ×3, first 2 shown]
	s_cbranch_vccz .LBB6_1665
; %bb.1663:
	v_cmp_eq_u16_e32 vcc_lo, 46, v15
	s_mov_b32 s0, -1
	s_mov_b32 s6, 0
	s_cbranch_vccz .LBB6_1665
; %bb.1664:
	v_cvt_f32_f64_e32 v2, v[0:1]
	s_mov_b32 s0, 0
	s_mov_b32 s3, -1
	s_delay_alu instid0(VALU_DEP_1) | instskip(SKIP_1) | instid1(VALU_DEP_2)
	v_bfe_u32 v3, v2, 16, 1
	v_cmp_o_f32_e32 vcc_lo, v2, v2
	v_add3_u32 v3, v2, v3, 0x7fff
	s_delay_alu instid0(VALU_DEP_1) | instskip(NEXT) | instid1(VALU_DEP_1)
	v_lshrrev_b32_e32 v3, 16, v3
	v_cndmask_b32_e32 v2, 0x7fc0, v3, vcc_lo
	global_store_b32 v[6:7], v2, off
.LBB6_1665:
	s_and_b32 vcc_lo, exec_lo, s6
	s_cbranch_vccz .LBB6_1670
; %bb.1666:
	v_cmp_eq_u16_e32 vcc_lo, 44, v15
	s_mov_b32 s0, -1
	s_cbranch_vccz .LBB6_1670
; %bb.1667:
	v_cvt_f32_f64_e32 v2, v[0:1]
	v_mov_b32_e32 v3, 0xff
	s_mov_b32 s3, exec_lo
	s_delay_alu instid0(VALU_DEP_2) | instskip(NEXT) | instid1(VALU_DEP_1)
	v_bfe_u32 v13, v2, 23, 8
	v_cmpx_ne_u32_e32 0xff, v13
; %bb.1668:
	v_and_b32_e32 v3, 0x400000, v2
	v_and_or_b32 v13, 0x3fffff, v2, v13
	v_lshrrev_b32_e32 v2, 23, v2
	s_delay_alu instid0(VALU_DEP_3) | instskip(NEXT) | instid1(VALU_DEP_3)
	v_cmp_ne_u32_e32 vcc_lo, 0, v3
	v_cmp_ne_u32_e64 s0, 0, v13
	s_delay_alu instid0(VALU_DEP_1) | instskip(NEXT) | instid1(SALU_CYCLE_1)
	s_and_b32 s0, vcc_lo, s0
	v_cndmask_b32_e64 v3, 0, 1, s0
	s_delay_alu instid0(VALU_DEP_1)
	v_add_nc_u32_e32 v3, v2, v3
; %bb.1669:
	s_or_b32 exec_lo, exec_lo, s3
	s_mov_b32 s0, 0
	s_mov_b32 s3, -1
	global_store_b8 v[6:7], v3, off
.LBB6_1670:
	s_mov_b32 s6, 0
.LBB6_1671:
	s_delay_alu instid0(SALU_CYCLE_1)
	s_and_b32 vcc_lo, exec_lo, s6
	s_cbranch_vccz .LBB6_1674
; %bb.1672:
	v_cmp_eq_u16_e32 vcc_lo, 29, v15
	s_mov_b32 s0, -1
	s_cbranch_vccz .LBB6_1674
; %bb.1673:
	v_trunc_f64_e32 v[2:3], v[0:1]
	s_mov_b32 s0, 0
	s_mov_b32 s3, -1
	s_delay_alu instid0(VALU_DEP_1) | instskip(NEXT) | instid1(VALU_DEP_1)
	v_ldexp_f64 v[13:14], v[2:3], 0xffffffe0
	v_floor_f64_e32 v[13:14], v[13:14]
	s_delay_alu instid0(VALU_DEP_1) | instskip(SKIP_1) | instid1(VALU_DEP_2)
	v_fma_f64 v[2:3], 0xc1f00000, v[13:14], v[2:3]
	v_cvt_u32_f64_e32 v14, v[13:14]
	v_cvt_u32_f64_e32 v13, v[2:3]
	global_store_b64 v[6:7], v[13:14], off
.LBB6_1674:
	s_mov_b32 s6, 0
.LBB6_1675:
	s_delay_alu instid0(SALU_CYCLE_1)
	s_and_b32 vcc_lo, exec_lo, s6
	s_cbranch_vccz .LBB6_1691
; %bb.1676:
	v_cmp_gt_i16_e32 vcc_lo, 27, v15
	s_mov_b32 s3, -1
	s_cbranch_vccnz .LBB6_1682
; %bb.1677:
	v_cvt_u32_f64_e32 v2, v[0:1]
	v_cmp_lt_i16_e32 vcc_lo, 27, v15
	s_cbranch_vccz .LBB6_1679
; %bb.1678:
	s_mov_b32 s3, 0
	global_store_b32 v[6:7], v2, off
.LBB6_1679:
	s_and_not1_b32 vcc_lo, exec_lo, s3
	s_cbranch_vccnz .LBB6_1681
; %bb.1680:
	global_store_b16 v[6:7], v2, off
.LBB6_1681:
	s_mov_b32 s3, 0
.LBB6_1682:
	s_delay_alu instid0(SALU_CYCLE_1)
	s_and_not1_b32 vcc_lo, exec_lo, s3
	s_cbranch_vccnz .LBB6_1690
; %bb.1683:
	v_cvt_f32_f64_e32 v2, v[0:1]
	v_mov_b32_e32 v13, 0x80
	s_mov_b32 s3, exec_lo
	s_delay_alu instid0(VALU_DEP_2) | instskip(NEXT) | instid1(VALU_DEP_1)
	v_and_b32_e32 v3, 0x7fffffff, v2
	v_cmpx_gt_u32_e32 0x43800000, v3
	s_cbranch_execz .LBB6_1689
; %bb.1684:
	v_cmp_lt_u32_e32 vcc_lo, 0x3bffffff, v3
	s_mov_b32 s6, 0
                                        ; implicit-def: $vgpr3
	s_and_saveexec_b32 s7, vcc_lo
	s_delay_alu instid0(SALU_CYCLE_1)
	s_xor_b32 s7, exec_lo, s7
	s_cbranch_execz .LBB6_2140
; %bb.1685:
	v_bfe_u32 v3, v2, 20, 1
	s_mov_b32 s6, exec_lo
	s_delay_alu instid0(VALU_DEP_1) | instskip(NEXT) | instid1(VALU_DEP_1)
	v_add3_u32 v3, v2, v3, 0x487ffff
	v_lshrrev_b32_e32 v3, 20, v3
	s_or_saveexec_b32 s7, s7
                                        ; implicit-def: $sgpr8
	s_delay_alu instid0(SALU_CYCLE_1)
	s_xor_b32 exec_lo, exec_lo, s7
	s_cbranch_execnz .LBB6_2141
.LBB6_1686:
	s_or_b32 exec_lo, exec_lo, s7
	v_mov_b32_e32 v13, s8
	s_and_saveexec_b32 s7, s6
.LBB6_1687:
	v_lshrrev_b32_e32 v2, 24, v2
	s_delay_alu instid0(VALU_DEP_1)
	v_and_or_b32 v13, 0x80, v2, v3
.LBB6_1688:
	s_or_b32 exec_lo, exec_lo, s7
.LBB6_1689:
	s_delay_alu instid0(SALU_CYCLE_1)
	s_or_b32 exec_lo, exec_lo, s3
	global_store_b8 v[6:7], v13, off
.LBB6_1690:
	s_mov_b32 s3, -1
.LBB6_1691:
	s_mov_b32 s6, 0
.LBB6_1692:
	s_delay_alu instid0(SALU_CYCLE_1)
	s_and_b32 vcc_lo, exec_lo, s6
	s_cbranch_vccz .LBB6_1732
; %bb.1693:
	v_cmp_lt_i16_e32 vcc_lo, 22, v15
	s_mov_b32 s1, -1
	s_cbranch_vccz .LBB6_1725
; %bb.1694:
	v_cmp_gt_i16_e32 vcc_lo, 24, v15
	s_cbranch_vccnz .LBB6_1714
; %bb.1695:
	v_cmp_lt_i16_e32 vcc_lo, 24, v15
	s_cbranch_vccz .LBB6_1703
; %bb.1696:
	v_cvt_f32_f64_e32 v2, v[0:1]
	v_mov_b32_e32 v13, 0x80
	s_mov_b32 s1, exec_lo
	s_delay_alu instid0(VALU_DEP_2) | instskip(NEXT) | instid1(VALU_DEP_1)
	v_and_b32_e32 v3, 0x7fffffff, v2
	v_cmpx_gt_u32_e32 0x47800000, v3
	s_cbranch_execz .LBB6_1702
; %bb.1697:
	v_cmp_lt_u32_e32 vcc_lo, 0x37ffffff, v3
	s_mov_b32 s3, 0
                                        ; implicit-def: $vgpr3
	s_and_saveexec_b32 s6, vcc_lo
	s_delay_alu instid0(SALU_CYCLE_1)
	s_xor_b32 s6, exec_lo, s6
	s_cbranch_execz .LBB6_2146
; %bb.1698:
	v_bfe_u32 v3, v2, 21, 1
	s_mov_b32 s3, exec_lo
	s_delay_alu instid0(VALU_DEP_1) | instskip(NEXT) | instid1(VALU_DEP_1)
	v_add3_u32 v3, v2, v3, 0x88fffff
	v_lshrrev_b32_e32 v3, 21, v3
	s_or_saveexec_b32 s6, s6
                                        ; implicit-def: $sgpr7
	s_delay_alu instid0(SALU_CYCLE_1)
	s_xor_b32 exec_lo, exec_lo, s6
	s_cbranch_execnz .LBB6_2147
.LBB6_1699:
	s_or_b32 exec_lo, exec_lo, s6
	v_mov_b32_e32 v13, s7
	s_and_saveexec_b32 s6, s3
.LBB6_1700:
	v_lshrrev_b32_e32 v2, 24, v2
	s_delay_alu instid0(VALU_DEP_1)
	v_and_or_b32 v13, 0x80, v2, v3
.LBB6_1701:
	s_or_b32 exec_lo, exec_lo, s6
.LBB6_1702:
	s_delay_alu instid0(SALU_CYCLE_1)
	s_or_b32 exec_lo, exec_lo, s1
	s_mov_b32 s1, 0
	global_store_b8 v[6:7], v13, off
.LBB6_1703:
	s_and_b32 vcc_lo, exec_lo, s1
	s_cbranch_vccz .LBB6_1713
; %bb.1704:
	v_cvt_f32_f64_e32 v2, v[0:1]
	s_mov_b32 s1, exec_lo
                                        ; implicit-def: $vgpr3
	s_delay_alu instid0(VALU_DEP_1) | instskip(NEXT) | instid1(VALU_DEP_1)
	v_and_b32_e32 v13, 0x7fffffff, v2
	v_cmpx_gt_u32_e32 0x43f00000, v13
	s_xor_b32 s1, exec_lo, s1
	s_cbranch_execz .LBB6_1710
; %bb.1705:
	s_mov_b32 s3, exec_lo
                                        ; implicit-def: $vgpr3
	v_cmpx_lt_u32_e32 0x3c7fffff, v13
	s_xor_b32 s3, exec_lo, s3
; %bb.1706:
	v_bfe_u32 v3, v2, 20, 1
	s_delay_alu instid0(VALU_DEP_1) | instskip(NEXT) | instid1(VALU_DEP_1)
	v_add3_u32 v3, v2, v3, 0x407ffff
	v_and_b32_e32 v13, 0xff00000, v3
	v_lshrrev_b32_e32 v3, 20, v3
	s_delay_alu instid0(VALU_DEP_2) | instskip(NEXT) | instid1(VALU_DEP_2)
	v_cmp_ne_u32_e32 vcc_lo, 0x7f00000, v13
	v_cndmask_b32_e32 v3, 0x7e, v3, vcc_lo
; %bb.1707:
	s_and_not1_saveexec_b32 s3, s3
; %bb.1708:
	v_add_f32_e64 v3, 0x46800000, |v2|
; %bb.1709:
	s_or_b32 exec_lo, exec_lo, s3
                                        ; implicit-def: $vgpr13
.LBB6_1710:
	s_and_not1_saveexec_b32 s1, s1
; %bb.1711:
	v_mov_b32_e32 v3, 0x7f
	v_cmp_lt_u32_e32 vcc_lo, 0x7f800000, v13
	s_delay_alu instid0(VALU_DEP_2)
	v_cndmask_b32_e32 v3, 0x7e, v3, vcc_lo
; %bb.1712:
	s_or_b32 exec_lo, exec_lo, s1
	v_lshrrev_b32_e32 v2, 24, v2
	s_delay_alu instid0(VALU_DEP_1)
	v_and_or_b32 v2, 0x80, v2, v3
	global_store_b8 v[6:7], v2, off
.LBB6_1713:
	s_mov_b32 s1, 0
.LBB6_1714:
	s_delay_alu instid0(SALU_CYCLE_1)
	s_and_not1_b32 vcc_lo, exec_lo, s1
	s_cbranch_vccnz .LBB6_1724
; %bb.1715:
	v_cvt_f32_f64_e32 v2, v[0:1]
	s_mov_b32 s1, exec_lo
                                        ; implicit-def: $vgpr3
	s_delay_alu instid0(VALU_DEP_1) | instskip(NEXT) | instid1(VALU_DEP_1)
	v_and_b32_e32 v13, 0x7fffffff, v2
	v_cmpx_gt_u32_e32 0x47800000, v13
	s_xor_b32 s1, exec_lo, s1
	s_cbranch_execz .LBB6_1721
; %bb.1716:
	s_mov_b32 s3, exec_lo
                                        ; implicit-def: $vgpr3
	v_cmpx_lt_u32_e32 0x387fffff, v13
	s_xor_b32 s3, exec_lo, s3
; %bb.1717:
	v_bfe_u32 v3, v2, 21, 1
	s_delay_alu instid0(VALU_DEP_1) | instskip(NEXT) | instid1(VALU_DEP_1)
	v_add3_u32 v3, v2, v3, 0x80fffff
	v_lshrrev_b32_e32 v3, 21, v3
; %bb.1718:
	s_and_not1_saveexec_b32 s3, s3
; %bb.1719:
	v_add_f32_e64 v3, 0x43000000, |v2|
; %bb.1720:
	s_or_b32 exec_lo, exec_lo, s3
                                        ; implicit-def: $vgpr13
.LBB6_1721:
	s_and_not1_saveexec_b32 s1, s1
; %bb.1722:
	v_mov_b32_e32 v3, 0x7f
	v_cmp_lt_u32_e32 vcc_lo, 0x7f800000, v13
	s_delay_alu instid0(VALU_DEP_2)
	v_cndmask_b32_e32 v3, 0x7c, v3, vcc_lo
; %bb.1723:
	s_or_b32 exec_lo, exec_lo, s1
	v_lshrrev_b32_e32 v2, 24, v2
	s_delay_alu instid0(VALU_DEP_1)
	v_and_or_b32 v2, 0x80, v2, v3
	global_store_b8 v[6:7], v2, off
.LBB6_1724:
	s_mov_b32 s1, 0
	s_mov_b32 s3, -1
.LBB6_1725:
	s_and_not1_b32 vcc_lo, exec_lo, s1
	s_mov_b32 s1, 0
	s_cbranch_vccnz .LBB6_1732
; %bb.1726:
	v_cmp_lt_i16_e32 vcc_lo, 14, v15
	s_mov_b32 s1, -1
	s_cbranch_vccz .LBB6_1730
; %bb.1727:
	v_cmp_eq_u16_e32 vcc_lo, 15, v15
	s_mov_b32 s0, -1
	s_cbranch_vccz .LBB6_1729
; %bb.1728:
	v_cvt_f32_f64_e32 v2, v[0:1]
	s_mov_b32 s0, 0
	s_mov_b32 s3, -1
	s_delay_alu instid0(VALU_DEP_1) | instskip(SKIP_1) | instid1(VALU_DEP_2)
	v_bfe_u32 v3, v2, 16, 1
	v_cmp_o_f32_e32 vcc_lo, v2, v2
	v_add3_u32 v3, v2, v3, 0x7fff
	s_delay_alu instid0(VALU_DEP_1) | instskip(NEXT) | instid1(VALU_DEP_1)
	v_lshrrev_b32_e32 v3, 16, v3
	v_cndmask_b32_e32 v2, 0x7fc0, v3, vcc_lo
	global_store_b16 v[6:7], v2, off
.LBB6_1729:
	s_mov_b32 s1, 0
.LBB6_1730:
	s_delay_alu instid0(SALU_CYCLE_1)
	s_and_b32 vcc_lo, exec_lo, s1
	s_mov_b32 s1, 0
	s_cbranch_vccz .LBB6_1732
; %bb.1731:
	v_cmp_ne_u16_e64 s0, 11, v15
	s_mov_b32 s1, -1
.LBB6_1732:
	s_delay_alu instid0(VALU_DEP_1)
	s_and_b32 vcc_lo, exec_lo, s0
	s_cbranch_vccnz .LBB6_2144
; %bb.1733:
	s_and_not1_b32 vcc_lo, exec_lo, s1
	s_cbranch_vccnz .LBB6_1735
.LBB6_1734:
	v_cmp_neq_f64_e32 vcc_lo, 0, v[0:1]
	s_mov_b32 s3, -1
	v_cndmask_b32_e64 v2, 0, 1, vcc_lo
	global_store_b8 v[6:7], v2, off
.LBB6_1735:
	s_mov_b32 s0, 0
	s_branch .LBB6_1782
.LBB6_1736:
	s_mov_b32 s0, 0
	s_mov_b32 s1, 0
                                        ; implicit-def: $vgpr15
                                        ; implicit-def: $vgpr0_vgpr1
                                        ; implicit-def: $vgpr8_vgpr9
.LBB6_1737:
	s_and_not1_b32 s2, s13, exec_lo
	s_and_b32 s3, s11, exec_lo
	s_and_b32 s0, s0, exec_lo
	;; [unrolled: 1-line block ×3, first 2 shown]
	s_or_b32 s13, s2, s3
.LBB6_1738:
	s_or_b32 exec_lo, exec_lo, s12
	s_and_saveexec_b32 s1, s13
	s_cbranch_execz .LBB6_1741
; %bb.1739:
	; divergent unreachable
	s_or_b32 exec_lo, exec_lo, s1
	s_and_saveexec_b32 s1, s11
	s_delay_alu instid0(SALU_CYCLE_1)
	s_xor_b32 s1, exec_lo, s1
	s_cbranch_execnz .LBB6_1742
.LBB6_1740:
	s_or_b32 exec_lo, exec_lo, s1
	s_and_saveexec_b32 s1, s0
	s_cbranch_execnz .LBB6_1743
	s_branch .LBB6_1780
.LBB6_1741:
	s_or_b32 exec_lo, exec_lo, s1
	s_and_saveexec_b32 s1, s11
	s_delay_alu instid0(SALU_CYCLE_1)
	s_xor_b32 s1, exec_lo, s1
	s_cbranch_execz .LBB6_1740
.LBB6_1742:
	v_cmp_neq_f64_e32 vcc_lo, 0, v[8:9]
	s_waitcnt vmcnt(0)
	v_cndmask_b32_e64 v2, 0, 1, vcc_lo
	global_store_b8 v[0:1], v2, off
	s_or_b32 exec_lo, exec_lo, s1
	s_and_saveexec_b32 s1, s0
	s_cbranch_execz .LBB6_1780
.LBB6_1743:
	v_cmp_gt_i16_e32 vcc_lo, 5, v15
	s_mov_b32 s0, -1
	s_cbranch_vccnz .LBB6_1764
; %bb.1744:
	v_cmp_gt_i16_e32 vcc_lo, 8, v15
	s_cbranch_vccnz .LBB6_1754
; %bb.1745:
	v_cmp_gt_i16_e32 vcc_lo, 9, v15
	s_cbranch_vccnz .LBB6_1751
; %bb.1746:
	v_cmp_lt_i16_e32 vcc_lo, 9, v15
	s_cbranch_vccz .LBB6_1748
; %bb.1747:
	v_mov_b32_e32 v10, 0
	s_mov_b32 s0, 0
	s_delay_alu instid0(VALU_DEP_1)
	v_mov_b32_e32 v11, v10
	global_store_b128 v[0:1], v[8:11], off
.LBB6_1748:
	s_and_not1_b32 vcc_lo, exec_lo, s0
	s_cbranch_vccnz .LBB6_1750
; %bb.1749:
	s_waitcnt vmcnt(0)
	v_cvt_f32_f64_e32 v2, v[8:9]
	v_mov_b32_e32 v3, 0
	global_store_b64 v[0:1], v[2:3], off
.LBB6_1750:
	s_mov_b32 s0, 0
.LBB6_1751:
	s_delay_alu instid0(SALU_CYCLE_1)
	s_and_not1_b32 vcc_lo, exec_lo, s0
	s_cbranch_vccnz .LBB6_1753
; %bb.1752:
	s_waitcnt vmcnt(0)
	v_cvt_f32_f64_e32 v2, v[8:9]
	s_delay_alu instid0(VALU_DEP_1) | instskip(NEXT) | instid1(VALU_DEP_1)
	v_cvt_f16_f32_e32 v2, v2
	v_and_b32_e32 v2, 0xffff, v2
	global_store_b32 v[0:1], v2, off
.LBB6_1753:
	s_mov_b32 s0, 0
.LBB6_1754:
	s_delay_alu instid0(SALU_CYCLE_1)
	s_and_not1_b32 vcc_lo, exec_lo, s0
	s_cbranch_vccnz .LBB6_1763
; %bb.1755:
	v_cmp_gt_i16_e32 vcc_lo, 6, v15
	s_mov_b32 s0, -1
	s_cbranch_vccnz .LBB6_1761
; %bb.1756:
	v_cmp_lt_i16_e32 vcc_lo, 6, v15
	s_cbranch_vccz .LBB6_1758
; %bb.1757:
	s_mov_b32 s0, 0
	global_store_b64 v[0:1], v[8:9], off
.LBB6_1758:
	s_and_not1_b32 vcc_lo, exec_lo, s0
	s_cbranch_vccnz .LBB6_1760
; %bb.1759:
	s_waitcnt vmcnt(0)
	v_cvt_f32_f64_e32 v2, v[8:9]
	global_store_b32 v[0:1], v2, off
.LBB6_1760:
	s_mov_b32 s0, 0
.LBB6_1761:
	s_delay_alu instid0(SALU_CYCLE_1)
	s_and_not1_b32 vcc_lo, exec_lo, s0
	s_cbranch_vccnz .LBB6_1763
; %bb.1762:
	s_waitcnt vmcnt(0)
	v_cvt_f32_f64_e32 v2, v[8:9]
	s_delay_alu instid0(VALU_DEP_1)
	v_cvt_f16_f32_e32 v2, v2
	global_store_b16 v[0:1], v2, off
.LBB6_1763:
	s_mov_b32 s0, 0
.LBB6_1764:
	s_delay_alu instid0(SALU_CYCLE_1)
	s_and_not1_b32 vcc_lo, exec_lo, s0
	s_cbranch_vccnz .LBB6_1780
; %bb.1765:
	v_cmp_gt_i16_e32 vcc_lo, 2, v15
	s_mov_b32 s0, -1
	s_cbranch_vccnz .LBB6_1775
; %bb.1766:
	v_cmp_gt_i16_e32 vcc_lo, 3, v15
	s_cbranch_vccnz .LBB6_1772
; %bb.1767:
	v_cmp_lt_i16_e32 vcc_lo, 3, v15
	s_cbranch_vccz .LBB6_1769
; %bb.1768:
	s_waitcnt vmcnt(0)
	v_trunc_f64_e32 v[2:3], v[8:9]
	s_mov_b32 s0, 0
	s_delay_alu instid0(VALU_DEP_1) | instskip(NEXT) | instid1(VALU_DEP_1)
	v_ldexp_f64 v[4:5], v[2:3], 0xffffffe0
	v_floor_f64_e32 v[4:5], v[4:5]
	s_delay_alu instid0(VALU_DEP_1) | instskip(SKIP_1) | instid1(VALU_DEP_2)
	v_fma_f64 v[2:3], 0xc1f00000, v[4:5], v[2:3]
	v_cvt_i32_f64_e32 v4, v[4:5]
	v_cvt_u32_f64_e32 v3, v[2:3]
	global_store_b64 v[0:1], v[3:4], off
.LBB6_1769:
	s_and_not1_b32 vcc_lo, exec_lo, s0
	s_cbranch_vccnz .LBB6_1771
; %bb.1770:
	s_waitcnt vmcnt(0)
	v_cvt_i32_f64_e32 v2, v[8:9]
	global_store_b32 v[0:1], v2, off
.LBB6_1771:
	s_mov_b32 s0, 0
.LBB6_1772:
	s_delay_alu instid0(SALU_CYCLE_1)
	s_and_not1_b32 vcc_lo, exec_lo, s0
	s_cbranch_vccnz .LBB6_1774
; %bb.1773:
	s_waitcnt vmcnt(0)
	v_cvt_i32_f64_e32 v2, v[8:9]
	global_store_b16 v[0:1], v2, off
.LBB6_1774:
	s_mov_b32 s0, 0
.LBB6_1775:
	s_delay_alu instid0(SALU_CYCLE_1)
	s_and_not1_b32 vcc_lo, exec_lo, s0
	s_cbranch_vccnz .LBB6_1780
; %bb.1776:
	v_cmp_lt_i16_e32 vcc_lo, 0, v15
	s_mov_b32 s0, -1
	s_cbranch_vccz .LBB6_1778
; %bb.1777:
	s_waitcnt vmcnt(0)
	v_cvt_i32_f64_e32 v2, v[8:9]
	s_mov_b32 s0, 0
	global_store_b8 v[0:1], v2, off
.LBB6_1778:
	s_and_not1_b32 vcc_lo, exec_lo, s0
	s_cbranch_vccnz .LBB6_1780
; %bb.1779:
	s_waitcnt vmcnt(0)
	v_trunc_f64_e32 v[2:3], v[8:9]
	s_delay_alu instid0(VALU_DEP_1) | instskip(NEXT) | instid1(VALU_DEP_1)
	v_ldexp_f64 v[4:5], v[2:3], 0xffffffe0
	v_floor_f64_e32 v[4:5], v[4:5]
	s_delay_alu instid0(VALU_DEP_1) | instskip(NEXT) | instid1(VALU_DEP_1)
	v_fma_f64 v[2:3], 0xc1f00000, v[4:5], v[2:3]
	v_cvt_u32_f64_e32 v2, v[2:3]
	global_store_b8 v[0:1], v2, off
	s_nop 0
	s_sendmsg sendmsg(MSG_DEALLOC_VGPRS)
	s_endpgm
.LBB6_1780:
	s_nop 0
	s_sendmsg sendmsg(MSG_DEALLOC_VGPRS)
	s_endpgm
.LBB6_1781:
	s_mov_b32 s0, -1
	s_mov_b32 s3, 0
.LBB6_1782:
	s_and_b32 vcc_lo, exec_lo, s0
	s_cbranch_vccz .LBB6_1821
; %bb.1783:
	v_cmp_gt_i16_e32 vcc_lo, 5, v15
	s_mov_b32 s0, -1
	s_cbranch_vccnz .LBB6_1804
; %bb.1784:
	v_cmp_gt_i16_e32 vcc_lo, 8, v15
	s_cbranch_vccnz .LBB6_1794
; %bb.1785:
	v_cmp_gt_i16_e32 vcc_lo, 9, v15
	s_cbranch_vccnz .LBB6_1791
; %bb.1786:
	v_cmp_lt_i16_e32 vcc_lo, 9, v15
	s_cbranch_vccz .LBB6_1788
; %bb.1787:
	v_mov_b32_e32 v2, 0
	s_mov_b32 s0, 0
	s_delay_alu instid0(VALU_DEP_1)
	v_mov_b32_e32 v3, v2
	global_store_b128 v[6:7], v[0:3], off
.LBB6_1788:
	s_and_not1_b32 vcc_lo, exec_lo, s0
	s_cbranch_vccnz .LBB6_1790
; %bb.1789:
	v_cvt_f32_f64_e32 v2, v[0:1]
	v_mov_b32_e32 v3, 0
	global_store_b64 v[6:7], v[2:3], off
.LBB6_1790:
	s_mov_b32 s0, 0
.LBB6_1791:
	s_delay_alu instid0(SALU_CYCLE_1)
	s_and_not1_b32 vcc_lo, exec_lo, s0
	s_cbranch_vccnz .LBB6_1793
; %bb.1792:
	v_cvt_f32_f64_e32 v2, v[0:1]
	s_delay_alu instid0(VALU_DEP_1) | instskip(NEXT) | instid1(VALU_DEP_1)
	v_cvt_f16_f32_e32 v2, v2
	v_and_b32_e32 v2, 0xffff, v2
	global_store_b32 v[6:7], v2, off
.LBB6_1793:
	s_mov_b32 s0, 0
.LBB6_1794:
	s_delay_alu instid0(SALU_CYCLE_1)
	s_and_not1_b32 vcc_lo, exec_lo, s0
	s_cbranch_vccnz .LBB6_1803
; %bb.1795:
	v_cmp_gt_i16_e32 vcc_lo, 6, v15
	s_mov_b32 s0, -1
	s_cbranch_vccnz .LBB6_1801
; %bb.1796:
	v_cmp_lt_i16_e32 vcc_lo, 6, v15
	s_cbranch_vccz .LBB6_1798
; %bb.1797:
	s_mov_b32 s0, 0
	global_store_b64 v[6:7], v[0:1], off
.LBB6_1798:
	s_and_not1_b32 vcc_lo, exec_lo, s0
	s_cbranch_vccnz .LBB6_1800
; %bb.1799:
	v_cvt_f32_f64_e32 v2, v[0:1]
	global_store_b32 v[6:7], v2, off
.LBB6_1800:
	s_mov_b32 s0, 0
.LBB6_1801:
	s_delay_alu instid0(SALU_CYCLE_1)
	s_and_not1_b32 vcc_lo, exec_lo, s0
	s_cbranch_vccnz .LBB6_1803
; %bb.1802:
	v_cvt_f32_f64_e32 v2, v[0:1]
	s_delay_alu instid0(VALU_DEP_1)
	v_cvt_f16_f32_e32 v2, v2
	global_store_b16 v[6:7], v2, off
.LBB6_1803:
	s_mov_b32 s0, 0
.LBB6_1804:
	s_delay_alu instid0(SALU_CYCLE_1)
	s_and_not1_b32 vcc_lo, exec_lo, s0
	s_cbranch_vccnz .LBB6_1820
; %bb.1805:
	v_cmp_gt_i16_e32 vcc_lo, 2, v15
	s_mov_b32 s0, -1
	s_cbranch_vccnz .LBB6_1815
; %bb.1806:
	v_cmp_gt_i16_e32 vcc_lo, 3, v15
	s_cbranch_vccnz .LBB6_1812
; %bb.1807:
	v_cmp_lt_i16_e32 vcc_lo, 3, v15
	s_cbranch_vccz .LBB6_1809
; %bb.1808:
	v_trunc_f64_e32 v[2:3], v[0:1]
	s_mov_b32 s0, 0
	s_delay_alu instid0(VALU_DEP_1) | instskip(NEXT) | instid1(VALU_DEP_1)
	v_ldexp_f64 v[13:14], v[2:3], 0xffffffe0
	v_floor_f64_e32 v[13:14], v[13:14]
	s_delay_alu instid0(VALU_DEP_1) | instskip(SKIP_1) | instid1(VALU_DEP_2)
	v_fma_f64 v[2:3], 0xc1f00000, v[13:14], v[2:3]
	v_cvt_i32_f64_e32 v14, v[13:14]
	v_cvt_u32_f64_e32 v13, v[2:3]
	global_store_b64 v[6:7], v[13:14], off
.LBB6_1809:
	s_and_not1_b32 vcc_lo, exec_lo, s0
	s_cbranch_vccnz .LBB6_1811
; %bb.1810:
	v_cvt_i32_f64_e32 v2, v[0:1]
	global_store_b32 v[6:7], v2, off
.LBB6_1811:
	s_mov_b32 s0, 0
.LBB6_1812:
	s_delay_alu instid0(SALU_CYCLE_1)
	s_and_not1_b32 vcc_lo, exec_lo, s0
	s_cbranch_vccnz .LBB6_1814
; %bb.1813:
	v_cvt_i32_f64_e32 v2, v[0:1]
	global_store_b16 v[6:7], v2, off
.LBB6_1814:
	s_mov_b32 s0, 0
.LBB6_1815:
	s_delay_alu instid0(SALU_CYCLE_1)
	s_and_not1_b32 vcc_lo, exec_lo, s0
	s_cbranch_vccnz .LBB6_1820
; %bb.1816:
	v_cmp_lt_i16_e32 vcc_lo, 0, v15
	s_mov_b32 s0, -1
	s_cbranch_vccz .LBB6_1818
; %bb.1817:
	v_cvt_i32_f64_e32 v2, v[0:1]
	s_mov_b32 s0, 0
	global_store_b8 v[6:7], v2, off
.LBB6_1818:
	s_and_not1_b32 vcc_lo, exec_lo, s0
	s_cbranch_vccnz .LBB6_1820
; %bb.1819:
	v_trunc_f64_e32 v[0:1], v[0:1]
	s_delay_alu instid0(VALU_DEP_1) | instskip(NEXT) | instid1(VALU_DEP_1)
	v_ldexp_f64 v[2:3], v[0:1], 0xffffffe0
	v_floor_f64_e32 v[2:3], v[2:3]
	s_delay_alu instid0(VALU_DEP_1) | instskip(NEXT) | instid1(VALU_DEP_1)
	v_fma_f64 v[0:1], 0xc1f00000, v[2:3], v[0:1]
	v_cvt_u32_f64_e32 v0, v[0:1]
	global_store_b8 v[6:7], v0, off
.LBB6_1820:
	s_mov_b32 s3, -1
.LBB6_1821:
	s_delay_alu instid0(SALU_CYCLE_1)
	s_and_not1_b32 vcc_lo, exec_lo, s3
	s_cbranch_vccnz .LBB6_2136
; %bb.1822:
	s_lshl_b32 s1, s2, 7
	v_cmp_gt_i16_e32 vcc_lo, 11, v15
	v_add_nc_u32_e32 v2, s1, v12
	s_delay_alu instid0(VALU_DEP_1) | instskip(SKIP_1) | instid1(VALU_DEP_1)
	v_ashrrev_i32_e32 v1, 31, v2
	v_add_co_u32 v0, s0, s4, v2
	v_add_co_ci_u32_e64 v1, s0, s5, v1, s0
	s_cbranch_vccnz .LBB6_1900
; %bb.1823:
	v_cmp_lt_i16_e32 vcc_lo, 25, v15
	s_mov_b32 s6, -1
	s_mov_b32 s2, 0
	s_mov_b32 s3, 0
	;; [unrolled: 1-line block ×3, first 2 shown]
	s_cbranch_vccz .LBB6_1856
; %bb.1824:
	v_cmp_lt_i16_e32 vcc_lo, 28, v15
	s_cbranch_vccz .LBB6_1839
; %bb.1825:
	v_cmp_lt_i16_e32 vcc_lo, 43, v15
	;; [unrolled: 3-line block ×3, first 2 shown]
	s_cbranch_vccz .LBB6_1829
; %bb.1827:
	v_cmp_eq_u16_e32 vcc_lo, 46, v15
	s_mov_b32 s0, -1
	s_mov_b32 s6, 0
	s_cbranch_vccz .LBB6_1829
; %bb.1828:
	v_cvt_f32_f64_e32 v3, v[4:5]
	s_mov_b32 s0, 0
	s_mov_b32 s3, -1
	s_delay_alu instid0(VALU_DEP_1) | instskip(SKIP_1) | instid1(VALU_DEP_2)
	v_bfe_u32 v6, v3, 16, 1
	v_cmp_o_f32_e32 vcc_lo, v3, v3
	v_add3_u32 v6, v3, v6, 0x7fff
	s_delay_alu instid0(VALU_DEP_1) | instskip(NEXT) | instid1(VALU_DEP_1)
	v_lshrrev_b32_e32 v6, 16, v6
	v_cndmask_b32_e32 v3, 0x7fc0, v6, vcc_lo
	global_store_b32 v[0:1], v3, off
.LBB6_1829:
	s_and_b32 vcc_lo, exec_lo, s6
	s_cbranch_vccz .LBB6_1834
; %bb.1830:
	v_cmp_eq_u16_e32 vcc_lo, 44, v15
	s_mov_b32 s0, -1
	s_cbranch_vccz .LBB6_1834
; %bb.1831:
	v_cvt_f32_f64_e32 v3, v[4:5]
	v_mov_b32_e32 v6, 0xff
	s_mov_b32 s3, exec_lo
	s_delay_alu instid0(VALU_DEP_2) | instskip(NEXT) | instid1(VALU_DEP_1)
	v_bfe_u32 v7, v3, 23, 8
	v_cmpx_ne_u32_e32 0xff, v7
; %bb.1832:
	v_and_b32_e32 v6, 0x400000, v3
	v_and_or_b32 v7, 0x3fffff, v3, v7
	v_lshrrev_b32_e32 v3, 23, v3
	s_delay_alu instid0(VALU_DEP_3) | instskip(NEXT) | instid1(VALU_DEP_3)
	v_cmp_ne_u32_e32 vcc_lo, 0, v6
	v_cmp_ne_u32_e64 s0, 0, v7
	s_delay_alu instid0(VALU_DEP_1) | instskip(NEXT) | instid1(SALU_CYCLE_1)
	s_and_b32 s0, vcc_lo, s0
	v_cndmask_b32_e64 v6, 0, 1, s0
	s_delay_alu instid0(VALU_DEP_1)
	v_add_nc_u32_e32 v6, v3, v6
; %bb.1833:
	s_or_b32 exec_lo, exec_lo, s3
	s_mov_b32 s0, 0
	s_mov_b32 s3, -1
	global_store_b8 v[0:1], v6, off
.LBB6_1834:
	s_mov_b32 s6, 0
.LBB6_1835:
	s_delay_alu instid0(SALU_CYCLE_1)
	s_and_b32 vcc_lo, exec_lo, s6
	s_cbranch_vccz .LBB6_1838
; %bb.1836:
	v_cmp_eq_u16_e32 vcc_lo, 29, v15
	s_mov_b32 s0, -1
	s_cbranch_vccz .LBB6_1838
; %bb.1837:
	v_trunc_f64_e32 v[6:7], v[4:5]
	s_mov_b32 s0, 0
	s_mov_b32 s3, -1
	s_delay_alu instid0(VALU_DEP_1) | instskip(NEXT) | instid1(VALU_DEP_1)
	v_ldexp_f64 v[12:13], v[6:7], 0xffffffe0
	v_floor_f64_e32 v[12:13], v[12:13]
	s_delay_alu instid0(VALU_DEP_1) | instskip(SKIP_1) | instid1(VALU_DEP_2)
	v_fma_f64 v[6:7], 0xc1f00000, v[12:13], v[6:7]
	v_cvt_u32_f64_e32 v13, v[12:13]
	v_cvt_u32_f64_e32 v12, v[6:7]
	global_store_b64 v[0:1], v[12:13], off
.LBB6_1838:
	s_mov_b32 s6, 0
.LBB6_1839:
	s_delay_alu instid0(SALU_CYCLE_1)
	s_and_b32 vcc_lo, exec_lo, s6
	s_cbranch_vccz .LBB6_1855
; %bb.1840:
	v_cmp_gt_i16_e32 vcc_lo, 27, v15
	s_mov_b32 s3, -1
	s_cbranch_vccnz .LBB6_1846
; %bb.1841:
	v_cvt_u32_f64_e32 v3, v[4:5]
	v_cmp_lt_i16_e32 vcc_lo, 27, v15
	s_cbranch_vccz .LBB6_1843
; %bb.1842:
	s_mov_b32 s3, 0
	global_store_b32 v[0:1], v3, off
.LBB6_1843:
	s_and_not1_b32 vcc_lo, exec_lo, s3
	s_cbranch_vccnz .LBB6_1845
; %bb.1844:
	global_store_b16 v[0:1], v3, off
.LBB6_1845:
	s_mov_b32 s3, 0
.LBB6_1846:
	s_delay_alu instid0(SALU_CYCLE_1)
	s_and_not1_b32 vcc_lo, exec_lo, s3
	s_cbranch_vccnz .LBB6_1854
; %bb.1847:
	v_cvt_f32_f64_e32 v3, v[4:5]
	v_mov_b32_e32 v7, 0x80
	s_mov_b32 s3, exec_lo
	s_delay_alu instid0(VALU_DEP_2) | instskip(NEXT) | instid1(VALU_DEP_1)
	v_and_b32_e32 v6, 0x7fffffff, v3
	v_cmpx_gt_u32_e32 0x43800000, v6
	s_cbranch_execz .LBB6_1853
; %bb.1848:
	v_cmp_lt_u32_e32 vcc_lo, 0x3bffffff, v6
	s_mov_b32 s6, 0
                                        ; implicit-def: $vgpr6
	s_and_saveexec_b32 s7, vcc_lo
	s_delay_alu instid0(SALU_CYCLE_1)
	s_xor_b32 s7, exec_lo, s7
	s_cbranch_execz .LBB6_2148
; %bb.1849:
	v_bfe_u32 v6, v3, 20, 1
	s_mov_b32 s6, exec_lo
	s_delay_alu instid0(VALU_DEP_1) | instskip(NEXT) | instid1(VALU_DEP_1)
	v_add3_u32 v6, v3, v6, 0x487ffff
	v_lshrrev_b32_e32 v6, 20, v6
	s_or_saveexec_b32 s7, s7
                                        ; implicit-def: $sgpr8
	s_delay_alu instid0(SALU_CYCLE_1)
	s_xor_b32 exec_lo, exec_lo, s7
	s_cbranch_execnz .LBB6_2149
.LBB6_1850:
	s_or_b32 exec_lo, exec_lo, s7
	v_mov_b32_e32 v7, s8
	s_and_saveexec_b32 s7, s6
.LBB6_1851:
	v_lshrrev_b32_e32 v3, 24, v3
	s_delay_alu instid0(VALU_DEP_1)
	v_and_or_b32 v7, 0x80, v3, v6
.LBB6_1852:
	s_or_b32 exec_lo, exec_lo, s7
.LBB6_1853:
	s_delay_alu instid0(SALU_CYCLE_1)
	s_or_b32 exec_lo, exec_lo, s3
	global_store_b8 v[0:1], v7, off
.LBB6_1854:
	s_mov_b32 s3, -1
.LBB6_1855:
	s_mov_b32 s6, 0
.LBB6_1856:
	s_delay_alu instid0(SALU_CYCLE_1)
	s_and_b32 vcc_lo, exec_lo, s6
	s_cbranch_vccz .LBB6_1896
; %bb.1857:
	v_cmp_lt_i16_e32 vcc_lo, 22, v15
	s_mov_b32 s2, -1
	s_cbranch_vccz .LBB6_1889
; %bb.1858:
	v_cmp_gt_i16_e32 vcc_lo, 24, v15
	s_cbranch_vccnz .LBB6_1878
; %bb.1859:
	v_cmp_lt_i16_e32 vcc_lo, 24, v15
	s_cbranch_vccz .LBB6_1867
; %bb.1860:
	v_cvt_f32_f64_e32 v3, v[4:5]
	v_mov_b32_e32 v7, 0x80
	s_mov_b32 s2, exec_lo
	s_delay_alu instid0(VALU_DEP_2) | instskip(NEXT) | instid1(VALU_DEP_1)
	v_and_b32_e32 v6, 0x7fffffff, v3
	v_cmpx_gt_u32_e32 0x47800000, v6
	s_cbranch_execz .LBB6_1866
; %bb.1861:
	v_cmp_lt_u32_e32 vcc_lo, 0x37ffffff, v6
	s_mov_b32 s3, 0
                                        ; implicit-def: $vgpr6
	s_and_saveexec_b32 s6, vcc_lo
	s_delay_alu instid0(SALU_CYCLE_1)
	s_xor_b32 s6, exec_lo, s6
	s_cbranch_execz .LBB6_2154
; %bb.1862:
	v_bfe_u32 v6, v3, 21, 1
	s_mov_b32 s3, exec_lo
	s_delay_alu instid0(VALU_DEP_1) | instskip(NEXT) | instid1(VALU_DEP_1)
	v_add3_u32 v6, v3, v6, 0x88fffff
	v_lshrrev_b32_e32 v6, 21, v6
	s_or_saveexec_b32 s6, s6
                                        ; implicit-def: $sgpr7
	s_delay_alu instid0(SALU_CYCLE_1)
	s_xor_b32 exec_lo, exec_lo, s6
	s_cbranch_execnz .LBB6_2155
.LBB6_1863:
	s_or_b32 exec_lo, exec_lo, s6
	v_mov_b32_e32 v7, s7
	s_and_saveexec_b32 s6, s3
.LBB6_1864:
	v_lshrrev_b32_e32 v3, 24, v3
	s_delay_alu instid0(VALU_DEP_1)
	v_and_or_b32 v7, 0x80, v3, v6
.LBB6_1865:
	s_or_b32 exec_lo, exec_lo, s6
.LBB6_1866:
	s_delay_alu instid0(SALU_CYCLE_1)
	s_or_b32 exec_lo, exec_lo, s2
	s_mov_b32 s2, 0
	global_store_b8 v[0:1], v7, off
.LBB6_1867:
	s_and_b32 vcc_lo, exec_lo, s2
	s_cbranch_vccz .LBB6_1877
; %bb.1868:
	v_cvt_f32_f64_e32 v3, v[4:5]
	s_mov_b32 s2, exec_lo
                                        ; implicit-def: $vgpr6
	s_delay_alu instid0(VALU_DEP_1) | instskip(NEXT) | instid1(VALU_DEP_1)
	v_and_b32_e32 v7, 0x7fffffff, v3
	v_cmpx_gt_u32_e32 0x43f00000, v7
	s_xor_b32 s2, exec_lo, s2
	s_cbranch_execz .LBB6_1874
; %bb.1869:
	s_mov_b32 s3, exec_lo
                                        ; implicit-def: $vgpr6
	v_cmpx_lt_u32_e32 0x3c7fffff, v7
	s_xor_b32 s3, exec_lo, s3
; %bb.1870:
	v_bfe_u32 v6, v3, 20, 1
	s_delay_alu instid0(VALU_DEP_1) | instskip(NEXT) | instid1(VALU_DEP_1)
	v_add3_u32 v6, v3, v6, 0x407ffff
	v_and_b32_e32 v7, 0xff00000, v6
	v_lshrrev_b32_e32 v6, 20, v6
	s_delay_alu instid0(VALU_DEP_2) | instskip(NEXT) | instid1(VALU_DEP_2)
	v_cmp_ne_u32_e32 vcc_lo, 0x7f00000, v7
	v_cndmask_b32_e32 v6, 0x7e, v6, vcc_lo
; %bb.1871:
	s_and_not1_saveexec_b32 s3, s3
; %bb.1872:
	v_add_f32_e64 v6, 0x46800000, |v3|
; %bb.1873:
	s_or_b32 exec_lo, exec_lo, s3
                                        ; implicit-def: $vgpr7
.LBB6_1874:
	s_and_not1_saveexec_b32 s2, s2
; %bb.1875:
	v_mov_b32_e32 v6, 0x7f
	v_cmp_lt_u32_e32 vcc_lo, 0x7f800000, v7
	s_delay_alu instid0(VALU_DEP_2)
	v_cndmask_b32_e32 v6, 0x7e, v6, vcc_lo
; %bb.1876:
	s_or_b32 exec_lo, exec_lo, s2
	v_lshrrev_b32_e32 v3, 24, v3
	s_delay_alu instid0(VALU_DEP_1)
	v_and_or_b32 v3, 0x80, v3, v6
	global_store_b8 v[0:1], v3, off
.LBB6_1877:
	s_mov_b32 s2, 0
.LBB6_1878:
	s_delay_alu instid0(SALU_CYCLE_1)
	s_and_not1_b32 vcc_lo, exec_lo, s2
	s_cbranch_vccnz .LBB6_1888
; %bb.1879:
	v_cvt_f32_f64_e32 v3, v[4:5]
	s_mov_b32 s2, exec_lo
                                        ; implicit-def: $vgpr6
	s_delay_alu instid0(VALU_DEP_1) | instskip(NEXT) | instid1(VALU_DEP_1)
	v_and_b32_e32 v7, 0x7fffffff, v3
	v_cmpx_gt_u32_e32 0x47800000, v7
	s_xor_b32 s2, exec_lo, s2
	s_cbranch_execz .LBB6_1885
; %bb.1880:
	s_mov_b32 s3, exec_lo
                                        ; implicit-def: $vgpr6
	v_cmpx_lt_u32_e32 0x387fffff, v7
	s_xor_b32 s3, exec_lo, s3
; %bb.1881:
	v_bfe_u32 v6, v3, 21, 1
	s_delay_alu instid0(VALU_DEP_1) | instskip(NEXT) | instid1(VALU_DEP_1)
	v_add3_u32 v6, v3, v6, 0x80fffff
	v_lshrrev_b32_e32 v6, 21, v6
; %bb.1882:
	s_and_not1_saveexec_b32 s3, s3
; %bb.1883:
	v_add_f32_e64 v6, 0x43000000, |v3|
; %bb.1884:
	s_or_b32 exec_lo, exec_lo, s3
                                        ; implicit-def: $vgpr7
.LBB6_1885:
	s_and_not1_saveexec_b32 s2, s2
; %bb.1886:
	v_mov_b32_e32 v6, 0x7f
	v_cmp_lt_u32_e32 vcc_lo, 0x7f800000, v7
	s_delay_alu instid0(VALU_DEP_2)
	v_cndmask_b32_e32 v6, 0x7c, v6, vcc_lo
; %bb.1887:
	s_or_b32 exec_lo, exec_lo, s2
	v_lshrrev_b32_e32 v3, 24, v3
	s_delay_alu instid0(VALU_DEP_1)
	v_and_or_b32 v3, 0x80, v3, v6
	global_store_b8 v[0:1], v3, off
.LBB6_1888:
	s_mov_b32 s2, 0
	s_mov_b32 s3, -1
.LBB6_1889:
	s_and_not1_b32 vcc_lo, exec_lo, s2
	s_mov_b32 s2, 0
	s_cbranch_vccnz .LBB6_1896
; %bb.1890:
	v_cmp_lt_i16_e32 vcc_lo, 14, v15
	s_mov_b32 s2, -1
	s_cbranch_vccz .LBB6_1894
; %bb.1891:
	v_cmp_eq_u16_e32 vcc_lo, 15, v15
	s_mov_b32 s0, -1
	s_cbranch_vccz .LBB6_1893
; %bb.1892:
	v_cvt_f32_f64_e32 v3, v[4:5]
	s_mov_b32 s0, 0
	s_mov_b32 s3, -1
	s_delay_alu instid0(VALU_DEP_1) | instskip(SKIP_1) | instid1(VALU_DEP_2)
	v_bfe_u32 v6, v3, 16, 1
	v_cmp_o_f32_e32 vcc_lo, v3, v3
	v_add3_u32 v6, v3, v6, 0x7fff
	s_delay_alu instid0(VALU_DEP_1) | instskip(NEXT) | instid1(VALU_DEP_1)
	v_lshrrev_b32_e32 v6, 16, v6
	v_cndmask_b32_e32 v3, 0x7fc0, v6, vcc_lo
	global_store_b16 v[0:1], v3, off
.LBB6_1893:
	s_mov_b32 s2, 0
.LBB6_1894:
	s_delay_alu instid0(SALU_CYCLE_1)
	s_and_b32 vcc_lo, exec_lo, s2
	s_mov_b32 s2, 0
	s_cbranch_vccz .LBB6_1896
; %bb.1895:
	v_cmp_ne_u16_e64 s0, 11, v15
	s_mov_b32 s2, -1
.LBB6_1896:
	s_delay_alu instid0(VALU_DEP_1)
	s_and_b32 vcc_lo, exec_lo, s0
	s_cbranch_vccnz .LBB6_2152
; %bb.1897:
	s_and_not1_b32 vcc_lo, exec_lo, s2
	s_cbranch_vccnz .LBB6_1899
.LBB6_1898:
	v_cmp_neq_f64_e32 vcc_lo, 0, v[4:5]
	s_mov_b32 s3, -1
	v_cndmask_b32_e64 v3, 0, 1, vcc_lo
	global_store_b8 v[0:1], v3, off
.LBB6_1899:
	s_mov_b32 s0, 0
	s_branch .LBB6_1901
.LBB6_1900:
	s_mov_b32 s0, -1
	s_mov_b32 s3, 0
.LBB6_1901:
	s_and_b32 vcc_lo, exec_lo, s0
	s_cbranch_vccz .LBB6_1940
; %bb.1902:
	v_cmp_gt_i16_e32 vcc_lo, 5, v15
	s_mov_b32 s0, -1
	s_cbranch_vccnz .LBB6_1923
; %bb.1903:
	v_cmp_gt_i16_e32 vcc_lo, 8, v15
	s_cbranch_vccnz .LBB6_1913
; %bb.1904:
	v_cmp_gt_i16_e32 vcc_lo, 9, v15
	s_cbranch_vccnz .LBB6_1910
; %bb.1905:
	v_cmp_lt_i16_e32 vcc_lo, 9, v15
	s_cbranch_vccz .LBB6_1907
; %bb.1906:
	v_mov_b32_e32 v6, 0
	s_mov_b32 s0, 0
	s_delay_alu instid0(VALU_DEP_1)
	v_mov_b32_e32 v7, v6
	global_store_b128 v[0:1], v[4:7], off
.LBB6_1907:
	s_and_not1_b32 vcc_lo, exec_lo, s0
	s_cbranch_vccnz .LBB6_1909
; %bb.1908:
	v_cvt_f32_f64_e32 v6, v[4:5]
	v_mov_b32_e32 v7, 0
	global_store_b64 v[0:1], v[6:7], off
.LBB6_1909:
	s_mov_b32 s0, 0
.LBB6_1910:
	s_delay_alu instid0(SALU_CYCLE_1)
	s_and_not1_b32 vcc_lo, exec_lo, s0
	s_cbranch_vccnz .LBB6_1912
; %bb.1911:
	v_cvt_f32_f64_e32 v3, v[4:5]
	s_delay_alu instid0(VALU_DEP_1) | instskip(NEXT) | instid1(VALU_DEP_1)
	v_cvt_f16_f32_e32 v3, v3
	v_and_b32_e32 v3, 0xffff, v3
	global_store_b32 v[0:1], v3, off
.LBB6_1912:
	s_mov_b32 s0, 0
.LBB6_1913:
	s_delay_alu instid0(SALU_CYCLE_1)
	s_and_not1_b32 vcc_lo, exec_lo, s0
	s_cbranch_vccnz .LBB6_1922
; %bb.1914:
	v_cmp_gt_i16_e32 vcc_lo, 6, v15
	s_mov_b32 s0, -1
	s_cbranch_vccnz .LBB6_1920
; %bb.1915:
	v_cmp_lt_i16_e32 vcc_lo, 6, v15
	s_cbranch_vccz .LBB6_1917
; %bb.1916:
	s_mov_b32 s0, 0
	global_store_b64 v[0:1], v[4:5], off
.LBB6_1917:
	s_and_not1_b32 vcc_lo, exec_lo, s0
	s_cbranch_vccnz .LBB6_1919
; %bb.1918:
	v_cvt_f32_f64_e32 v3, v[4:5]
	global_store_b32 v[0:1], v3, off
.LBB6_1919:
	s_mov_b32 s0, 0
.LBB6_1920:
	s_delay_alu instid0(SALU_CYCLE_1)
	s_and_not1_b32 vcc_lo, exec_lo, s0
	s_cbranch_vccnz .LBB6_1922
; %bb.1921:
	v_cvt_f32_f64_e32 v3, v[4:5]
	s_delay_alu instid0(VALU_DEP_1)
	v_cvt_f16_f32_e32 v3, v3
	global_store_b16 v[0:1], v3, off
.LBB6_1922:
	s_mov_b32 s0, 0
.LBB6_1923:
	s_delay_alu instid0(SALU_CYCLE_1)
	s_and_not1_b32 vcc_lo, exec_lo, s0
	s_cbranch_vccnz .LBB6_1939
; %bb.1924:
	v_cmp_gt_i16_e32 vcc_lo, 2, v15
	s_mov_b32 s0, -1
	s_cbranch_vccnz .LBB6_1934
; %bb.1925:
	v_cmp_gt_i16_e32 vcc_lo, 3, v15
	s_cbranch_vccnz .LBB6_1931
; %bb.1926:
	v_cmp_lt_i16_e32 vcc_lo, 3, v15
	s_cbranch_vccz .LBB6_1928
; %bb.1927:
	v_trunc_f64_e32 v[6:7], v[4:5]
	s_mov_b32 s0, 0
	s_delay_alu instid0(VALU_DEP_1) | instskip(NEXT) | instid1(VALU_DEP_1)
	v_ldexp_f64 v[12:13], v[6:7], 0xffffffe0
	v_floor_f64_e32 v[12:13], v[12:13]
	s_delay_alu instid0(VALU_DEP_1) | instskip(SKIP_1) | instid1(VALU_DEP_2)
	v_fma_f64 v[6:7], 0xc1f00000, v[12:13], v[6:7]
	v_cvt_i32_f64_e32 v13, v[12:13]
	v_cvt_u32_f64_e32 v12, v[6:7]
	global_store_b64 v[0:1], v[12:13], off
.LBB6_1928:
	s_and_not1_b32 vcc_lo, exec_lo, s0
	s_cbranch_vccnz .LBB6_1930
; %bb.1929:
	v_cvt_i32_f64_e32 v3, v[4:5]
	global_store_b32 v[0:1], v3, off
.LBB6_1930:
	s_mov_b32 s0, 0
.LBB6_1931:
	s_delay_alu instid0(SALU_CYCLE_1)
	s_and_not1_b32 vcc_lo, exec_lo, s0
	s_cbranch_vccnz .LBB6_1933
; %bb.1932:
	v_cvt_i32_f64_e32 v3, v[4:5]
	global_store_b16 v[0:1], v3, off
.LBB6_1933:
	s_mov_b32 s0, 0
.LBB6_1934:
	s_delay_alu instid0(SALU_CYCLE_1)
	s_and_not1_b32 vcc_lo, exec_lo, s0
	s_cbranch_vccnz .LBB6_1939
; %bb.1935:
	v_cmp_lt_i16_e32 vcc_lo, 0, v15
	s_mov_b32 s0, -1
	s_cbranch_vccz .LBB6_1937
; %bb.1936:
	v_cvt_i32_f64_e32 v3, v[4:5]
	s_mov_b32 s0, 0
	global_store_b8 v[0:1], v3, off
.LBB6_1937:
	s_and_not1_b32 vcc_lo, exec_lo, s0
	s_cbranch_vccnz .LBB6_1939
; %bb.1938:
	v_trunc_f64_e32 v[3:4], v[4:5]
	s_delay_alu instid0(VALU_DEP_1) | instskip(NEXT) | instid1(VALU_DEP_1)
	v_ldexp_f64 v[5:6], v[3:4], 0xffffffe0
	v_floor_f64_e32 v[5:6], v[5:6]
	s_delay_alu instid0(VALU_DEP_1) | instskip(NEXT) | instid1(VALU_DEP_1)
	v_fma_f64 v[3:4], 0xc1f00000, v[5:6], v[3:4]
	v_cvt_u32_f64_e32 v3, v[3:4]
	global_store_b8 v[0:1], v3, off
.LBB6_1939:
	s_mov_b32 s3, -1
.LBB6_1940:
	s_delay_alu instid0(SALU_CYCLE_1)
	s_and_not1_b32 vcc_lo, exec_lo, s3
	s_cbranch_vccnz .LBB6_2136
; %bb.1941:
	v_add_nc_u32_e32 v2, s1, v2
	v_cmp_gt_i16_e32 vcc_lo, 11, v15
	s_delay_alu instid0(VALU_DEP_2) | instskip(SKIP_1) | instid1(VALU_DEP_1)
	v_ashrrev_i32_e32 v1, 31, v2
	v_add_co_u32 v0, s0, s4, v2
	v_add_co_ci_u32_e64 v1, s0, s5, v1, s0
	s_cbranch_vccnz .LBB6_2019
; %bb.1942:
	v_cmp_lt_i16_e32 vcc_lo, 25, v15
	s_mov_b32 s6, -1
	s_mov_b32 s2, 0
	s_mov_b32 s3, 0
	;; [unrolled: 1-line block ×3, first 2 shown]
	s_cbranch_vccz .LBB6_1975
; %bb.1943:
	v_cmp_lt_i16_e32 vcc_lo, 28, v15
	s_cbranch_vccz .LBB6_1958
; %bb.1944:
	v_cmp_lt_i16_e32 vcc_lo, 43, v15
	;; [unrolled: 3-line block ×3, first 2 shown]
	s_cbranch_vccz .LBB6_1948
; %bb.1946:
	v_cmp_eq_u16_e32 vcc_lo, 46, v15
	s_mov_b32 s0, -1
	s_mov_b32 s6, 0
	s_cbranch_vccz .LBB6_1948
; %bb.1947:
	v_cvt_f32_f64_e32 v3, v[10:11]
	s_mov_b32 s0, 0
	s_mov_b32 s3, -1
	s_delay_alu instid0(VALU_DEP_1) | instskip(SKIP_1) | instid1(VALU_DEP_2)
	v_bfe_u32 v4, v3, 16, 1
	v_cmp_o_f32_e32 vcc_lo, v3, v3
	v_add3_u32 v4, v3, v4, 0x7fff
	s_delay_alu instid0(VALU_DEP_1) | instskip(NEXT) | instid1(VALU_DEP_1)
	v_lshrrev_b32_e32 v4, 16, v4
	v_cndmask_b32_e32 v3, 0x7fc0, v4, vcc_lo
	global_store_b32 v[0:1], v3, off
.LBB6_1948:
	s_and_b32 vcc_lo, exec_lo, s6
	s_cbranch_vccz .LBB6_1953
; %bb.1949:
	v_cmp_eq_u16_e32 vcc_lo, 44, v15
	s_mov_b32 s0, -1
	s_cbranch_vccz .LBB6_1953
; %bb.1950:
	v_cvt_f32_f64_e32 v3, v[10:11]
	v_mov_b32_e32 v4, 0xff
	s_mov_b32 s3, exec_lo
	s_delay_alu instid0(VALU_DEP_2) | instskip(NEXT) | instid1(VALU_DEP_1)
	v_bfe_u32 v5, v3, 23, 8
	v_cmpx_ne_u32_e32 0xff, v5
; %bb.1951:
	v_and_b32_e32 v4, 0x400000, v3
	v_and_or_b32 v5, 0x3fffff, v3, v5
	v_lshrrev_b32_e32 v3, 23, v3
	s_delay_alu instid0(VALU_DEP_3) | instskip(NEXT) | instid1(VALU_DEP_3)
	v_cmp_ne_u32_e32 vcc_lo, 0, v4
	v_cmp_ne_u32_e64 s0, 0, v5
	s_delay_alu instid0(VALU_DEP_1) | instskip(NEXT) | instid1(SALU_CYCLE_1)
	s_and_b32 s0, vcc_lo, s0
	v_cndmask_b32_e64 v4, 0, 1, s0
	s_delay_alu instid0(VALU_DEP_1)
	v_add_nc_u32_e32 v4, v3, v4
; %bb.1952:
	s_or_b32 exec_lo, exec_lo, s3
	s_mov_b32 s0, 0
	s_mov_b32 s3, -1
	global_store_b8 v[0:1], v4, off
.LBB6_1953:
	s_mov_b32 s6, 0
.LBB6_1954:
	s_delay_alu instid0(SALU_CYCLE_1)
	s_and_b32 vcc_lo, exec_lo, s6
	s_cbranch_vccz .LBB6_1957
; %bb.1955:
	v_cmp_eq_u16_e32 vcc_lo, 29, v15
	s_mov_b32 s0, -1
	s_cbranch_vccz .LBB6_1957
; %bb.1956:
	v_trunc_f64_e32 v[3:4], v[10:11]
	s_mov_b32 s0, 0
	s_mov_b32 s3, -1
	s_delay_alu instid0(VALU_DEP_1) | instskip(NEXT) | instid1(VALU_DEP_1)
	v_ldexp_f64 v[5:6], v[3:4], 0xffffffe0
	v_floor_f64_e32 v[5:6], v[5:6]
	s_delay_alu instid0(VALU_DEP_1) | instskip(SKIP_1) | instid1(VALU_DEP_2)
	v_fma_f64 v[3:4], 0xc1f00000, v[5:6], v[3:4]
	v_cvt_u32_f64_e32 v5, v[5:6]
	v_cvt_u32_f64_e32 v4, v[3:4]
	global_store_b64 v[0:1], v[4:5], off
.LBB6_1957:
	s_mov_b32 s6, 0
.LBB6_1958:
	s_delay_alu instid0(SALU_CYCLE_1)
	s_and_b32 vcc_lo, exec_lo, s6
	s_cbranch_vccz .LBB6_1974
; %bb.1959:
	v_cmp_gt_i16_e32 vcc_lo, 27, v15
	s_mov_b32 s3, -1
	s_cbranch_vccnz .LBB6_1965
; %bb.1960:
	v_cvt_u32_f64_e32 v3, v[10:11]
	v_cmp_lt_i16_e32 vcc_lo, 27, v15
	s_cbranch_vccz .LBB6_1962
; %bb.1961:
	s_mov_b32 s3, 0
	global_store_b32 v[0:1], v3, off
.LBB6_1962:
	s_and_not1_b32 vcc_lo, exec_lo, s3
	s_cbranch_vccnz .LBB6_1964
; %bb.1963:
	global_store_b16 v[0:1], v3, off
.LBB6_1964:
	s_mov_b32 s3, 0
.LBB6_1965:
	s_delay_alu instid0(SALU_CYCLE_1)
	s_and_not1_b32 vcc_lo, exec_lo, s3
	s_cbranch_vccnz .LBB6_1973
; %bb.1966:
	v_cvt_f32_f64_e32 v3, v[10:11]
	v_mov_b32_e32 v5, 0x80
	s_mov_b32 s3, exec_lo
	s_delay_alu instid0(VALU_DEP_2) | instskip(NEXT) | instid1(VALU_DEP_1)
	v_and_b32_e32 v4, 0x7fffffff, v3
	v_cmpx_gt_u32_e32 0x43800000, v4
	s_cbranch_execz .LBB6_1972
; %bb.1967:
	v_cmp_lt_u32_e32 vcc_lo, 0x3bffffff, v4
	s_mov_b32 s6, 0
                                        ; implicit-def: $vgpr4
	s_and_saveexec_b32 s7, vcc_lo
	s_delay_alu instid0(SALU_CYCLE_1)
	s_xor_b32 s7, exec_lo, s7
	s_cbranch_execz .LBB6_2156
; %bb.1968:
	v_bfe_u32 v4, v3, 20, 1
	s_mov_b32 s6, exec_lo
	s_delay_alu instid0(VALU_DEP_1) | instskip(NEXT) | instid1(VALU_DEP_1)
	v_add3_u32 v4, v3, v4, 0x487ffff
	v_lshrrev_b32_e32 v4, 20, v4
	s_or_saveexec_b32 s7, s7
                                        ; implicit-def: $sgpr8
	s_delay_alu instid0(SALU_CYCLE_1)
	s_xor_b32 exec_lo, exec_lo, s7
	s_cbranch_execnz .LBB6_2157
.LBB6_1969:
	s_or_b32 exec_lo, exec_lo, s7
	v_mov_b32_e32 v5, s8
	s_and_saveexec_b32 s7, s6
.LBB6_1970:
	v_lshrrev_b32_e32 v3, 24, v3
	s_delay_alu instid0(VALU_DEP_1)
	v_and_or_b32 v5, 0x80, v3, v4
.LBB6_1971:
	s_or_b32 exec_lo, exec_lo, s7
.LBB6_1972:
	s_delay_alu instid0(SALU_CYCLE_1)
	s_or_b32 exec_lo, exec_lo, s3
	global_store_b8 v[0:1], v5, off
.LBB6_1973:
	s_mov_b32 s3, -1
.LBB6_1974:
	s_mov_b32 s6, 0
.LBB6_1975:
	s_delay_alu instid0(SALU_CYCLE_1)
	s_and_b32 vcc_lo, exec_lo, s6
	s_cbranch_vccz .LBB6_2015
; %bb.1976:
	v_cmp_lt_i16_e32 vcc_lo, 22, v15
	s_mov_b32 s2, -1
	s_cbranch_vccz .LBB6_2008
; %bb.1977:
	v_cmp_gt_i16_e32 vcc_lo, 24, v15
	s_cbranch_vccnz .LBB6_1997
; %bb.1978:
	v_cmp_lt_i16_e32 vcc_lo, 24, v15
	s_cbranch_vccz .LBB6_1986
; %bb.1979:
	v_cvt_f32_f64_e32 v3, v[10:11]
	v_mov_b32_e32 v5, 0x80
	s_mov_b32 s2, exec_lo
	s_delay_alu instid0(VALU_DEP_2) | instskip(NEXT) | instid1(VALU_DEP_1)
	v_and_b32_e32 v4, 0x7fffffff, v3
	v_cmpx_gt_u32_e32 0x47800000, v4
	s_cbranch_execz .LBB6_1985
; %bb.1980:
	v_cmp_lt_u32_e32 vcc_lo, 0x37ffffff, v4
	s_mov_b32 s3, 0
                                        ; implicit-def: $vgpr4
	s_and_saveexec_b32 s6, vcc_lo
	s_delay_alu instid0(SALU_CYCLE_1)
	s_xor_b32 s6, exec_lo, s6
	s_cbranch_execz .LBB6_2162
; %bb.1981:
	v_bfe_u32 v4, v3, 21, 1
	s_mov_b32 s3, exec_lo
	s_delay_alu instid0(VALU_DEP_1) | instskip(NEXT) | instid1(VALU_DEP_1)
	v_add3_u32 v4, v3, v4, 0x88fffff
	v_lshrrev_b32_e32 v4, 21, v4
	s_or_saveexec_b32 s6, s6
                                        ; implicit-def: $sgpr7
	s_delay_alu instid0(SALU_CYCLE_1)
	s_xor_b32 exec_lo, exec_lo, s6
	s_cbranch_execnz .LBB6_2163
.LBB6_1982:
	s_or_b32 exec_lo, exec_lo, s6
	v_mov_b32_e32 v5, s7
	s_and_saveexec_b32 s6, s3
.LBB6_1983:
	v_lshrrev_b32_e32 v3, 24, v3
	s_delay_alu instid0(VALU_DEP_1)
	v_and_or_b32 v5, 0x80, v3, v4
.LBB6_1984:
	s_or_b32 exec_lo, exec_lo, s6
.LBB6_1985:
	s_delay_alu instid0(SALU_CYCLE_1)
	s_or_b32 exec_lo, exec_lo, s2
	s_mov_b32 s2, 0
	global_store_b8 v[0:1], v5, off
.LBB6_1986:
	s_and_b32 vcc_lo, exec_lo, s2
	s_cbranch_vccz .LBB6_1996
; %bb.1987:
	v_cvt_f32_f64_e32 v3, v[10:11]
	s_mov_b32 s2, exec_lo
                                        ; implicit-def: $vgpr4
	s_delay_alu instid0(VALU_DEP_1) | instskip(NEXT) | instid1(VALU_DEP_1)
	v_and_b32_e32 v5, 0x7fffffff, v3
	v_cmpx_gt_u32_e32 0x43f00000, v5
	s_xor_b32 s2, exec_lo, s2
	s_cbranch_execz .LBB6_1993
; %bb.1988:
	s_mov_b32 s3, exec_lo
                                        ; implicit-def: $vgpr4
	v_cmpx_lt_u32_e32 0x3c7fffff, v5
	s_xor_b32 s3, exec_lo, s3
; %bb.1989:
	v_bfe_u32 v4, v3, 20, 1
	s_delay_alu instid0(VALU_DEP_1) | instskip(NEXT) | instid1(VALU_DEP_1)
	v_add3_u32 v4, v3, v4, 0x407ffff
	v_and_b32_e32 v5, 0xff00000, v4
	v_lshrrev_b32_e32 v4, 20, v4
	s_delay_alu instid0(VALU_DEP_2) | instskip(NEXT) | instid1(VALU_DEP_2)
	v_cmp_ne_u32_e32 vcc_lo, 0x7f00000, v5
	v_cndmask_b32_e32 v4, 0x7e, v4, vcc_lo
; %bb.1990:
	s_and_not1_saveexec_b32 s3, s3
; %bb.1991:
	v_add_f32_e64 v4, 0x46800000, |v3|
; %bb.1992:
	s_or_b32 exec_lo, exec_lo, s3
                                        ; implicit-def: $vgpr5
.LBB6_1993:
	s_and_not1_saveexec_b32 s2, s2
; %bb.1994:
	v_mov_b32_e32 v4, 0x7f
	v_cmp_lt_u32_e32 vcc_lo, 0x7f800000, v5
	s_delay_alu instid0(VALU_DEP_2)
	v_cndmask_b32_e32 v4, 0x7e, v4, vcc_lo
; %bb.1995:
	s_or_b32 exec_lo, exec_lo, s2
	v_lshrrev_b32_e32 v3, 24, v3
	s_delay_alu instid0(VALU_DEP_1)
	v_and_or_b32 v3, 0x80, v3, v4
	global_store_b8 v[0:1], v3, off
.LBB6_1996:
	s_mov_b32 s2, 0
.LBB6_1997:
	s_delay_alu instid0(SALU_CYCLE_1)
	s_and_not1_b32 vcc_lo, exec_lo, s2
	s_cbranch_vccnz .LBB6_2007
; %bb.1998:
	v_cvt_f32_f64_e32 v3, v[10:11]
	s_mov_b32 s2, exec_lo
                                        ; implicit-def: $vgpr4
	s_delay_alu instid0(VALU_DEP_1) | instskip(NEXT) | instid1(VALU_DEP_1)
	v_and_b32_e32 v5, 0x7fffffff, v3
	v_cmpx_gt_u32_e32 0x47800000, v5
	s_xor_b32 s2, exec_lo, s2
	s_cbranch_execz .LBB6_2004
; %bb.1999:
	s_mov_b32 s3, exec_lo
                                        ; implicit-def: $vgpr4
	v_cmpx_lt_u32_e32 0x387fffff, v5
	s_xor_b32 s3, exec_lo, s3
; %bb.2000:
	v_bfe_u32 v4, v3, 21, 1
	s_delay_alu instid0(VALU_DEP_1) | instskip(NEXT) | instid1(VALU_DEP_1)
	v_add3_u32 v4, v3, v4, 0x80fffff
	v_lshrrev_b32_e32 v4, 21, v4
; %bb.2001:
	s_and_not1_saveexec_b32 s3, s3
; %bb.2002:
	v_add_f32_e64 v4, 0x43000000, |v3|
; %bb.2003:
	s_or_b32 exec_lo, exec_lo, s3
                                        ; implicit-def: $vgpr5
.LBB6_2004:
	s_and_not1_saveexec_b32 s2, s2
; %bb.2005:
	v_mov_b32_e32 v4, 0x7f
	v_cmp_lt_u32_e32 vcc_lo, 0x7f800000, v5
	s_delay_alu instid0(VALU_DEP_2)
	v_cndmask_b32_e32 v4, 0x7c, v4, vcc_lo
; %bb.2006:
	s_or_b32 exec_lo, exec_lo, s2
	v_lshrrev_b32_e32 v3, 24, v3
	s_delay_alu instid0(VALU_DEP_1)
	v_and_or_b32 v3, 0x80, v3, v4
	global_store_b8 v[0:1], v3, off
.LBB6_2007:
	s_mov_b32 s2, 0
	s_mov_b32 s3, -1
.LBB6_2008:
	s_and_not1_b32 vcc_lo, exec_lo, s2
	s_mov_b32 s2, 0
	s_cbranch_vccnz .LBB6_2015
; %bb.2009:
	v_cmp_lt_i16_e32 vcc_lo, 14, v15
	s_mov_b32 s2, -1
	s_cbranch_vccz .LBB6_2013
; %bb.2010:
	v_cmp_eq_u16_e32 vcc_lo, 15, v15
	s_mov_b32 s0, -1
	s_cbranch_vccz .LBB6_2012
; %bb.2011:
	v_cvt_f32_f64_e32 v3, v[10:11]
	s_mov_b32 s0, 0
	s_mov_b32 s3, -1
	s_delay_alu instid0(VALU_DEP_1) | instskip(SKIP_1) | instid1(VALU_DEP_2)
	v_bfe_u32 v4, v3, 16, 1
	v_cmp_o_f32_e32 vcc_lo, v3, v3
	v_add3_u32 v4, v3, v4, 0x7fff
	s_delay_alu instid0(VALU_DEP_1) | instskip(NEXT) | instid1(VALU_DEP_1)
	v_lshrrev_b32_e32 v4, 16, v4
	v_cndmask_b32_e32 v3, 0x7fc0, v4, vcc_lo
	global_store_b16 v[0:1], v3, off
.LBB6_2012:
	s_mov_b32 s2, 0
.LBB6_2013:
	s_delay_alu instid0(SALU_CYCLE_1)
	s_and_b32 vcc_lo, exec_lo, s2
	s_mov_b32 s2, 0
	s_cbranch_vccz .LBB6_2015
; %bb.2014:
	v_cmp_ne_u16_e64 s0, 11, v15
	s_mov_b32 s2, -1
.LBB6_2015:
	s_delay_alu instid0(VALU_DEP_1)
	s_and_b32 vcc_lo, exec_lo, s0
	s_cbranch_vccnz .LBB6_2160
; %bb.2016:
	s_and_not1_b32 vcc_lo, exec_lo, s2
	s_cbranch_vccnz .LBB6_2018
.LBB6_2017:
	v_cmp_neq_f64_e32 vcc_lo, 0, v[10:11]
	s_mov_b32 s3, -1
	v_cndmask_b32_e64 v3, 0, 1, vcc_lo
	global_store_b8 v[0:1], v3, off
.LBB6_2018:
	s_mov_b32 s0, 0
	s_branch .LBB6_2020
.LBB6_2019:
	s_mov_b32 s0, -1
	s_mov_b32 s3, 0
.LBB6_2020:
	s_and_b32 vcc_lo, exec_lo, s0
	s_cbranch_vccz .LBB6_2059
; %bb.2021:
	v_cmp_gt_i16_e32 vcc_lo, 5, v15
	s_mov_b32 s0, -1
	s_cbranch_vccnz .LBB6_2042
; %bb.2022:
	v_cmp_gt_i16_e32 vcc_lo, 8, v15
	s_cbranch_vccnz .LBB6_2032
; %bb.2023:
	v_cmp_gt_i16_e32 vcc_lo, 9, v15
	s_cbranch_vccnz .LBB6_2029
; %bb.2024:
	v_cmp_lt_i16_e32 vcc_lo, 9, v15
	s_cbranch_vccz .LBB6_2026
; %bb.2025:
	v_mov_b32_e32 v12, 0
	s_mov_b32 s0, 0
	s_delay_alu instid0(VALU_DEP_1)
	v_mov_b32_e32 v13, v12
	global_store_b128 v[0:1], v[10:13], off
.LBB6_2026:
	s_and_not1_b32 vcc_lo, exec_lo, s0
	s_cbranch_vccnz .LBB6_2028
; %bb.2027:
	v_cvt_f32_f64_e32 v3, v[10:11]
	v_mov_b32_e32 v4, 0
	global_store_b64 v[0:1], v[3:4], off
.LBB6_2028:
	s_mov_b32 s0, 0
.LBB6_2029:
	s_delay_alu instid0(SALU_CYCLE_1)
	s_and_not1_b32 vcc_lo, exec_lo, s0
	s_cbranch_vccnz .LBB6_2031
; %bb.2030:
	v_cvt_f32_f64_e32 v3, v[10:11]
	s_delay_alu instid0(VALU_DEP_1) | instskip(NEXT) | instid1(VALU_DEP_1)
	v_cvt_f16_f32_e32 v3, v3
	v_and_b32_e32 v3, 0xffff, v3
	global_store_b32 v[0:1], v3, off
.LBB6_2031:
	s_mov_b32 s0, 0
.LBB6_2032:
	s_delay_alu instid0(SALU_CYCLE_1)
	s_and_not1_b32 vcc_lo, exec_lo, s0
	s_cbranch_vccnz .LBB6_2041
; %bb.2033:
	v_cmp_gt_i16_e32 vcc_lo, 6, v15
	s_mov_b32 s0, -1
	s_cbranch_vccnz .LBB6_2039
; %bb.2034:
	v_cmp_lt_i16_e32 vcc_lo, 6, v15
	s_cbranch_vccz .LBB6_2036
; %bb.2035:
	s_mov_b32 s0, 0
	global_store_b64 v[0:1], v[10:11], off
.LBB6_2036:
	s_and_not1_b32 vcc_lo, exec_lo, s0
	s_cbranch_vccnz .LBB6_2038
; %bb.2037:
	v_cvt_f32_f64_e32 v3, v[10:11]
	global_store_b32 v[0:1], v3, off
.LBB6_2038:
	s_mov_b32 s0, 0
.LBB6_2039:
	s_delay_alu instid0(SALU_CYCLE_1)
	s_and_not1_b32 vcc_lo, exec_lo, s0
	s_cbranch_vccnz .LBB6_2041
; %bb.2040:
	v_cvt_f32_f64_e32 v3, v[10:11]
	s_delay_alu instid0(VALU_DEP_1)
	v_cvt_f16_f32_e32 v3, v3
	global_store_b16 v[0:1], v3, off
.LBB6_2041:
	s_mov_b32 s0, 0
.LBB6_2042:
	s_delay_alu instid0(SALU_CYCLE_1)
	s_and_not1_b32 vcc_lo, exec_lo, s0
	s_cbranch_vccnz .LBB6_2058
; %bb.2043:
	v_cmp_gt_i16_e32 vcc_lo, 2, v15
	s_mov_b32 s0, -1
	s_cbranch_vccnz .LBB6_2053
; %bb.2044:
	v_cmp_gt_i16_e32 vcc_lo, 3, v15
	s_cbranch_vccnz .LBB6_2050
; %bb.2045:
	v_cmp_lt_i16_e32 vcc_lo, 3, v15
	s_cbranch_vccz .LBB6_2047
; %bb.2046:
	v_trunc_f64_e32 v[3:4], v[10:11]
	s_mov_b32 s0, 0
	s_delay_alu instid0(VALU_DEP_1) | instskip(NEXT) | instid1(VALU_DEP_1)
	v_ldexp_f64 v[5:6], v[3:4], 0xffffffe0
	v_floor_f64_e32 v[5:6], v[5:6]
	s_delay_alu instid0(VALU_DEP_1) | instskip(SKIP_1) | instid1(VALU_DEP_2)
	v_fma_f64 v[3:4], 0xc1f00000, v[5:6], v[3:4]
	v_cvt_i32_f64_e32 v5, v[5:6]
	v_cvt_u32_f64_e32 v4, v[3:4]
	global_store_b64 v[0:1], v[4:5], off
.LBB6_2047:
	s_and_not1_b32 vcc_lo, exec_lo, s0
	s_cbranch_vccnz .LBB6_2049
; %bb.2048:
	v_cvt_i32_f64_e32 v3, v[10:11]
	global_store_b32 v[0:1], v3, off
.LBB6_2049:
	s_mov_b32 s0, 0
.LBB6_2050:
	s_delay_alu instid0(SALU_CYCLE_1)
	s_and_not1_b32 vcc_lo, exec_lo, s0
	s_cbranch_vccnz .LBB6_2052
; %bb.2051:
	v_cvt_i32_f64_e32 v3, v[10:11]
	global_store_b16 v[0:1], v3, off
.LBB6_2052:
	s_mov_b32 s0, 0
.LBB6_2053:
	s_delay_alu instid0(SALU_CYCLE_1)
	s_and_not1_b32 vcc_lo, exec_lo, s0
	s_cbranch_vccnz .LBB6_2058
; %bb.2054:
	v_cmp_lt_i16_e32 vcc_lo, 0, v15
	s_mov_b32 s0, -1
	s_cbranch_vccz .LBB6_2056
; %bb.2055:
	v_cvt_i32_f64_e32 v3, v[10:11]
	s_mov_b32 s0, 0
	global_store_b8 v[0:1], v3, off
.LBB6_2056:
	s_and_not1_b32 vcc_lo, exec_lo, s0
	s_cbranch_vccnz .LBB6_2058
; %bb.2057:
	v_trunc_f64_e32 v[3:4], v[10:11]
	s_delay_alu instid0(VALU_DEP_1) | instskip(NEXT) | instid1(VALU_DEP_1)
	v_ldexp_f64 v[5:6], v[3:4], 0xffffffe0
	v_floor_f64_e32 v[5:6], v[5:6]
	s_delay_alu instid0(VALU_DEP_1) | instskip(NEXT) | instid1(VALU_DEP_1)
	v_fma_f64 v[3:4], 0xc1f00000, v[5:6], v[3:4]
	v_cvt_u32_f64_e32 v3, v[3:4]
	global_store_b8 v[0:1], v3, off
.LBB6_2058:
	s_mov_b32 s3, -1
.LBB6_2059:
	s_delay_alu instid0(SALU_CYCLE_1)
	s_and_not1_b32 vcc_lo, exec_lo, s3
	s_cbranch_vccnz .LBB6_2136
; %bb.2060:
	v_add_nc_u32_e32 v0, s1, v2
	v_cmp_gt_i16_e32 vcc_lo, 11, v15
	s_delay_alu instid0(VALU_DEP_2) | instskip(SKIP_1) | instid1(VALU_DEP_1)
	v_ashrrev_i32_e32 v1, 31, v0
	v_add_co_u32 v0, s0, s4, v0
	v_add_co_ci_u32_e64 v1, s0, s5, v1, s0
	s_cbranch_vccnz .LBB6_2137
; %bb.2061:
	v_cmp_lt_i16_e32 vcc_lo, 25, v15
	s_mov_b32 s2, -1
	s_mov_b32 s1, 0
	s_mov_b32 s0, 0
	s_cbranch_vccz .LBB6_2094
; %bb.2062:
	v_cmp_lt_i16_e32 vcc_lo, 28, v15
	s_cbranch_vccz .LBB6_2078
; %bb.2063:
	v_cmp_lt_i16_e32 vcc_lo, 43, v15
	;; [unrolled: 3-line block ×3, first 2 shown]
	s_cbranch_vccz .LBB6_2068
; %bb.2065:
	v_cmp_eq_u16_e32 vcc_lo, 46, v15
	s_mov_b32 s0, -1
	s_cbranch_vccz .LBB6_2067
; %bb.2066:
	v_cvt_f32_f64_e32 v2, v[8:9]
	s_mov_b32 s0, 0
	s_delay_alu instid0(VALU_DEP_1) | instskip(SKIP_1) | instid1(VALU_DEP_2)
	v_bfe_u32 v3, v2, 16, 1
	v_cmp_o_f32_e32 vcc_lo, v2, v2
	v_add3_u32 v3, v2, v3, 0x7fff
	s_delay_alu instid0(VALU_DEP_1) | instskip(NEXT) | instid1(VALU_DEP_1)
	v_lshrrev_b32_e32 v3, 16, v3
	v_cndmask_b32_e32 v2, 0x7fc0, v3, vcc_lo
	global_store_b32 v[0:1], v2, off
.LBB6_2067:
	s_mov_b32 s2, 0
.LBB6_2068:
	s_delay_alu instid0(SALU_CYCLE_1)
	s_and_b32 vcc_lo, exec_lo, s2
	s_cbranch_vccz .LBB6_2073
; %bb.2069:
	v_cmp_eq_u16_e32 vcc_lo, 44, v15
	s_mov_b32 s0, -1
	s_cbranch_vccz .LBB6_2073
; %bb.2070:
	v_cvt_f32_f64_e32 v2, v[8:9]
	v_mov_b32_e32 v3, 0xff
	s_mov_b32 s2, exec_lo
	s_delay_alu instid0(VALU_DEP_2) | instskip(NEXT) | instid1(VALU_DEP_1)
	v_bfe_u32 v4, v2, 23, 8
	v_cmpx_ne_u32_e32 0xff, v4
; %bb.2071:
	v_and_b32_e32 v3, 0x400000, v2
	v_and_or_b32 v4, 0x3fffff, v2, v4
	v_lshrrev_b32_e32 v2, 23, v2
	s_delay_alu instid0(VALU_DEP_3) | instskip(NEXT) | instid1(VALU_DEP_3)
	v_cmp_ne_u32_e32 vcc_lo, 0, v3
	v_cmp_ne_u32_e64 s0, 0, v4
	s_delay_alu instid0(VALU_DEP_1) | instskip(NEXT) | instid1(SALU_CYCLE_1)
	s_and_b32 s0, vcc_lo, s0
	v_cndmask_b32_e64 v3, 0, 1, s0
	s_delay_alu instid0(VALU_DEP_1)
	v_add_nc_u32_e32 v3, v2, v3
; %bb.2072:
	s_or_b32 exec_lo, exec_lo, s2
	s_mov_b32 s0, 0
	global_store_b8 v[0:1], v3, off
.LBB6_2073:
	s_mov_b32 s2, 0
.LBB6_2074:
	s_delay_alu instid0(SALU_CYCLE_1)
	s_and_b32 vcc_lo, exec_lo, s2
	s_cbranch_vccz .LBB6_2077
; %bb.2075:
	v_cmp_eq_u16_e32 vcc_lo, 29, v15
	s_mov_b32 s0, -1
	s_cbranch_vccz .LBB6_2077
; %bb.2076:
	v_trunc_f64_e32 v[2:3], v[8:9]
	s_mov_b32 s0, 0
	s_delay_alu instid0(VALU_DEP_1) | instskip(NEXT) | instid1(VALU_DEP_1)
	v_ldexp_f64 v[4:5], v[2:3], 0xffffffe0
	v_floor_f64_e32 v[4:5], v[4:5]
	s_delay_alu instid0(VALU_DEP_1) | instskip(SKIP_1) | instid1(VALU_DEP_2)
	v_fma_f64 v[2:3], 0xc1f00000, v[4:5], v[2:3]
	v_cvt_u32_f64_e32 v4, v[4:5]
	v_cvt_u32_f64_e32 v3, v[2:3]
	global_store_b64 v[0:1], v[3:4], off
.LBB6_2077:
	s_mov_b32 s2, 0
.LBB6_2078:
	s_delay_alu instid0(SALU_CYCLE_1)
	s_and_b32 vcc_lo, exec_lo, s2
	s_cbranch_vccz .LBB6_2093
; %bb.2079:
	v_cmp_gt_i16_e32 vcc_lo, 27, v15
	s_mov_b32 s2, -1
	s_cbranch_vccnz .LBB6_2085
; %bb.2080:
	v_cvt_u32_f64_e32 v2, v[8:9]
	v_cmp_lt_i16_e32 vcc_lo, 27, v15
	s_cbranch_vccz .LBB6_2082
; %bb.2081:
	s_mov_b32 s2, 0
	global_store_b32 v[0:1], v2, off
.LBB6_2082:
	s_and_not1_b32 vcc_lo, exec_lo, s2
	s_cbranch_vccnz .LBB6_2084
; %bb.2083:
	global_store_b16 v[0:1], v2, off
.LBB6_2084:
	s_mov_b32 s2, 0
.LBB6_2085:
	s_delay_alu instid0(SALU_CYCLE_1)
	s_and_not1_b32 vcc_lo, exec_lo, s2
	s_cbranch_vccnz .LBB6_2093
; %bb.2086:
	v_cvt_f32_f64_e32 v2, v[8:9]
	v_mov_b32_e32 v4, 0x80
	s_mov_b32 s2, exec_lo
	s_delay_alu instid0(VALU_DEP_2) | instskip(NEXT) | instid1(VALU_DEP_1)
	v_and_b32_e32 v3, 0x7fffffff, v2
	v_cmpx_gt_u32_e32 0x43800000, v3
	s_cbranch_execz .LBB6_2092
; %bb.2087:
	v_cmp_lt_u32_e32 vcc_lo, 0x3bffffff, v3
	s_mov_b32 s3, 0
                                        ; implicit-def: $vgpr3
	s_and_saveexec_b32 s4, vcc_lo
	s_delay_alu instid0(SALU_CYCLE_1)
	s_xor_b32 s4, exec_lo, s4
	s_cbranch_execz .LBB6_2164
; %bb.2088:
	v_bfe_u32 v3, v2, 20, 1
	s_mov_b32 s3, exec_lo
	s_delay_alu instid0(VALU_DEP_1) | instskip(NEXT) | instid1(VALU_DEP_1)
	v_add3_u32 v3, v2, v3, 0x487ffff
	v_lshrrev_b32_e32 v3, 20, v3
	s_or_saveexec_b32 s4, s4
                                        ; implicit-def: $sgpr5
	s_delay_alu instid0(SALU_CYCLE_1)
	s_xor_b32 exec_lo, exec_lo, s4
	s_cbranch_execnz .LBB6_2165
.LBB6_2089:
	s_or_b32 exec_lo, exec_lo, s4
	v_mov_b32_e32 v4, s5
	s_and_saveexec_b32 s4, s3
.LBB6_2090:
	v_lshrrev_b32_e32 v2, 24, v2
	s_delay_alu instid0(VALU_DEP_1)
	v_and_or_b32 v4, 0x80, v2, v3
.LBB6_2091:
	s_or_b32 exec_lo, exec_lo, s4
.LBB6_2092:
	s_delay_alu instid0(SALU_CYCLE_1)
	s_or_b32 exec_lo, exec_lo, s2
	global_store_b8 v[0:1], v4, off
.LBB6_2093:
	s_mov_b32 s2, 0
.LBB6_2094:
	s_delay_alu instid0(SALU_CYCLE_1)
	s_and_b32 vcc_lo, exec_lo, s2
	s_cbranch_vccz .LBB6_2134
; %bb.2095:
	v_cmp_lt_i16_e32 vcc_lo, 22, v15
	s_mov_b32 s1, -1
	s_cbranch_vccz .LBB6_2127
; %bb.2096:
	v_cmp_gt_i16_e32 vcc_lo, 24, v15
	s_cbranch_vccnz .LBB6_2116
; %bb.2097:
	v_cmp_lt_i16_e32 vcc_lo, 24, v15
	s_cbranch_vccz .LBB6_2105
; %bb.2098:
	v_cvt_f32_f64_e32 v2, v[8:9]
	v_mov_b32_e32 v4, 0x80
	s_mov_b32 s1, exec_lo
	s_delay_alu instid0(VALU_DEP_2) | instskip(NEXT) | instid1(VALU_DEP_1)
	v_and_b32_e32 v3, 0x7fffffff, v2
	v_cmpx_gt_u32_e32 0x47800000, v3
	s_cbranch_execz .LBB6_2104
; %bb.2099:
	v_cmp_lt_u32_e32 vcc_lo, 0x37ffffff, v3
	s_mov_b32 s2, 0
                                        ; implicit-def: $vgpr3
	s_and_saveexec_b32 s3, vcc_lo
	s_delay_alu instid0(SALU_CYCLE_1)
	s_xor_b32 s3, exec_lo, s3
	s_cbranch_execz .LBB6_2170
; %bb.2100:
	v_bfe_u32 v3, v2, 21, 1
	s_mov_b32 s2, exec_lo
	s_delay_alu instid0(VALU_DEP_1) | instskip(NEXT) | instid1(VALU_DEP_1)
	v_add3_u32 v3, v2, v3, 0x88fffff
	v_lshrrev_b32_e32 v3, 21, v3
	s_or_saveexec_b32 s3, s3
                                        ; implicit-def: $sgpr4
	s_delay_alu instid0(SALU_CYCLE_1)
	s_xor_b32 exec_lo, exec_lo, s3
	s_cbranch_execnz .LBB6_2171
.LBB6_2101:
	s_or_b32 exec_lo, exec_lo, s3
	v_mov_b32_e32 v4, s4
	s_and_saveexec_b32 s3, s2
.LBB6_2102:
	v_lshrrev_b32_e32 v2, 24, v2
	s_delay_alu instid0(VALU_DEP_1)
	v_and_or_b32 v4, 0x80, v2, v3
.LBB6_2103:
	s_or_b32 exec_lo, exec_lo, s3
.LBB6_2104:
	s_delay_alu instid0(SALU_CYCLE_1)
	s_or_b32 exec_lo, exec_lo, s1
	s_mov_b32 s1, 0
	global_store_b8 v[0:1], v4, off
.LBB6_2105:
	s_and_b32 vcc_lo, exec_lo, s1
	s_cbranch_vccz .LBB6_2115
; %bb.2106:
	v_cvt_f32_f64_e32 v2, v[8:9]
	s_mov_b32 s1, exec_lo
                                        ; implicit-def: $vgpr3
	s_delay_alu instid0(VALU_DEP_1) | instskip(NEXT) | instid1(VALU_DEP_1)
	v_and_b32_e32 v4, 0x7fffffff, v2
	v_cmpx_gt_u32_e32 0x43f00000, v4
	s_xor_b32 s1, exec_lo, s1
	s_cbranch_execz .LBB6_2112
; %bb.2107:
	s_mov_b32 s2, exec_lo
                                        ; implicit-def: $vgpr3
	v_cmpx_lt_u32_e32 0x3c7fffff, v4
	s_xor_b32 s2, exec_lo, s2
; %bb.2108:
	v_bfe_u32 v3, v2, 20, 1
	s_delay_alu instid0(VALU_DEP_1) | instskip(NEXT) | instid1(VALU_DEP_1)
	v_add3_u32 v3, v2, v3, 0x407ffff
	v_and_b32_e32 v4, 0xff00000, v3
	v_lshrrev_b32_e32 v3, 20, v3
	s_delay_alu instid0(VALU_DEP_2) | instskip(NEXT) | instid1(VALU_DEP_2)
	v_cmp_ne_u32_e32 vcc_lo, 0x7f00000, v4
	v_cndmask_b32_e32 v3, 0x7e, v3, vcc_lo
; %bb.2109:
	s_and_not1_saveexec_b32 s2, s2
; %bb.2110:
	v_add_f32_e64 v3, 0x46800000, |v2|
; %bb.2111:
	s_or_b32 exec_lo, exec_lo, s2
                                        ; implicit-def: $vgpr4
.LBB6_2112:
	s_and_not1_saveexec_b32 s1, s1
; %bb.2113:
	v_mov_b32_e32 v3, 0x7f
	v_cmp_lt_u32_e32 vcc_lo, 0x7f800000, v4
	s_delay_alu instid0(VALU_DEP_2)
	v_cndmask_b32_e32 v3, 0x7e, v3, vcc_lo
; %bb.2114:
	s_or_b32 exec_lo, exec_lo, s1
	v_lshrrev_b32_e32 v2, 24, v2
	s_delay_alu instid0(VALU_DEP_1)
	v_and_or_b32 v2, 0x80, v2, v3
	global_store_b8 v[0:1], v2, off
.LBB6_2115:
	s_mov_b32 s1, 0
.LBB6_2116:
	s_delay_alu instid0(SALU_CYCLE_1)
	s_and_not1_b32 vcc_lo, exec_lo, s1
	s_cbranch_vccnz .LBB6_2126
; %bb.2117:
	v_cvt_f32_f64_e32 v2, v[8:9]
	s_mov_b32 s1, exec_lo
                                        ; implicit-def: $vgpr3
	s_delay_alu instid0(VALU_DEP_1) | instskip(NEXT) | instid1(VALU_DEP_1)
	v_and_b32_e32 v4, 0x7fffffff, v2
	v_cmpx_gt_u32_e32 0x47800000, v4
	s_xor_b32 s1, exec_lo, s1
	s_cbranch_execz .LBB6_2123
; %bb.2118:
	s_mov_b32 s2, exec_lo
                                        ; implicit-def: $vgpr3
	v_cmpx_lt_u32_e32 0x387fffff, v4
	s_xor_b32 s2, exec_lo, s2
; %bb.2119:
	v_bfe_u32 v3, v2, 21, 1
	s_delay_alu instid0(VALU_DEP_1) | instskip(NEXT) | instid1(VALU_DEP_1)
	v_add3_u32 v3, v2, v3, 0x80fffff
	v_lshrrev_b32_e32 v3, 21, v3
; %bb.2120:
	s_and_not1_saveexec_b32 s2, s2
; %bb.2121:
	v_add_f32_e64 v3, 0x43000000, |v2|
; %bb.2122:
	s_or_b32 exec_lo, exec_lo, s2
                                        ; implicit-def: $vgpr4
.LBB6_2123:
	s_and_not1_saveexec_b32 s1, s1
; %bb.2124:
	v_mov_b32_e32 v3, 0x7f
	v_cmp_lt_u32_e32 vcc_lo, 0x7f800000, v4
	s_delay_alu instid0(VALU_DEP_2)
	v_cndmask_b32_e32 v3, 0x7c, v3, vcc_lo
; %bb.2125:
	s_or_b32 exec_lo, exec_lo, s1
	v_lshrrev_b32_e32 v2, 24, v2
	s_delay_alu instid0(VALU_DEP_1)
	v_and_or_b32 v2, 0x80, v2, v3
	global_store_b8 v[0:1], v2, off
.LBB6_2126:
	s_mov_b32 s1, 0
.LBB6_2127:
	s_delay_alu instid0(SALU_CYCLE_1)
	s_and_not1_b32 vcc_lo, exec_lo, s1
	s_mov_b32 s1, 0
	s_cbranch_vccnz .LBB6_2134
; %bb.2128:
	v_cmp_lt_i16_e32 vcc_lo, 14, v15
	s_mov_b32 s1, -1
	s_cbranch_vccz .LBB6_2132
; %bb.2129:
	v_cmp_eq_u16_e32 vcc_lo, 15, v15
	s_mov_b32 s0, -1
	s_cbranch_vccz .LBB6_2131
; %bb.2130:
	v_cvt_f32_f64_e32 v2, v[8:9]
	s_mov_b32 s0, 0
	s_delay_alu instid0(VALU_DEP_1) | instskip(SKIP_1) | instid1(VALU_DEP_2)
	v_bfe_u32 v3, v2, 16, 1
	v_cmp_o_f32_e32 vcc_lo, v2, v2
	v_add3_u32 v3, v2, v3, 0x7fff
	s_delay_alu instid0(VALU_DEP_1) | instskip(NEXT) | instid1(VALU_DEP_1)
	v_lshrrev_b32_e32 v3, 16, v3
	v_cndmask_b32_e32 v2, 0x7fc0, v3, vcc_lo
	global_store_b16 v[0:1], v2, off
.LBB6_2131:
	s_mov_b32 s1, 0
.LBB6_2132:
	s_delay_alu instid0(SALU_CYCLE_1)
	s_and_b32 vcc_lo, exec_lo, s1
	s_mov_b32 s1, 0
	s_cbranch_vccz .LBB6_2134
; %bb.2133:
	v_cmp_ne_u16_e64 s0, 11, v15
	s_mov_b32 s1, -1
.LBB6_2134:
	s_delay_alu instid0(VALU_DEP_1)
	s_and_b32 vcc_lo, exec_lo, s0
	s_cbranch_vccnz .LBB6_2168
.LBB6_2135:
	s_mov_b32 s0, 0
	s_branch .LBB6_1737
.LBB6_2136:
	s_mov_b32 s0, 0
	s_mov_b32 s1, 0
                                        ; implicit-def: $vgpr15
                                        ; implicit-def: $vgpr0_vgpr1
	s_branch .LBB6_1737
.LBB6_2137:
	s_mov_b32 s1, 0
	s_mov_b32 s0, -1
	s_branch .LBB6_1737
.LBB6_2138:
	s_cbranch_execnz .LBB6_2142
; %bb.2139:
	s_or_b32 s11, s11, exec_lo
                                        ; implicit-def: $vgpr6_vgpr7
	s_cbranch_execz .LBB6_1594
	s_branch .LBB6_1595
.LBB6_2140:
	s_or_saveexec_b32 s7, s7
                                        ; implicit-def: $sgpr8
	s_delay_alu instid0(SALU_CYCLE_1)
	s_xor_b32 exec_lo, exec_lo, s7
	s_cbranch_execz .LBB6_1686
.LBB6_2141:
	v_add_f32_e64 v3, 0x46000000, |v2|
	s_and_not1_b32 s6, s6, exec_lo
	s_mov_b32 s8, 0
	s_delay_alu instid0(VALU_DEP_1) | instskip(NEXT) | instid1(VALU_DEP_1)
	v_and_b32_e32 v3, 0xff, v3
	v_cmp_ne_u32_e32 vcc_lo, 0, v3
	s_and_b32 s9, vcc_lo, exec_lo
	s_delay_alu instid0(SALU_CYCLE_1)
	s_or_b32 s6, s6, s9
	s_or_b32 exec_lo, exec_lo, s7
	v_mov_b32_e32 v13, s8
	s_and_saveexec_b32 s7, s6
	s_cbranch_execnz .LBB6_1687
	s_branch .LBB6_1688
.LBB6_2142:
	s_trap 2
	s_sendmsg_rtn_b32 s0, sendmsg(MSG_RTN_GET_DOORBELL)
	s_mov_b32 ttmp2, m0
	s_waitcnt lgkmcnt(0)
	s_and_b32 s0, s0, 0x3ff
	s_delay_alu instid0(SALU_CYCLE_1) | instskip(NEXT) | instid1(SALU_CYCLE_1)
	s_bitset1_b32 s0, 10
	s_mov_b32 m0, s0
	s_sendmsg sendmsg(MSG_INTERRUPT)
	s_mov_b32 m0, ttmp2
.LBB6_2143:                             ; =>This Inner Loop Header: Depth=1
	s_sethalt 5
	s_branch .LBB6_2143
.LBB6_2144:
	s_cbranch_execnz .LBB6_2150
; %bb.2145:
	s_or_b32 s11, s11, exec_lo
	s_cbranch_execz .LBB6_1734
	s_branch .LBB6_1735
.LBB6_2146:
	s_or_saveexec_b32 s6, s6
                                        ; implicit-def: $sgpr7
	s_delay_alu instid0(SALU_CYCLE_1)
	s_xor_b32 exec_lo, exec_lo, s6
	s_cbranch_execz .LBB6_1699
.LBB6_2147:
	v_add_f32_e64 v3, 0x42800000, |v2|
	s_and_not1_b32 s3, s3, exec_lo
	s_mov_b32 s7, 0
	s_delay_alu instid0(VALU_DEP_1) | instskip(NEXT) | instid1(VALU_DEP_1)
	v_and_b32_e32 v3, 0xff, v3
	v_cmp_ne_u32_e32 vcc_lo, 0, v3
	s_and_b32 s8, vcc_lo, exec_lo
	s_delay_alu instid0(SALU_CYCLE_1)
	s_or_b32 s3, s3, s8
	s_or_b32 exec_lo, exec_lo, s6
	v_mov_b32_e32 v13, s7
	s_and_saveexec_b32 s6, s3
	s_cbranch_execnz .LBB6_1700
	s_branch .LBB6_1701
.LBB6_2148:
	s_or_saveexec_b32 s7, s7
                                        ; implicit-def: $sgpr8
	s_delay_alu instid0(SALU_CYCLE_1)
	s_xor_b32 exec_lo, exec_lo, s7
	s_cbranch_execz .LBB6_1850
.LBB6_2149:
	v_add_f32_e64 v6, 0x46000000, |v3|
	s_and_not1_b32 s6, s6, exec_lo
	s_mov_b32 s8, 0
	s_delay_alu instid0(VALU_DEP_1) | instskip(NEXT) | instid1(VALU_DEP_1)
	v_and_b32_e32 v6, 0xff, v6
	v_cmp_ne_u32_e32 vcc_lo, 0, v6
	s_and_b32 s9, vcc_lo, exec_lo
	s_delay_alu instid0(SALU_CYCLE_1)
	s_or_b32 s6, s6, s9
	s_or_b32 exec_lo, exec_lo, s7
	v_mov_b32_e32 v7, s8
	s_and_saveexec_b32 s7, s6
	s_cbranch_execnz .LBB6_1851
	s_branch .LBB6_1852
.LBB6_2150:
	s_trap 2
	s_sendmsg_rtn_b32 s0, sendmsg(MSG_RTN_GET_DOORBELL)
	s_mov_b32 ttmp2, m0
	s_waitcnt lgkmcnt(0)
	s_and_b32 s0, s0, 0x3ff
	s_delay_alu instid0(SALU_CYCLE_1) | instskip(NEXT) | instid1(SALU_CYCLE_1)
	s_bitset1_b32 s0, 10
	s_mov_b32 m0, s0
	s_sendmsg sendmsg(MSG_INTERRUPT)
	s_mov_b32 m0, ttmp2
.LBB6_2151:                             ; =>This Inner Loop Header: Depth=1
	s_sethalt 5
	s_branch .LBB6_2151
.LBB6_2152:
	s_cbranch_execnz .LBB6_2158
; %bb.2153:
	s_or_b32 s11, s11, exec_lo
	s_cbranch_execz .LBB6_1898
	s_branch .LBB6_1899
.LBB6_2154:
	s_or_saveexec_b32 s6, s6
                                        ; implicit-def: $sgpr7
	s_delay_alu instid0(SALU_CYCLE_1)
	s_xor_b32 exec_lo, exec_lo, s6
	s_cbranch_execz .LBB6_1863
.LBB6_2155:
	v_add_f32_e64 v6, 0x42800000, |v3|
	s_and_not1_b32 s3, s3, exec_lo
	s_mov_b32 s7, 0
	s_delay_alu instid0(VALU_DEP_1) | instskip(NEXT) | instid1(VALU_DEP_1)
	v_and_b32_e32 v6, 0xff, v6
	v_cmp_ne_u32_e32 vcc_lo, 0, v6
	s_and_b32 s8, vcc_lo, exec_lo
	s_delay_alu instid0(SALU_CYCLE_1)
	s_or_b32 s3, s3, s8
	s_or_b32 exec_lo, exec_lo, s6
	v_mov_b32_e32 v7, s7
	s_and_saveexec_b32 s6, s3
	s_cbranch_execnz .LBB6_1864
	s_branch .LBB6_1865
.LBB6_2156:
	s_or_saveexec_b32 s7, s7
                                        ; implicit-def: $sgpr8
	s_delay_alu instid0(SALU_CYCLE_1)
	s_xor_b32 exec_lo, exec_lo, s7
	s_cbranch_execz .LBB6_1969
.LBB6_2157:
	v_add_f32_e64 v4, 0x46000000, |v3|
	s_and_not1_b32 s6, s6, exec_lo
	s_mov_b32 s8, 0
	s_delay_alu instid0(VALU_DEP_1) | instskip(NEXT) | instid1(VALU_DEP_1)
	v_and_b32_e32 v4, 0xff, v4
	v_cmp_ne_u32_e32 vcc_lo, 0, v4
	s_and_b32 s9, vcc_lo, exec_lo
	s_delay_alu instid0(SALU_CYCLE_1)
	s_or_b32 s6, s6, s9
	s_or_b32 exec_lo, exec_lo, s7
	v_mov_b32_e32 v5, s8
	s_and_saveexec_b32 s7, s6
	s_cbranch_execnz .LBB6_1970
	s_branch .LBB6_1971
.LBB6_2158:
	s_trap 2
	s_sendmsg_rtn_b32 s0, sendmsg(MSG_RTN_GET_DOORBELL)
	s_mov_b32 ttmp2, m0
	s_waitcnt lgkmcnt(0)
	s_and_b32 s0, s0, 0x3ff
	s_delay_alu instid0(SALU_CYCLE_1) | instskip(NEXT) | instid1(SALU_CYCLE_1)
	s_bitset1_b32 s0, 10
	s_mov_b32 m0, s0
	s_sendmsg sendmsg(MSG_INTERRUPT)
	s_mov_b32 m0, ttmp2
.LBB6_2159:                             ; =>This Inner Loop Header: Depth=1
	s_sethalt 5
	s_branch .LBB6_2159
.LBB6_2160:
	s_cbranch_execnz .LBB6_2166
; %bb.2161:
	s_or_b32 s11, s11, exec_lo
	s_cbranch_execz .LBB6_2017
	s_branch .LBB6_2018
.LBB6_2162:
	s_or_saveexec_b32 s6, s6
                                        ; implicit-def: $sgpr7
	s_delay_alu instid0(SALU_CYCLE_1)
	s_xor_b32 exec_lo, exec_lo, s6
	s_cbranch_execz .LBB6_1982
.LBB6_2163:
	v_add_f32_e64 v4, 0x42800000, |v3|
	s_and_not1_b32 s3, s3, exec_lo
	s_mov_b32 s7, 0
	s_delay_alu instid0(VALU_DEP_1) | instskip(NEXT) | instid1(VALU_DEP_1)
	v_and_b32_e32 v4, 0xff, v4
	v_cmp_ne_u32_e32 vcc_lo, 0, v4
	s_and_b32 s8, vcc_lo, exec_lo
	s_delay_alu instid0(SALU_CYCLE_1)
	s_or_b32 s3, s3, s8
	s_or_b32 exec_lo, exec_lo, s6
	v_mov_b32_e32 v5, s7
	s_and_saveexec_b32 s6, s3
	s_cbranch_execnz .LBB6_1983
	s_branch .LBB6_1984
.LBB6_2164:
	s_or_saveexec_b32 s4, s4
                                        ; implicit-def: $sgpr5
	s_delay_alu instid0(SALU_CYCLE_1)
	s_xor_b32 exec_lo, exec_lo, s4
	s_cbranch_execz .LBB6_2089
.LBB6_2165:
	v_add_f32_e64 v3, 0x46000000, |v2|
	s_and_not1_b32 s3, s3, exec_lo
	s_mov_b32 s5, 0
	s_delay_alu instid0(VALU_DEP_1) | instskip(NEXT) | instid1(VALU_DEP_1)
	v_and_b32_e32 v3, 0xff, v3
	v_cmp_ne_u32_e32 vcc_lo, 0, v3
	s_and_b32 s6, vcc_lo, exec_lo
	s_delay_alu instid0(SALU_CYCLE_1)
	s_or_b32 s3, s3, s6
	s_or_b32 exec_lo, exec_lo, s4
	v_mov_b32_e32 v4, s5
	s_and_saveexec_b32 s4, s3
	s_cbranch_execnz .LBB6_2090
	s_branch .LBB6_2091
.LBB6_2166:
	s_trap 2
	s_sendmsg_rtn_b32 s0, sendmsg(MSG_RTN_GET_DOORBELL)
	s_mov_b32 ttmp2, m0
	s_waitcnt lgkmcnt(0)
	s_and_b32 s0, s0, 0x3ff
	s_delay_alu instid0(SALU_CYCLE_1) | instskip(NEXT) | instid1(SALU_CYCLE_1)
	s_bitset1_b32 s0, 10
	s_mov_b32 m0, s0
	s_sendmsg sendmsg(MSG_INTERRUPT)
	s_mov_b32 m0, ttmp2
.LBB6_2167:                             ; =>This Inner Loop Header: Depth=1
	s_sethalt 5
	s_branch .LBB6_2167
.LBB6_2168:
	s_cbranch_execnz .LBB6_2172
; %bb.2169:
	s_mov_b32 s1, 0
	s_or_b32 s11, s11, exec_lo
	s_branch .LBB6_2135
.LBB6_2170:
	s_or_saveexec_b32 s3, s3
                                        ; implicit-def: $sgpr4
	s_delay_alu instid0(SALU_CYCLE_1)
	s_xor_b32 exec_lo, exec_lo, s3
	s_cbranch_execz .LBB6_2101
.LBB6_2171:
	v_add_f32_e64 v3, 0x42800000, |v2|
	s_and_not1_b32 s2, s2, exec_lo
	s_mov_b32 s4, 0
	s_delay_alu instid0(VALU_DEP_1) | instskip(NEXT) | instid1(VALU_DEP_1)
	v_and_b32_e32 v3, 0xff, v3
	v_cmp_ne_u32_e32 vcc_lo, 0, v3
	s_and_b32 s5, vcc_lo, exec_lo
	s_delay_alu instid0(SALU_CYCLE_1)
	s_or_b32 s2, s2, s5
	s_or_b32 exec_lo, exec_lo, s3
	v_mov_b32_e32 v4, s4
	s_and_saveexec_b32 s3, s2
	s_cbranch_execnz .LBB6_2102
	s_branch .LBB6_2103
.LBB6_2172:
	s_trap 2
	s_sendmsg_rtn_b32 s0, sendmsg(MSG_RTN_GET_DOORBELL)
	s_mov_b32 ttmp2, m0
	s_waitcnt lgkmcnt(0)
	s_and_b32 s0, s0, 0x3ff
	s_delay_alu instid0(SALU_CYCLE_1) | instskip(NEXT) | instid1(SALU_CYCLE_1)
	s_bitset1_b32 s0, 10
	s_mov_b32 m0, s0
	s_sendmsg sendmsg(MSG_INTERRUPT)
	s_mov_b32 m0, ttmp2
.LBB6_2173:                             ; =>This Inner Loop Header: Depth=1
	s_sethalt 5
	s_branch .LBB6_2173
	.section	.rodata,"a",@progbits
	.p2align	6, 0x0
	.amdhsa_kernel _ZN2at6native32elementwise_kernel_manual_unrollILi128ELi4EZNS0_15gpu_kernel_implINS0_13AUnaryFunctorIdddZZZNS0_12_GLOBAL__N_132hermite_polynomial_h_kernel_cudaERNS_18TensorIteratorBaseEENKUlvE_clEvENKUlvE_clEvEUlddE_EEEEvS6_RKT_EUlibE_EEviT1_
		.amdhsa_group_segment_fixed_size 0
		.amdhsa_private_segment_fixed_size 0
		.amdhsa_kernarg_size 56
		.amdhsa_user_sgpr_count 15
		.amdhsa_user_sgpr_dispatch_ptr 0
		.amdhsa_user_sgpr_queue_ptr 0
		.amdhsa_user_sgpr_kernarg_segment_ptr 1
		.amdhsa_user_sgpr_dispatch_id 0
		.amdhsa_user_sgpr_private_segment_size 0
		.amdhsa_wavefront_size32 1
		.amdhsa_uses_dynamic_stack 0
		.amdhsa_enable_private_segment 0
		.amdhsa_system_sgpr_workgroup_id_x 1
		.amdhsa_system_sgpr_workgroup_id_y 0
		.amdhsa_system_sgpr_workgroup_id_z 0
		.amdhsa_system_sgpr_workgroup_info 0
		.amdhsa_system_vgpr_workitem_id 0
		.amdhsa_next_free_vgpr 19
		.amdhsa_next_free_sgpr 28
		.amdhsa_reserve_vcc 1
		.amdhsa_float_round_mode_32 0
		.amdhsa_float_round_mode_16_64 0
		.amdhsa_float_denorm_mode_32 3
		.amdhsa_float_denorm_mode_16_64 3
		.amdhsa_dx10_clamp 1
		.amdhsa_ieee_mode 1
		.amdhsa_fp16_overflow 0
		.amdhsa_workgroup_processor_mode 1
		.amdhsa_memory_ordered 1
		.amdhsa_forward_progress 0
		.amdhsa_shared_vgpr_count 0
		.amdhsa_exception_fp_ieee_invalid_op 0
		.amdhsa_exception_fp_denorm_src 0
		.amdhsa_exception_fp_ieee_div_zero 0
		.amdhsa_exception_fp_ieee_overflow 0
		.amdhsa_exception_fp_ieee_underflow 0
		.amdhsa_exception_fp_ieee_inexact 0
		.amdhsa_exception_int_div_zero 0
	.end_amdhsa_kernel
	.section	.text._ZN2at6native32elementwise_kernel_manual_unrollILi128ELi4EZNS0_15gpu_kernel_implINS0_13AUnaryFunctorIdddZZZNS0_12_GLOBAL__N_132hermite_polynomial_h_kernel_cudaERNS_18TensorIteratorBaseEENKUlvE_clEvENKUlvE_clEvEUlddE_EEEEvS6_RKT_EUlibE_EEviT1_,"axG",@progbits,_ZN2at6native32elementwise_kernel_manual_unrollILi128ELi4EZNS0_15gpu_kernel_implINS0_13AUnaryFunctorIdddZZZNS0_12_GLOBAL__N_132hermite_polynomial_h_kernel_cudaERNS_18TensorIteratorBaseEENKUlvE_clEvENKUlvE_clEvEUlddE_EEEEvS6_RKT_EUlibE_EEviT1_,comdat
.Lfunc_end6:
	.size	_ZN2at6native32elementwise_kernel_manual_unrollILi128ELi4EZNS0_15gpu_kernel_implINS0_13AUnaryFunctorIdddZZZNS0_12_GLOBAL__N_132hermite_polynomial_h_kernel_cudaERNS_18TensorIteratorBaseEENKUlvE_clEvENKUlvE_clEvEUlddE_EEEEvS6_RKT_EUlibE_EEviT1_, .Lfunc_end6-_ZN2at6native32elementwise_kernel_manual_unrollILi128ELi4EZNS0_15gpu_kernel_implINS0_13AUnaryFunctorIdddZZZNS0_12_GLOBAL__N_132hermite_polynomial_h_kernel_cudaERNS_18TensorIteratorBaseEENKUlvE_clEvENKUlvE_clEvEUlddE_EEEEvS6_RKT_EUlibE_EEviT1_
                                        ; -- End function
	.section	.AMDGPU.csdata,"",@progbits
; Kernel info:
; codeLenInByte = 38024
; NumSgprs: 30
; NumVgprs: 19
; ScratchSize: 0
; MemoryBound: 1
; FloatMode: 240
; IeeeMode: 1
; LDSByteSize: 0 bytes/workgroup (compile time only)
; SGPRBlocks: 3
; VGPRBlocks: 2
; NumSGPRsForWavesPerEU: 30
; NumVGPRsForWavesPerEU: 19
; Occupancy: 16
; WaveLimiterHint : 0
; COMPUTE_PGM_RSRC2:SCRATCH_EN: 0
; COMPUTE_PGM_RSRC2:USER_SGPR: 15
; COMPUTE_PGM_RSRC2:TRAP_HANDLER: 0
; COMPUTE_PGM_RSRC2:TGID_X_EN: 1
; COMPUTE_PGM_RSRC2:TGID_Y_EN: 0
; COMPUTE_PGM_RSRC2:TGID_Z_EN: 0
; COMPUTE_PGM_RSRC2:TIDIG_COMP_CNT: 0
	.section	.text._ZN2at6native32elementwise_kernel_manual_unrollILi128ELi4EZNS0_15gpu_kernel_implINS0_13AUnaryFunctorIdddZZZNS0_12_GLOBAL__N_132hermite_polynomial_h_kernel_cudaERNS_18TensorIteratorBaseEENKUlvE_clEvENKUlvE_clEvEUlddE_EEEEvS6_RKT_EUlibE0_EEviT1_,"axG",@progbits,_ZN2at6native32elementwise_kernel_manual_unrollILi128ELi4EZNS0_15gpu_kernel_implINS0_13AUnaryFunctorIdddZZZNS0_12_GLOBAL__N_132hermite_polynomial_h_kernel_cudaERNS_18TensorIteratorBaseEENKUlvE_clEvENKUlvE_clEvEUlddE_EEEEvS6_RKT_EUlibE0_EEviT1_,comdat
	.globl	_ZN2at6native32elementwise_kernel_manual_unrollILi128ELi4EZNS0_15gpu_kernel_implINS0_13AUnaryFunctorIdddZZZNS0_12_GLOBAL__N_132hermite_polynomial_h_kernel_cudaERNS_18TensorIteratorBaseEENKUlvE_clEvENKUlvE_clEvEUlddE_EEEEvS6_RKT_EUlibE0_EEviT1_ ; -- Begin function _ZN2at6native32elementwise_kernel_manual_unrollILi128ELi4EZNS0_15gpu_kernel_implINS0_13AUnaryFunctorIdddZZZNS0_12_GLOBAL__N_132hermite_polynomial_h_kernel_cudaERNS_18TensorIteratorBaseEENKUlvE_clEvENKUlvE_clEvEUlddE_EEEEvS6_RKT_EUlibE0_EEviT1_
	.p2align	8
	.type	_ZN2at6native32elementwise_kernel_manual_unrollILi128ELi4EZNS0_15gpu_kernel_implINS0_13AUnaryFunctorIdddZZZNS0_12_GLOBAL__N_132hermite_polynomial_h_kernel_cudaERNS_18TensorIteratorBaseEENKUlvE_clEvENKUlvE_clEvEUlddE_EEEEvS6_RKT_EUlibE0_EEviT1_,@function
_ZN2at6native32elementwise_kernel_manual_unrollILi128ELi4EZNS0_15gpu_kernel_implINS0_13AUnaryFunctorIdddZZZNS0_12_GLOBAL__N_132hermite_polynomial_h_kernel_cudaERNS_18TensorIteratorBaseEENKUlvE_clEvENKUlvE_clEvEUlddE_EEEEvS6_RKT_EUlibE0_EEviT1_: ; @_ZN2at6native32elementwise_kernel_manual_unrollILi128ELi4EZNS0_15gpu_kernel_implINS0_13AUnaryFunctorIdddZZZNS0_12_GLOBAL__N_132hermite_polynomial_h_kernel_cudaERNS_18TensorIteratorBaseEENKUlvE_clEvENKUlvE_clEvEUlddE_EEEEvS6_RKT_EUlibE0_EEviT1_
; %bb.0:
	s_clause 0x1
	s_load_b32 s24, s[0:1], 0x8
	s_load_b32 s31, s[0:1], 0x0
	v_lshl_or_b32 v11, s15, 9, v0
	s_or_b32 s16, s0, 8
	s_mov_b32 s3, -1
	s_mov_b32 s26, 0
	s_mov_b32 s17, s1
	v_or_b32_e32 v5, 0x180, v11
	s_mov_b32 s8, 0
	s_mov_b32 s2, exec_lo
	s_waitcnt lgkmcnt(0)
	s_add_i32 s25, s24, -1
	s_delay_alu instid0(SALU_CYCLE_1)
	s_cmp_gt_u32 s25, 1
	s_cselect_b32 s27, -1, 0
	v_cmpx_le_i32_e64 s31, v5
	s_xor_b32 s28, exec_lo, s2
	s_cbranch_execz .LBB7_1124
; %bb.1:
	s_clause 0x1
	s_load_b64 s[4:5], s[16:17], 0x160
	s_load_b32 s29, s[16:17], 0x168
	s_cmp_lg_u32 s24, 0
	s_mov_b32 s38, 0
	s_cselect_b32 s34, -1, 0
	s_add_u32 s20, s16, 0xc4
	s_addc_u32 s21, s17, 0
	s_min_u32 s33, s25, 15
	s_cmp_gt_u32 s24, 1
	s_mov_b32 s36, 0
	s_cselect_b32 s30, -1, 0
	s_mov_b32 s35, 0
	s_mov_b32 s37, exec_lo
	s_waitcnt lgkmcnt(0)
	v_add_f64 v[4:5], s[4:5], s[4:5]
	s_clause 0x3
	s_load_b128 s[12:15], s[16:17], 0x4
	s_load_b64 s[18:19], s[16:17], 0x14
	s_load_b128 s[8:11], s[16:17], 0xc4
	s_load_b128 s[4:7], s[16:17], 0x148
	v_lshrrev_b16 v10, 8, s29
	v_cmpx_gt_i32_e64 s31, v11
	s_cbranch_execz .LBB7_275
; %bb.2:
	s_and_not1_b32 vcc_lo, exec_lo, s27
	s_cbranch_vccnz .LBB7_7
; %bb.3:
	v_mov_b32_e32 v2, 0
	v_mov_b32_e32 v0, 0
	s_and_not1_b32 vcc_lo, exec_lo, s34
	s_cbranch_vccnz .LBB7_12
; %bb.4:
	v_mov_b32_e32 v2, 0
	s_add_i32 s39, s33, 1
	s_cmp_eq_u32 s25, 2
	s_cbranch_scc1 .LBB7_8
; %bb.5:
	v_dual_mov_b32 v0, 0 :: v_dual_mov_b32 v1, v11
	v_mov_b32_e32 v2, 0
	s_and_b32 s36, s39, 28
	s_mov_b32 s40, 0
	s_mov_b64 s[2:3], s[20:21]
	s_mov_b64 s[22:23], s[16:17]
.LBB7_6:                                ; =>This Inner Loop Header: Depth=1
	s_clause 0x1
	s_load_b256 s[44:51], s[22:23], 0x4
	s_load_b128 s[60:63], s[22:23], 0x24
	s_load_b256 s[52:59], s[2:3], 0x0
	s_add_u32 s22, s22, 48
	s_addc_u32 s23, s23, 0
	s_add_i32 s40, s40, 4
	s_add_u32 s2, s2, 32
	s_addc_u32 s3, s3, 0
	s_cmp_lg_u32 s36, s40
	s_waitcnt lgkmcnt(0)
	v_mul_hi_u32 v3, s45, v1
	s_delay_alu instid0(VALU_DEP_1) | instskip(NEXT) | instid1(VALU_DEP_1)
	v_add_nc_u32_e32 v3, v1, v3
	v_lshrrev_b32_e32 v3, s46, v3
	s_delay_alu instid0(VALU_DEP_1) | instskip(SKIP_1) | instid1(VALU_DEP_2)
	v_mul_hi_u32 v6, s48, v3
	v_mul_lo_u32 v8, v3, s44
	v_add_nc_u32_e32 v6, v3, v6
	s_delay_alu instid0(VALU_DEP_2) | instskip(NEXT) | instid1(VALU_DEP_2)
	v_sub_nc_u32_e32 v1, v1, v8
	v_lshrrev_b32_e32 v6, s49, v6
	s_delay_alu instid0(VALU_DEP_2) | instskip(SKIP_1) | instid1(VALU_DEP_3)
	v_mul_lo_u32 v8, v1, s52
	v_mul_lo_u32 v12, v1, s53
	v_mul_hi_u32 v7, s51, v6
	s_delay_alu instid0(VALU_DEP_1) | instskip(NEXT) | instid1(VALU_DEP_1)
	v_add_nc_u32_e32 v7, v6, v7
	v_lshrrev_b32_e32 v7, s60, v7
	s_delay_alu instid0(VALU_DEP_1) | instskip(SKIP_1) | instid1(VALU_DEP_2)
	v_mul_hi_u32 v9, s62, v7
	v_mul_lo_u32 v13, v7, s50
	v_add_nc_u32_e32 v1, v7, v9
	v_mul_lo_u32 v9, v6, s47
	s_delay_alu instid0(VALU_DEP_3) | instskip(NEXT) | instid1(VALU_DEP_3)
	v_sub_nc_u32_e32 v6, v6, v13
	v_lshrrev_b32_e32 v1, s63, v1
	s_delay_alu instid0(VALU_DEP_2) | instskip(SKIP_2) | instid1(VALU_DEP_4)
	v_mul_lo_u32 v13, v6, s56
	v_mul_lo_u32 v6, v6, s57
	v_sub_nc_u32_e32 v3, v3, v9
	v_mul_lo_u32 v14, v1, s61
	s_delay_alu instid0(VALU_DEP_2) | instskip(SKIP_1) | instid1(VALU_DEP_3)
	v_mul_lo_u32 v9, v3, s54
	v_mul_lo_u32 v3, v3, s55
	v_sub_nc_u32_e32 v7, v7, v14
	s_delay_alu instid0(VALU_DEP_3) | instskip(NEXT) | instid1(VALU_DEP_2)
	v_add3_u32 v2, v8, v2, v9
	v_mul_lo_u32 v14, v7, s58
	v_mul_lo_u32 v7, v7, s59
	v_add3_u32 v0, v12, v0, v3
	s_delay_alu instid0(VALU_DEP_3) | instskip(NEXT) | instid1(VALU_DEP_2)
	v_add3_u32 v2, v13, v2, v14
	v_add3_u32 v0, v6, v0, v7
	s_cbranch_scc1 .LBB7_6
	s_branch .LBB7_9
.LBB7_7:
	s_mov_b32 s35, -1
                                        ; implicit-def: $vgpr2
                                        ; implicit-def: $vgpr0
	s_branch .LBB7_12
.LBB7_8:
	v_dual_mov_b32 v1, v11 :: v_dual_mov_b32 v0, 0
.LBB7_9:
	s_and_b32 s39, s39, 3
	s_delay_alu instid0(SALU_CYCLE_1)
	s_cmp_eq_u32 s39, 0
	s_cbranch_scc1 .LBB7_12
; %bb.10:
	s_lshl_b32 s2, s36, 3
	s_mul_i32 s22, s36, 12
	s_add_u32 s2, s2, s16
	s_addc_u32 s3, s17, 0
	s_add_u32 s2, s2, 0xc4
	s_addc_u32 s3, s3, 0
	;; [unrolled: 2-line block ×3, first 2 shown]
	.p2align	6
.LBB7_11:                               ; =>This Inner Loop Header: Depth=1
	s_clause 0x1
	s_load_b64 s[40:41], s[22:23], 0x4
	s_load_b32 s36, s[22:23], 0xc
	s_load_b64 s[42:43], s[2:3], 0x0
	s_add_u32 s22, s22, 12
	s_addc_u32 s23, s23, 0
	s_add_u32 s2, s2, 8
	s_addc_u32 s3, s3, 0
	s_add_i32 s39, s39, -1
	s_delay_alu instid0(SALU_CYCLE_1) | instskip(SKIP_2) | instid1(VALU_DEP_1)
	s_cmp_lg_u32 s39, 0
	s_waitcnt lgkmcnt(0)
	v_mul_hi_u32 v3, s41, v1
	v_add_nc_u32_e32 v3, v1, v3
	s_delay_alu instid0(VALU_DEP_1) | instskip(NEXT) | instid1(VALU_DEP_1)
	v_lshrrev_b32_e32 v3, s36, v3
	v_mul_lo_u32 v6, v3, s40
	s_delay_alu instid0(VALU_DEP_1) | instskip(NEXT) | instid1(VALU_DEP_1)
	v_sub_nc_u32_e32 v1, v1, v6
	v_mad_u64_u32 v[6:7], null, v1, s42, v[2:3]
	v_mad_u64_u32 v[7:8], null, v1, s43, v[0:1]
	s_delay_alu instid0(VALU_DEP_2) | instskip(NEXT) | instid1(VALU_DEP_2)
	v_dual_mov_b32 v1, v3 :: v_dual_mov_b32 v2, v6
	v_mov_b32_e32 v0, v7
	s_cbranch_scc1 .LBB7_11
.LBB7_12:
	s_and_not1_b32 vcc_lo, exec_lo, s35
	s_cbranch_vccnz .LBB7_15
; %bb.13:
	s_waitcnt lgkmcnt(0)
	v_mul_hi_u32 v0, s13, v11
	s_and_not1_b32 vcc_lo, exec_lo, s30
	s_delay_alu instid0(VALU_DEP_1) | instskip(NEXT) | instid1(VALU_DEP_1)
	v_add_nc_u32_e32 v0, v11, v0
	v_lshrrev_b32_e32 v1, s14, v0
	s_delay_alu instid0(VALU_DEP_1) | instskip(NEXT) | instid1(VALU_DEP_1)
	v_mul_lo_u32 v0, v1, s12
	v_sub_nc_u32_e32 v0, v11, v0
	s_delay_alu instid0(VALU_DEP_1)
	v_mul_lo_u32 v2, v0, s8
	v_mul_lo_u32 v0, v0, s9
	s_cbranch_vccnz .LBB7_15
; %bb.14:
	v_mul_hi_u32 v3, s18, v1
	s_delay_alu instid0(VALU_DEP_1) | instskip(NEXT) | instid1(VALU_DEP_1)
	v_add_nc_u32_e32 v3, v1, v3
	v_lshrrev_b32_e32 v3, s19, v3
	s_delay_alu instid0(VALU_DEP_1) | instskip(NEXT) | instid1(VALU_DEP_1)
	v_mul_lo_u32 v3, v3, s15
	v_sub_nc_u32_e32 v3, v1, v3
	s_delay_alu instid0(VALU_DEP_1) | instskip(SKIP_1) | instid1(VALU_DEP_2)
	v_mad_u64_u32 v[6:7], null, v3, s10, v[2:3]
	v_mad_u64_u32 v[1:2], null, v3, s11, v[0:1]
	v_mov_b32_e32 v2, v6
	s_delay_alu instid0(VALU_DEP_2)
	v_mov_b32_e32 v0, v1
.LBB7_15:
	v_cmp_gt_i16_e32 vcc_lo, 11, v10
	s_waitcnt lgkmcnt(0)
	s_delay_alu instid0(VALU_DEP_2) | instskip(NEXT) | instid1(VALU_DEP_1)
	v_add_co_u32 v0, s2, s6, v0
	v_add_co_ci_u32_e64 v1, null, s7, 0, s2
	s_mov_b32 s22, 0
	s_cbranch_vccnz .LBB7_22
; %bb.16:
	v_cmp_lt_i16_e32 vcc_lo, 25, v10
	s_cbranch_vccz .LBB7_153
; %bb.17:
	v_cmp_lt_i16_e32 vcc_lo, 28, v10
	s_cbranch_vccz .LBB7_154
; %bb.18:
	v_cmp_lt_i16_e32 vcc_lo, 43, v10
	s_cbranch_vccz .LBB7_155
; %bb.19:
	v_cmp_lt_i16_e32 vcc_lo, 45, v10
	s_cbranch_vccz .LBB7_156
; %bb.20:
	v_cmp_eq_u16_e32 vcc_lo, 46, v10
	s_mov_b32 s3, 0
	s_cbranch_vccz .LBB7_157
; %bb.21:
	global_load_b32 v3, v[0:1], off
	s_mov_b32 s2, -1
	s_waitcnt vmcnt(0)
	v_lshlrev_b32_e32 v3, 16, v3
	s_delay_alu instid0(VALU_DEP_1)
	v_cvt_f64_f32_e32 v[6:7], v3
	s_branch .LBB7_159
.LBB7_22:
	s_mov_b32 s2, 0
                                        ; implicit-def: $vgpr6_vgpr7
	s_cbranch_execnz .LBB7_225
.LBB7_23:
	s_and_not1_b32 vcc_lo, exec_lo, s2
	s_cbranch_vccnz .LBB7_272
.LBB7_24:
	s_waitcnt vmcnt(0)
	s_delay_alu instid0(VALU_DEP_1) | instskip(SKIP_2) | instid1(VALU_DEP_2)
	v_trunc_f64_e32 v[0:1], v[6:7]
	v_cmp_class_f64_e64 vcc_lo, v[6:7], 0x1f8
	s_mov_b32 s23, exec_lo
	v_ldexp_f64 v[8:9], v[0:1], 0xffffffe0
	s_delay_alu instid0(VALU_DEP_1) | instskip(NEXT) | instid1(VALU_DEP_1)
	v_floor_f64_e32 v[8:9], v[8:9]
	v_fma_f64 v[0:1], 0xc1f00000, v[8:9], v[0:1]
	v_cvt_i32_f64_e32 v3, v[8:9]
	s_delay_alu instid0(VALU_DEP_2) | instskip(NEXT) | instid1(VALU_DEP_1)
	v_cvt_u32_f64_e32 v0, v[0:1]
	v_dual_cndmask_b32 v7, -1, v3 :: v_dual_cndmask_b32 v6, -1, v0
	v_mov_b32_e32 v0, 0
	v_mov_b32_e32 v1, 0
	s_delay_alu instid0(VALU_DEP_3)
	v_cmpx_lt_i64_e32 -1, v[6:7]
	s_cbranch_execz .LBB7_36
; %bb.25:
	v_mov_b32_e32 v0, 0
	v_mov_b32_e32 v1, 0x3ff00000
	s_mov_b32 s35, exec_lo
	v_cmpx_lt_i64_e32 0, v[6:7]
	s_cbranch_execz .LBB7_35
; %bb.26:
                                        ; implicit-def: $vgpr0_vgpr1
	s_mov_b32 s2, exec_lo
	v_cmpx_ne_u64_e32 1, v[6:7]
	s_xor_b32 s36, exec_lo, s2
	s_cbranch_execz .LBB7_32
; %bb.27:
	v_mov_b32_e32 v0, 0
	v_mov_b32_e32 v1, 0x7ff80000
	s_mov_b32 s39, exec_lo
	v_cmpx_gt_u64_e32 0x201, v[6:7]
	s_cbranch_execz .LBB7_31
; %bb.28:
	v_mov_b32_e32 v8, 0
	v_lshlrev_b64 v[6:7], 1, v[6:7]
	v_dual_mov_b32 v9, 0x3ff00000 :: v_dual_mov_b32 v0, v4
	v_mov_b32_e32 v1, v5
	s_mov_b64 s[2:3], 2
	s_mov_b32 s40, 0
	.p2align	6
.LBB7_29:                               ; =>This Inner Loop Header: Depth=1
	v_cvt_f64_u32_e32 v[12:13], s3
	v_cvt_f64_u32_e32 v[14:15], s2
	s_add_u32 s2, s2, 2
	s_addc_u32 s3, s3, 0
	s_delay_alu instid0(SALU_CYCLE_1) | instskip(SKIP_1) | instid1(VALU_DEP_3)
	v_cmp_ge_u64_e32 vcc_lo, s[2:3], v[6:7]
	s_or_b32 s40, vcc_lo, s40
	v_ldexp_f64 v[12:13], v[12:13], 32
	s_delay_alu instid0(VALU_DEP_1) | instskip(NEXT) | instid1(VALU_DEP_1)
	v_add_f64 v[12:13], v[12:13], v[14:15]
	v_mul_f64 v[8:9], v[8:9], v[12:13]
	v_dual_mov_b32 v13, v1 :: v_dual_mov_b32 v12, v0
	s_delay_alu instid0(VALU_DEP_1)
	v_fma_f64 v[0:1], v[4:5], v[12:13], -v[8:9]
	v_dual_mov_b32 v8, v12 :: v_dual_mov_b32 v9, v13
	s_and_not1_b32 exec_lo, exec_lo, s40
	s_cbranch_execnz .LBB7_29
; %bb.30:
	s_or_b32 exec_lo, exec_lo, s40
.LBB7_31:
	s_delay_alu instid0(SALU_CYCLE_1)
	s_or_b32 exec_lo, exec_lo, s39
.LBB7_32:
	s_and_not1_saveexec_b32 s2, s36
; %bb.33:
	v_dual_mov_b32 v0, v4 :: v_dual_mov_b32 v1, v5
; %bb.34:
	s_or_b32 exec_lo, exec_lo, s2
.LBB7_35:
	s_delay_alu instid0(SALU_CYCLE_1)
	s_or_b32 exec_lo, exec_lo, s35
.LBB7_36:
	s_delay_alu instid0(SALU_CYCLE_1) | instskip(SKIP_2) | instid1(VALU_DEP_1)
	s_or_b32 exec_lo, exec_lo, s23
	v_and_b32_e64 v8, 0xff, s29
	v_add_co_u32 v6, s3, s4, v2
	v_add_co_ci_u32_e64 v7, null, s5, 0, s3
	s_delay_alu instid0(VALU_DEP_3)
	v_cmp_gt_i16_e32 vcc_lo, 11, v8
	s_mov_b32 s2, 0
	s_mov_b32 s23, -1
	s_mov_b32 s3, 0
	s_cbranch_vccnz .LBB7_113
; %bb.37:
	v_cmp_lt_i16_e32 vcc_lo, 25, v8
	s_cbranch_vccz .LBB7_70
; %bb.38:
	v_cmp_lt_i16_e32 vcc_lo, 28, v8
	s_cbranch_vccz .LBB7_53
	;; [unrolled: 3-line block ×4, first 2 shown]
; %bb.41:
	v_cmp_eq_u16_e32 vcc_lo, 46, v8
	s_mov_b32 s23, 0
	s_mov_b32 s2, -1
	s_cbranch_vccz .LBB7_43
; %bb.42:
	v_cvt_f32_f64_e32 v2, v[0:1]
	s_mov_b32 s3, -1
	s_mov_b32 s2, 0
	s_delay_alu instid0(VALU_DEP_1) | instskip(SKIP_1) | instid1(VALU_DEP_2)
	v_bfe_u32 v3, v2, 16, 1
	v_cmp_o_f32_e32 vcc_lo, v2, v2
	v_add3_u32 v3, v2, v3, 0x7fff
	s_delay_alu instid0(VALU_DEP_1) | instskip(NEXT) | instid1(VALU_DEP_1)
	v_lshrrev_b32_e32 v3, 16, v3
	v_cndmask_b32_e32 v2, 0x7fc0, v3, vcc_lo
	global_store_b32 v[6:7], v2, off
.LBB7_43:
	s_and_b32 vcc_lo, exec_lo, s23
	s_cbranch_vccz .LBB7_48
; %bb.44:
	v_cmp_eq_u16_e32 vcc_lo, 44, v8
	s_mov_b32 s2, -1
	s_cbranch_vccz .LBB7_48
; %bb.45:
	v_cvt_f32_f64_e32 v2, v[0:1]
	v_mov_b32_e32 v3, 0xff
	s_mov_b32 s3, exec_lo
	s_delay_alu instid0(VALU_DEP_2) | instskip(NEXT) | instid1(VALU_DEP_1)
	v_bfe_u32 v9, v2, 23, 8
	v_cmpx_ne_u32_e32 0xff, v9
; %bb.46:
	v_and_b32_e32 v3, 0x400000, v2
	v_and_or_b32 v9, 0x3fffff, v2, v9
	v_lshrrev_b32_e32 v2, 23, v2
	s_delay_alu instid0(VALU_DEP_3) | instskip(NEXT) | instid1(VALU_DEP_3)
	v_cmp_ne_u32_e32 vcc_lo, 0, v3
	v_cmp_ne_u32_e64 s2, 0, v9
	s_delay_alu instid0(VALU_DEP_1) | instskip(NEXT) | instid1(SALU_CYCLE_1)
	s_and_b32 s2, vcc_lo, s2
	v_cndmask_b32_e64 v3, 0, 1, s2
	s_delay_alu instid0(VALU_DEP_1)
	v_add_nc_u32_e32 v3, v2, v3
; %bb.47:
	s_or_b32 exec_lo, exec_lo, s3
	s_mov_b32 s3, -1
	s_mov_b32 s2, 0
	global_store_b8 v[6:7], v3, off
.LBB7_48:
	s_mov_b32 s23, 0
.LBB7_49:
	s_delay_alu instid0(SALU_CYCLE_1)
	s_and_b32 vcc_lo, exec_lo, s23
	s_cbranch_vccz .LBB7_52
; %bb.50:
	v_cmp_eq_u16_e32 vcc_lo, 29, v8
	s_mov_b32 s2, -1
	s_cbranch_vccz .LBB7_52
; %bb.51:
	v_trunc_f64_e32 v[2:3], v[0:1]
	s_mov_b32 s3, -1
	s_mov_b32 s2, 0
	s_delay_alu instid0(VALU_DEP_1) | instskip(NEXT) | instid1(VALU_DEP_1)
	v_ldexp_f64 v[12:13], v[2:3], 0xffffffe0
	v_floor_f64_e32 v[12:13], v[12:13]
	s_delay_alu instid0(VALU_DEP_1) | instskip(SKIP_1) | instid1(VALU_DEP_2)
	v_fma_f64 v[2:3], 0xc1f00000, v[12:13], v[2:3]
	v_cvt_u32_f64_e32 v13, v[12:13]
	v_cvt_u32_f64_e32 v12, v[2:3]
	global_store_b64 v[6:7], v[12:13], off
.LBB7_52:
	s_mov_b32 s23, 0
.LBB7_53:
	s_delay_alu instid0(SALU_CYCLE_1)
	s_and_b32 vcc_lo, exec_lo, s23
	s_cbranch_vccz .LBB7_69
; %bb.54:
	v_cmp_gt_i16_e32 vcc_lo, 27, v8
	s_mov_b32 s3, -1
	s_cbranch_vccnz .LBB7_60
; %bb.55:
	v_cmp_lt_i16_e32 vcc_lo, 27, v8
	s_cbranch_vccz .LBB7_57
; %bb.56:
	v_cvt_u32_f64_e32 v2, v[0:1]
	s_mov_b32 s3, 0
	global_store_b32 v[6:7], v2, off
.LBB7_57:
	s_and_not1_b32 vcc_lo, exec_lo, s3
	s_cbranch_vccnz .LBB7_59
; %bb.58:
	v_cvt_u32_f64_e32 v2, v[0:1]
	global_store_b16 v[6:7], v2, off
.LBB7_59:
	s_mov_b32 s3, 0
.LBB7_60:
	s_delay_alu instid0(SALU_CYCLE_1)
	s_and_not1_b32 vcc_lo, exec_lo, s3
	s_cbranch_vccnz .LBB7_68
; %bb.61:
	v_cvt_f32_f64_e32 v2, v[0:1]
	v_mov_b32_e32 v9, 0x80
	s_mov_b32 s3, exec_lo
	s_delay_alu instid0(VALU_DEP_2) | instskip(NEXT) | instid1(VALU_DEP_1)
	v_and_b32_e32 v3, 0x7fffffff, v2
	v_cmpx_gt_u32_e32 0x43800000, v3
	s_cbranch_execz .LBB7_67
; %bb.62:
	v_cmp_lt_u32_e32 vcc_lo, 0x3bffffff, v3
	s_mov_b32 s23, 0
                                        ; implicit-def: $vgpr3
	s_and_saveexec_b32 s35, vcc_lo
	s_delay_alu instid0(SALU_CYCLE_1)
	s_xor_b32 s35, exec_lo, s35
	s_cbranch_execz .LBB7_162
; %bb.63:
	v_bfe_u32 v3, v2, 20, 1
	s_mov_b32 s23, exec_lo
	s_delay_alu instid0(VALU_DEP_1) | instskip(NEXT) | instid1(VALU_DEP_1)
	v_add3_u32 v3, v2, v3, 0x487ffff
	v_lshrrev_b32_e32 v3, 20, v3
	s_or_saveexec_b32 s35, s35
                                        ; implicit-def: $sgpr36
	s_delay_alu instid0(SALU_CYCLE_1)
	s_xor_b32 exec_lo, exec_lo, s35
	s_cbranch_execnz .LBB7_163
.LBB7_64:
	s_or_b32 exec_lo, exec_lo, s35
	v_mov_b32_e32 v9, s36
	s_and_saveexec_b32 s35, s23
.LBB7_65:
	v_lshrrev_b32_e32 v2, 24, v2
	s_delay_alu instid0(VALU_DEP_1)
	v_and_or_b32 v9, 0x80, v2, v3
.LBB7_66:
	s_or_b32 exec_lo, exec_lo, s35
.LBB7_67:
	s_delay_alu instid0(SALU_CYCLE_1)
	s_or_b32 exec_lo, exec_lo, s3
	global_store_b8 v[6:7], v9, off
.LBB7_68:
	s_mov_b32 s3, -1
.LBB7_69:
	s_mov_b32 s23, 0
.LBB7_70:
	s_delay_alu instid0(SALU_CYCLE_1)
	s_and_b32 vcc_lo, exec_lo, s23
	s_cbranch_vccz .LBB7_111
; %bb.71:
	v_cmp_lt_i16_e32 vcc_lo, 22, v8
	s_mov_b32 s23, -1
	s_cbranch_vccz .LBB7_103
; %bb.72:
	v_cmp_gt_i16_e32 vcc_lo, 24, v8
	s_mov_b32 s3, -1
	s_cbranch_vccnz .LBB7_92
; %bb.73:
	v_cmp_lt_i16_e32 vcc_lo, 24, v8
	s_cbranch_vccz .LBB7_81
; %bb.74:
	v_cvt_f32_f64_e32 v2, v[0:1]
	v_mov_b32_e32 v9, 0x80
	s_mov_b32 s3, exec_lo
	s_delay_alu instid0(VALU_DEP_2) | instskip(NEXT) | instid1(VALU_DEP_1)
	v_and_b32_e32 v3, 0x7fffffff, v2
	v_cmpx_gt_u32_e32 0x47800000, v3
	s_cbranch_execz .LBB7_80
; %bb.75:
	v_cmp_lt_u32_e32 vcc_lo, 0x37ffffff, v3
	s_mov_b32 s23, 0
                                        ; implicit-def: $vgpr3
	s_and_saveexec_b32 s35, vcc_lo
	s_delay_alu instid0(SALU_CYCLE_1)
	s_xor_b32 s35, exec_lo, s35
	s_cbranch_execz .LBB7_365
; %bb.76:
	v_bfe_u32 v3, v2, 21, 1
	s_mov_b32 s23, exec_lo
	s_delay_alu instid0(VALU_DEP_1) | instskip(NEXT) | instid1(VALU_DEP_1)
	v_add3_u32 v3, v2, v3, 0x88fffff
	v_lshrrev_b32_e32 v3, 21, v3
	s_or_saveexec_b32 s35, s35
                                        ; implicit-def: $sgpr36
	s_delay_alu instid0(SALU_CYCLE_1)
	s_xor_b32 exec_lo, exec_lo, s35
	s_cbranch_execnz .LBB7_366
.LBB7_77:
	s_or_b32 exec_lo, exec_lo, s35
	v_mov_b32_e32 v9, s36
	s_and_saveexec_b32 s35, s23
.LBB7_78:
	v_lshrrev_b32_e32 v2, 24, v2
	s_delay_alu instid0(VALU_DEP_1)
	v_and_or_b32 v9, 0x80, v2, v3
.LBB7_79:
	s_or_b32 exec_lo, exec_lo, s35
.LBB7_80:
	s_delay_alu instid0(SALU_CYCLE_1)
	s_or_b32 exec_lo, exec_lo, s3
	s_mov_b32 s3, 0
	global_store_b8 v[6:7], v9, off
.LBB7_81:
	s_and_b32 vcc_lo, exec_lo, s3
	s_cbranch_vccz .LBB7_91
; %bb.82:
	v_cvt_f32_f64_e32 v2, v[0:1]
	s_mov_b32 s3, exec_lo
                                        ; implicit-def: $vgpr3
	s_delay_alu instid0(VALU_DEP_1) | instskip(NEXT) | instid1(VALU_DEP_1)
	v_and_b32_e32 v9, 0x7fffffff, v2
	v_cmpx_gt_u32_e32 0x43f00000, v9
	s_xor_b32 s3, exec_lo, s3
	s_cbranch_execz .LBB7_88
; %bb.83:
	s_mov_b32 s23, exec_lo
                                        ; implicit-def: $vgpr3
	v_cmpx_lt_u32_e32 0x3c7fffff, v9
	s_xor_b32 s23, exec_lo, s23
; %bb.84:
	v_bfe_u32 v3, v2, 20, 1
	s_delay_alu instid0(VALU_DEP_1) | instskip(NEXT) | instid1(VALU_DEP_1)
	v_add3_u32 v3, v2, v3, 0x407ffff
	v_and_b32_e32 v9, 0xff00000, v3
	v_lshrrev_b32_e32 v3, 20, v3
	s_delay_alu instid0(VALU_DEP_2) | instskip(NEXT) | instid1(VALU_DEP_2)
	v_cmp_ne_u32_e32 vcc_lo, 0x7f00000, v9
	v_cndmask_b32_e32 v3, 0x7e, v3, vcc_lo
; %bb.85:
	s_and_not1_saveexec_b32 s23, s23
; %bb.86:
	v_add_f32_e64 v3, 0x46800000, |v2|
; %bb.87:
	s_or_b32 exec_lo, exec_lo, s23
                                        ; implicit-def: $vgpr9
.LBB7_88:
	s_and_not1_saveexec_b32 s3, s3
; %bb.89:
	v_mov_b32_e32 v3, 0x7f
	v_cmp_lt_u32_e32 vcc_lo, 0x7f800000, v9
	s_delay_alu instid0(VALU_DEP_2)
	v_cndmask_b32_e32 v3, 0x7e, v3, vcc_lo
; %bb.90:
	s_or_b32 exec_lo, exec_lo, s3
	v_lshrrev_b32_e32 v2, 24, v2
	s_delay_alu instid0(VALU_DEP_1)
	v_and_or_b32 v2, 0x80, v2, v3
	global_store_b8 v[6:7], v2, off
.LBB7_91:
	s_mov_b32 s3, 0
.LBB7_92:
	s_delay_alu instid0(SALU_CYCLE_1)
	s_and_not1_b32 vcc_lo, exec_lo, s3
	s_cbranch_vccnz .LBB7_102
; %bb.93:
	v_cvt_f32_f64_e32 v2, v[0:1]
	s_mov_b32 s3, exec_lo
                                        ; implicit-def: $vgpr3
	s_delay_alu instid0(VALU_DEP_1) | instskip(NEXT) | instid1(VALU_DEP_1)
	v_and_b32_e32 v9, 0x7fffffff, v2
	v_cmpx_gt_u32_e32 0x47800000, v9
	s_xor_b32 s3, exec_lo, s3
	s_cbranch_execz .LBB7_99
; %bb.94:
	s_mov_b32 s23, exec_lo
                                        ; implicit-def: $vgpr3
	v_cmpx_lt_u32_e32 0x387fffff, v9
	s_xor_b32 s23, exec_lo, s23
; %bb.95:
	v_bfe_u32 v3, v2, 21, 1
	s_delay_alu instid0(VALU_DEP_1) | instskip(NEXT) | instid1(VALU_DEP_1)
	v_add3_u32 v3, v2, v3, 0x80fffff
	v_lshrrev_b32_e32 v3, 21, v3
; %bb.96:
	s_and_not1_saveexec_b32 s23, s23
; %bb.97:
	v_add_f32_e64 v3, 0x43000000, |v2|
; %bb.98:
	s_or_b32 exec_lo, exec_lo, s23
                                        ; implicit-def: $vgpr9
.LBB7_99:
	s_and_not1_saveexec_b32 s3, s3
; %bb.100:
	v_mov_b32_e32 v3, 0x7f
	v_cmp_lt_u32_e32 vcc_lo, 0x7f800000, v9
	s_delay_alu instid0(VALU_DEP_2)
	v_cndmask_b32_e32 v3, 0x7c, v3, vcc_lo
; %bb.101:
	s_or_b32 exec_lo, exec_lo, s3
	v_lshrrev_b32_e32 v2, 24, v2
	s_delay_alu instid0(VALU_DEP_1)
	v_and_or_b32 v2, 0x80, v2, v3
	global_store_b8 v[6:7], v2, off
.LBB7_102:
	s_mov_b32 s23, 0
	s_mov_b32 s3, -1
.LBB7_103:
	s_and_not1_b32 vcc_lo, exec_lo, s23
	s_cbranch_vccnz .LBB7_111
; %bb.104:
	v_cmp_lt_i16_e32 vcc_lo, 14, v8
	s_mov_b32 s23, -1
	s_cbranch_vccz .LBB7_108
; %bb.105:
	v_cmp_eq_u16_e32 vcc_lo, 15, v8
	s_mov_b32 s2, -1
	s_cbranch_vccz .LBB7_107
; %bb.106:
	v_cvt_f32_f64_e32 v2, v[0:1]
	s_mov_b32 s3, -1
	s_mov_b32 s2, 0
	s_delay_alu instid0(VALU_DEP_1) | instskip(SKIP_1) | instid1(VALU_DEP_2)
	v_bfe_u32 v3, v2, 16, 1
	v_cmp_o_f32_e32 vcc_lo, v2, v2
	v_add3_u32 v3, v2, v3, 0x7fff
	s_delay_alu instid0(VALU_DEP_1) | instskip(NEXT) | instid1(VALU_DEP_1)
	v_lshrrev_b32_e32 v3, 16, v3
	v_cndmask_b32_e32 v2, 0x7fc0, v3, vcc_lo
	global_store_b16 v[6:7], v2, off
.LBB7_107:
	s_mov_b32 s23, 0
.LBB7_108:
	s_delay_alu instid0(SALU_CYCLE_1)
	s_and_b32 vcc_lo, exec_lo, s23
	s_cbranch_vccz .LBB7_111
; %bb.109:
	v_cmp_eq_u16_e32 vcc_lo, 11, v8
	s_mov_b32 s2, -1
	s_cbranch_vccz .LBB7_111
; %bb.110:
	v_cmp_neq_f64_e32 vcc_lo, 0, v[0:1]
	s_mov_b32 s3, -1
	s_mov_b32 s2, 0
	v_cndmask_b32_e64 v2, 0, 1, vcc_lo
	global_store_b8 v[6:7], v2, off
.LBB7_111:
.LBB7_112:
	s_and_not1_b32 vcc_lo, exec_lo, s3
	s_cbranch_vccz .LBB7_152
	s_branch .LBB7_273
.LBB7_113:
	s_and_b32 vcc_lo, exec_lo, s23
	s_cbranch_vccz .LBB7_112
; %bb.114:
	v_cmp_gt_i16_e32 vcc_lo, 5, v8
	s_mov_b32 s3, -1
	s_cbranch_vccnz .LBB7_135
; %bb.115:
	v_cmp_gt_i16_e32 vcc_lo, 8, v8
	s_cbranch_vccnz .LBB7_125
; %bb.116:
	v_cmp_gt_i16_e32 vcc_lo, 9, v8
	s_cbranch_vccnz .LBB7_122
; %bb.117:
	v_cmp_lt_i16_e32 vcc_lo, 9, v8
	s_cbranch_vccz .LBB7_119
; %bb.118:
	v_mov_b32_e32 v2, 0
	s_mov_b32 s3, 0
	s_delay_alu instid0(VALU_DEP_1)
	v_mov_b32_e32 v3, v2
	global_store_b128 v[6:7], v[0:3], off
.LBB7_119:
	s_and_not1_b32 vcc_lo, exec_lo, s3
	s_cbranch_vccnz .LBB7_121
; %bb.120:
	v_cvt_f32_f64_e32 v2, v[0:1]
	v_mov_b32_e32 v3, 0
	global_store_b64 v[6:7], v[2:3], off
.LBB7_121:
	s_mov_b32 s3, 0
.LBB7_122:
	s_delay_alu instid0(SALU_CYCLE_1)
	s_and_not1_b32 vcc_lo, exec_lo, s3
	s_cbranch_vccnz .LBB7_124
; %bb.123:
	v_cvt_f32_f64_e32 v2, v[0:1]
	s_delay_alu instid0(VALU_DEP_1) | instskip(NEXT) | instid1(VALU_DEP_1)
	v_cvt_f16_f32_e32 v2, v2
	v_and_b32_e32 v2, 0xffff, v2
	global_store_b32 v[6:7], v2, off
.LBB7_124:
	s_mov_b32 s3, 0
.LBB7_125:
	s_delay_alu instid0(SALU_CYCLE_1)
	s_and_not1_b32 vcc_lo, exec_lo, s3
	s_cbranch_vccnz .LBB7_134
; %bb.126:
	v_cmp_gt_i16_e32 vcc_lo, 6, v8
	s_mov_b32 s3, -1
	s_cbranch_vccnz .LBB7_132
; %bb.127:
	v_cmp_lt_i16_e32 vcc_lo, 6, v8
	s_cbranch_vccz .LBB7_129
; %bb.128:
	s_mov_b32 s3, 0
	global_store_b64 v[6:7], v[0:1], off
.LBB7_129:
	s_and_not1_b32 vcc_lo, exec_lo, s3
	s_cbranch_vccnz .LBB7_131
; %bb.130:
	v_cvt_f32_f64_e32 v2, v[0:1]
	global_store_b32 v[6:7], v2, off
.LBB7_131:
	s_mov_b32 s3, 0
.LBB7_132:
	s_delay_alu instid0(SALU_CYCLE_1)
	s_and_not1_b32 vcc_lo, exec_lo, s3
	s_cbranch_vccnz .LBB7_134
; %bb.133:
	v_cvt_f32_f64_e32 v2, v[0:1]
	s_delay_alu instid0(VALU_DEP_1)
	v_cvt_f16_f32_e32 v2, v2
	global_store_b16 v[6:7], v2, off
.LBB7_134:
	s_mov_b32 s3, 0
.LBB7_135:
	s_delay_alu instid0(SALU_CYCLE_1)
	s_and_not1_b32 vcc_lo, exec_lo, s3
	s_cbranch_vccnz .LBB7_151
; %bb.136:
	v_cmp_gt_i16_e32 vcc_lo, 2, v8
	s_mov_b32 s3, -1
	s_cbranch_vccnz .LBB7_146
; %bb.137:
	v_cmp_gt_i16_e32 vcc_lo, 3, v8
	s_cbranch_vccnz .LBB7_143
; %bb.138:
	v_cmp_lt_i16_e32 vcc_lo, 3, v8
	s_cbranch_vccz .LBB7_140
; %bb.139:
	v_trunc_f64_e32 v[2:3], v[0:1]
	s_mov_b32 s3, 0
	s_delay_alu instid0(VALU_DEP_1) | instskip(NEXT) | instid1(VALU_DEP_1)
	v_ldexp_f64 v[12:13], v[2:3], 0xffffffe0
	v_floor_f64_e32 v[12:13], v[12:13]
	s_delay_alu instid0(VALU_DEP_1) | instskip(SKIP_1) | instid1(VALU_DEP_2)
	v_fma_f64 v[2:3], 0xc1f00000, v[12:13], v[2:3]
	v_cvt_i32_f64_e32 v13, v[12:13]
	v_cvt_u32_f64_e32 v12, v[2:3]
	global_store_b64 v[6:7], v[12:13], off
.LBB7_140:
	s_and_not1_b32 vcc_lo, exec_lo, s3
	s_cbranch_vccnz .LBB7_142
; %bb.141:
	v_cvt_i32_f64_e32 v2, v[0:1]
	global_store_b32 v[6:7], v2, off
.LBB7_142:
	s_mov_b32 s3, 0
.LBB7_143:
	s_delay_alu instid0(SALU_CYCLE_1)
	s_and_not1_b32 vcc_lo, exec_lo, s3
	s_cbranch_vccnz .LBB7_145
; %bb.144:
	v_cvt_i32_f64_e32 v2, v[0:1]
	global_store_b16 v[6:7], v2, off
.LBB7_145:
	s_mov_b32 s3, 0
.LBB7_146:
	s_delay_alu instid0(SALU_CYCLE_1)
	s_and_not1_b32 vcc_lo, exec_lo, s3
	s_cbranch_vccnz .LBB7_151
; %bb.147:
	v_cmp_lt_i16_e32 vcc_lo, 0, v8
	s_mov_b32 s3, -1
	s_cbranch_vccz .LBB7_149
; %bb.148:
	v_cvt_i32_f64_e32 v2, v[0:1]
	s_mov_b32 s3, 0
	global_store_b8 v[6:7], v2, off
.LBB7_149:
	s_and_not1_b32 vcc_lo, exec_lo, s3
	s_cbranch_vccnz .LBB7_151
; %bb.150:
	v_trunc_f64_e32 v[0:1], v[0:1]
	s_delay_alu instid0(VALU_DEP_1) | instskip(NEXT) | instid1(VALU_DEP_1)
	v_ldexp_f64 v[2:3], v[0:1], 0xffffffe0
	v_floor_f64_e32 v[2:3], v[2:3]
	s_delay_alu instid0(VALU_DEP_1) | instskip(NEXT) | instid1(VALU_DEP_1)
	v_fma_f64 v[0:1], 0xc1f00000, v[2:3], v[0:1]
	v_cvt_u32_f64_e32 v0, v[0:1]
	global_store_b8 v[6:7], v0, off
.LBB7_151:
.LBB7_152:
	v_add_nc_u32_e32 v11, 0x80, v11
	s_mov_b32 s3, -1
	s_branch .LBB7_274
.LBB7_153:
	s_mov_b32 s2, 0
                                        ; implicit-def: $vgpr6_vgpr7
	s_cbranch_execnz .LBB7_192
	s_branch .LBB7_224
.LBB7_154:
	s_mov_b32 s3, -1
	s_mov_b32 s2, 0
                                        ; implicit-def: $vgpr6_vgpr7
	s_branch .LBB7_171
.LBB7_155:
	s_mov_b32 s3, -1
	s_mov_b32 s2, 0
                                        ; implicit-def: $vgpr6_vgpr7
	s_branch .LBB7_166
.LBB7_156:
	s_mov_b32 s3, -1
	s_branch .LBB7_158
.LBB7_157:
	s_mov_b32 s22, -1
.LBB7_158:
	s_mov_b32 s2, 0
                                        ; implicit-def: $vgpr6_vgpr7
.LBB7_159:
	s_and_b32 vcc_lo, exec_lo, s3
	s_cbranch_vccz .LBB7_165
; %bb.160:
	v_cmp_eq_u16_e32 vcc_lo, 44, v10
	s_cbranch_vccz .LBB7_164
; %bb.161:
	global_load_u8 v3, v[0:1], off
	s_mov_b32 s22, 0
	s_mov_b32 s2, -1
	s_waitcnt vmcnt(0)
	v_lshlrev_b32_e32 v6, 23, v3
	v_cmp_ne_u32_e32 vcc_lo, 0xff, v3
	s_delay_alu instid0(VALU_DEP_2) | instskip(NEXT) | instid1(VALU_DEP_1)
	v_cvt_f64_f32_e32 v[6:7], v6
	v_cndmask_b32_e32 v6, 0x20000000, v6, vcc_lo
	s_delay_alu instid0(VALU_DEP_2) | instskip(SKIP_1) | instid1(VALU_DEP_2)
	v_cndmask_b32_e32 v7, 0x7ff80000, v7, vcc_lo
	v_cmp_ne_u32_e32 vcc_lo, 0, v3
	v_cndmask_b32_e32 v7, 0x38000000, v7, vcc_lo
	s_delay_alu instid0(VALU_DEP_4)
	v_cndmask_b32_e32 v6, 0, v6, vcc_lo
	s_branch .LBB7_165
.LBB7_162:
	s_or_saveexec_b32 s35, s35
                                        ; implicit-def: $sgpr36
	s_delay_alu instid0(SALU_CYCLE_1)
	s_xor_b32 exec_lo, exec_lo, s35
	s_cbranch_execz .LBB7_64
.LBB7_163:
	v_add_f32_e64 v3, 0x46000000, |v2|
	s_and_not1_b32 s23, s23, exec_lo
	s_mov_b32 s36, 0
	s_delay_alu instid0(VALU_DEP_1) | instskip(NEXT) | instid1(VALU_DEP_1)
	v_and_b32_e32 v3, 0xff, v3
	v_cmp_ne_u32_e32 vcc_lo, 0, v3
	s_and_b32 s39, vcc_lo, exec_lo
	s_delay_alu instid0(SALU_CYCLE_1)
	s_or_b32 s23, s23, s39
	s_or_b32 exec_lo, exec_lo, s35
	v_mov_b32_e32 v9, s36
	s_and_saveexec_b32 s35, s23
	s_cbranch_execnz .LBB7_65
	s_branch .LBB7_66
.LBB7_164:
	s_mov_b32 s22, -1
                                        ; implicit-def: $vgpr6_vgpr7
.LBB7_165:
	s_mov_b32 s3, 0
.LBB7_166:
	s_delay_alu instid0(SALU_CYCLE_1)
	s_and_b32 vcc_lo, exec_lo, s3
	s_cbranch_vccz .LBB7_170
; %bb.167:
	v_cmp_eq_u16_e32 vcc_lo, 29, v10
	s_cbranch_vccz .LBB7_169
; %bb.168:
	global_load_b64 v[6:7], v[0:1], off
	s_mov_b32 s2, -1
	s_mov_b32 s22, 0
	s_mov_b32 s3, 0
	s_waitcnt vmcnt(0)
	v_cvt_f64_u32_e32 v[7:8], v7
	v_cvt_f64_u32_e32 v[12:13], v6
	s_delay_alu instid0(VALU_DEP_2) | instskip(NEXT) | instid1(VALU_DEP_1)
	v_ldexp_f64 v[7:8], v[7:8], 32
	v_add_f64 v[6:7], v[7:8], v[12:13]
	s_branch .LBB7_171
.LBB7_169:
	s_mov_b32 s22, -1
                                        ; implicit-def: $vgpr6_vgpr7
.LBB7_170:
	s_mov_b32 s3, 0
.LBB7_171:
	s_delay_alu instid0(SALU_CYCLE_1)
	s_and_b32 vcc_lo, exec_lo, s3
	s_cbranch_vccz .LBB7_191
; %bb.172:
	v_cmp_gt_i16_e32 vcc_lo, 27, v10
	s_cbranch_vccnz .LBB7_175
; %bb.173:
	v_cmp_lt_i16_e32 vcc_lo, 27, v10
	s_cbranch_vccz .LBB7_176
; %bb.174:
	global_load_b32 v3, v[0:1], off
	s_mov_b32 s2, 0
	s_waitcnt vmcnt(0)
	v_cvt_f64_u32_e32 v[6:7], v3
	s_branch .LBB7_177
.LBB7_175:
	s_mov_b32 s2, -1
                                        ; implicit-def: $vgpr6_vgpr7
	s_branch .LBB7_180
.LBB7_176:
	s_mov_b32 s2, -1
                                        ; implicit-def: $vgpr6_vgpr7
.LBB7_177:
	s_delay_alu instid0(SALU_CYCLE_1)
	s_and_not1_b32 vcc_lo, exec_lo, s2
	s_cbranch_vccnz .LBB7_179
; %bb.178:
	global_load_u16 v3, v[0:1], off
	s_waitcnt vmcnt(0)
	v_cvt_f64_u32_e32 v[6:7], v3
.LBB7_179:
	s_mov_b32 s2, 0
.LBB7_180:
	s_delay_alu instid0(SALU_CYCLE_1)
	s_and_not1_b32 vcc_lo, exec_lo, s2
	s_cbranch_vccnz .LBB7_190
; %bb.181:
	global_load_u8 v3, v[0:1], off
	s_mov_b32 s23, 0
	s_mov_b32 s35, exec_lo
                                        ; implicit-def: $sgpr2_sgpr3
	s_waitcnt vmcnt(0)
	v_cmpx_lt_i16_e32 0x7f, v3
	s_xor_b32 s35, exec_lo, s35
	s_cbranch_execz .LBB7_185
; %bb.182:
	s_mov_b32 s36, -1
	s_mov_b32 s23, exec_lo
                                        ; implicit-def: $sgpr2_sgpr3
	v_cmpx_eq_u16_e32 0x80, v3
; %bb.183:
	s_mov_b32 s3, 0x7ff80000
	s_brev_b32 s2, 4
	s_xor_b32 s36, exec_lo, -1
; %bb.184:
	s_or_b32 exec_lo, exec_lo, s23
	s_delay_alu instid0(SALU_CYCLE_1)
	s_and_b32 s23, s36, exec_lo
.LBB7_185:
	s_or_saveexec_b32 s35, s35
	v_dual_mov_b32 v7, s3 :: v_dual_mov_b32 v6, s2
	s_xor_b32 exec_lo, exec_lo, s35
; %bb.186:
	v_cmp_ne_u16_e32 vcc_lo, 0, v3
	v_mov_b32_e32 v6, 0
	v_mov_b32_e32 v7, 0
	s_and_not1_b32 s2, s23, exec_lo
	s_and_b32 s3, vcc_lo, exec_lo
	s_delay_alu instid0(SALU_CYCLE_1)
	s_or_b32 s23, s2, s3
; %bb.187:
	s_or_b32 exec_lo, exec_lo, s35
	s_and_saveexec_b32 s2, s23
	s_cbranch_execz .LBB7_189
; %bb.188:
	v_and_b32_e32 v6, 0xffff, v3
	v_lshlrev_b32_e32 v3, 24, v3
	s_delay_alu instid0(VALU_DEP_2) | instskip(NEXT) | instid1(VALU_DEP_2)
	v_and_b32_e32 v7, 7, v6
	v_and_b32_e32 v3, 0x80000000, v3
	s_delay_alu instid0(VALU_DEP_2) | instskip(NEXT) | instid1(VALU_DEP_1)
	v_clz_i32_u32_e32 v8, v7
	v_min_u32_e32 v8, 32, v8
	s_delay_alu instid0(VALU_DEP_1) | instskip(SKIP_1) | instid1(VALU_DEP_2)
	v_subrev_nc_u32_e32 v9, 28, v8
	v_sub_nc_u32_e32 v8, 29, v8
	v_lshlrev_b32_e32 v9, v9, v6
	v_bfe_u32 v6, v6, 3, 4
	s_delay_alu instid0(VALU_DEP_2) | instskip(NEXT) | instid1(VALU_DEP_2)
	v_and_b32_e32 v9, 7, v9
	v_cmp_eq_u32_e32 vcc_lo, 0, v6
	s_delay_alu instid0(VALU_DEP_2) | instskip(NEXT) | instid1(VALU_DEP_1)
	v_dual_cndmask_b32 v6, v6, v8 :: v_dual_cndmask_b32 v7, v7, v9
	v_lshl_add_u32 v6, v6, 23, 0x3b800000
	s_delay_alu instid0(VALU_DEP_2) | instskip(NEXT) | instid1(VALU_DEP_1)
	v_lshlrev_b32_e32 v7, 20, v7
	v_or3_b32 v3, v3, v6, v7
	s_delay_alu instid0(VALU_DEP_1)
	v_cvt_f64_f32_e32 v[6:7], v3
.LBB7_189:
	s_or_b32 exec_lo, exec_lo, s2
.LBB7_190:
	s_mov_b32 s2, -1
.LBB7_191:
	s_branch .LBB7_224
.LBB7_192:
	v_cmp_lt_i16_e32 vcc_lo, 22, v10
	s_cbranch_vccz .LBB7_204
; %bb.193:
	v_cmp_gt_i16_e32 vcc_lo, 24, v10
	s_cbranch_vccnz .LBB7_205
; %bb.194:
	v_cmp_lt_i16_e32 vcc_lo, 24, v10
	s_cbranch_vccz .LBB7_206
; %bb.195:
	global_load_u8 v3, v[0:1], off
	s_mov_b32 s23, 0
	s_mov_b32 s35, exec_lo
                                        ; implicit-def: $sgpr2_sgpr3
	s_waitcnt vmcnt(0)
	v_cmpx_lt_i16_e32 0x7f, v3
	s_xor_b32 s35, exec_lo, s35
	s_cbranch_execz .LBB7_199
; %bb.196:
	s_mov_b32 s36, -1
	s_mov_b32 s23, exec_lo
                                        ; implicit-def: $sgpr2_sgpr3
	v_cmpx_eq_u16_e32 0x80, v3
; %bb.197:
	s_mov_b32 s3, 0x7ff80000
	s_brev_b32 s2, 4
	s_xor_b32 s36, exec_lo, -1
; %bb.198:
	s_or_b32 exec_lo, exec_lo, s23
	s_delay_alu instid0(SALU_CYCLE_1)
	s_and_b32 s23, s36, exec_lo
.LBB7_199:
	s_or_saveexec_b32 s35, s35
	v_dual_mov_b32 v7, s3 :: v_dual_mov_b32 v6, s2
	s_xor_b32 exec_lo, exec_lo, s35
; %bb.200:
	v_cmp_ne_u16_e32 vcc_lo, 0, v3
	v_mov_b32_e32 v6, 0
	v_mov_b32_e32 v7, 0
	s_and_not1_b32 s2, s23, exec_lo
	s_and_b32 s3, vcc_lo, exec_lo
	s_delay_alu instid0(SALU_CYCLE_1)
	s_or_b32 s23, s2, s3
; %bb.201:
	s_or_b32 exec_lo, exec_lo, s35
	s_and_saveexec_b32 s2, s23
	s_cbranch_execz .LBB7_203
; %bb.202:
	v_and_b32_e32 v6, 0xffff, v3
	v_lshlrev_b32_e32 v3, 24, v3
	s_delay_alu instid0(VALU_DEP_2) | instskip(NEXT) | instid1(VALU_DEP_2)
	v_and_b32_e32 v7, 3, v6
	v_and_b32_e32 v3, 0x80000000, v3
	s_delay_alu instid0(VALU_DEP_2) | instskip(NEXT) | instid1(VALU_DEP_1)
	v_clz_i32_u32_e32 v8, v7
	v_min_u32_e32 v8, 32, v8
	s_delay_alu instid0(VALU_DEP_1) | instskip(SKIP_1) | instid1(VALU_DEP_2)
	v_subrev_nc_u32_e32 v9, 29, v8
	v_sub_nc_u32_e32 v8, 30, v8
	v_lshlrev_b32_e32 v9, v9, v6
	v_bfe_u32 v6, v6, 2, 5
	s_delay_alu instid0(VALU_DEP_2) | instskip(NEXT) | instid1(VALU_DEP_2)
	v_and_b32_e32 v9, 3, v9
	v_cmp_eq_u32_e32 vcc_lo, 0, v6
	s_delay_alu instid0(VALU_DEP_2) | instskip(NEXT) | instid1(VALU_DEP_1)
	v_dual_cndmask_b32 v6, v6, v8 :: v_dual_cndmask_b32 v7, v7, v9
	v_lshl_add_u32 v6, v6, 23, 0x37800000
	s_delay_alu instid0(VALU_DEP_2) | instskip(NEXT) | instid1(VALU_DEP_1)
	v_lshlrev_b32_e32 v7, 21, v7
	v_or3_b32 v3, v3, v6, v7
	s_delay_alu instid0(VALU_DEP_1)
	v_cvt_f64_f32_e32 v[6:7], v3
.LBB7_203:
	s_or_b32 exec_lo, exec_lo, s2
	s_mov_b32 s2, 0
	s_branch .LBB7_207
.LBB7_204:
	s_mov_b32 s3, -1
                                        ; implicit-def: $vgpr6_vgpr7
	s_branch .LBB7_213
.LBB7_205:
	s_mov_b32 s2, -1
                                        ; implicit-def: $vgpr6_vgpr7
	s_branch .LBB7_210
.LBB7_206:
	s_mov_b32 s2, -1
                                        ; implicit-def: $vgpr6_vgpr7
.LBB7_207:
	s_delay_alu instid0(SALU_CYCLE_1)
	s_and_b32 vcc_lo, exec_lo, s2
	s_cbranch_vccz .LBB7_209
; %bb.208:
	global_load_u8 v3, v[0:1], off
	s_waitcnt vmcnt(0)
	v_lshlrev_b32_e32 v3, 24, v3
	s_delay_alu instid0(VALU_DEP_1) | instskip(NEXT) | instid1(VALU_DEP_1)
	v_and_b32_e32 v6, 0x7f000000, v3
	v_clz_i32_u32_e32 v7, v6
	v_cmp_ne_u32_e32 vcc_lo, 0, v6
	v_add_nc_u32_e32 v9, 0x1000000, v6
	s_delay_alu instid0(VALU_DEP_3) | instskip(NEXT) | instid1(VALU_DEP_1)
	v_min_u32_e32 v7, 32, v7
	v_sub_nc_u32_e64 v7, v7, 4 clamp
	s_delay_alu instid0(VALU_DEP_1) | instskip(SKIP_1) | instid1(VALU_DEP_2)
	v_lshlrev_b32_e32 v8, v7, v6
	v_lshlrev_b32_e32 v7, 23, v7
	v_lshrrev_b32_e32 v8, 4, v8
	s_delay_alu instid0(VALU_DEP_1) | instskip(SKIP_1) | instid1(VALU_DEP_2)
	v_sub_nc_u32_e32 v7, v8, v7
	v_ashrrev_i32_e32 v8, 8, v9
	v_add_nc_u32_e32 v7, 0x3c000000, v7
	s_delay_alu instid0(VALU_DEP_1) | instskip(NEXT) | instid1(VALU_DEP_1)
	v_and_or_b32 v7, 0x7f800000, v8, v7
	v_cndmask_b32_e32 v6, 0, v7, vcc_lo
	s_delay_alu instid0(VALU_DEP_1) | instskip(NEXT) | instid1(VALU_DEP_1)
	v_and_or_b32 v3, 0x80000000, v3, v6
	v_cvt_f64_f32_e32 v[6:7], v3
.LBB7_209:
	s_mov_b32 s2, 0
.LBB7_210:
	s_delay_alu instid0(SALU_CYCLE_1)
	s_and_not1_b32 vcc_lo, exec_lo, s2
	s_cbranch_vccnz .LBB7_212
; %bb.211:
	global_load_u8 v3, v[0:1], off
	s_waitcnt vmcnt(0)
	v_lshlrev_b32_e32 v6, 25, v3
	v_lshlrev_b16 v3, 8, v3
	s_delay_alu instid0(VALU_DEP_2) | instskip(NEXT) | instid1(VALU_DEP_2)
	v_lshrrev_b32_e32 v7, 4, v6
	v_and_or_b32 v8, 0x7f00, v3, 0.5
	v_cmp_gt_u32_e32 vcc_lo, 0x8000000, v6
	v_bfe_i32 v3, v3, 0, 16
	s_delay_alu instid0(VALU_DEP_4) | instskip(NEXT) | instid1(VALU_DEP_1)
	v_or_b32_e32 v7, 0x70000000, v7
	v_dual_add_f32 v8, -0.5, v8 :: v_dual_mul_f32 v7, 0x7800000, v7
	s_delay_alu instid0(VALU_DEP_1) | instskip(NEXT) | instid1(VALU_DEP_1)
	v_cndmask_b32_e32 v6, v7, v8, vcc_lo
	v_and_or_b32 v3, 0x80000000, v3, v6
	s_delay_alu instid0(VALU_DEP_1)
	v_cvt_f64_f32_e32 v[6:7], v3
.LBB7_212:
	s_mov_b32 s3, 0
	s_mov_b32 s2, -1
.LBB7_213:
	s_and_not1_b32 vcc_lo, exec_lo, s3
	s_cbranch_vccnz .LBB7_224
; %bb.214:
	v_cmp_lt_i16_e32 vcc_lo, 14, v10
	s_cbranch_vccz .LBB7_217
; %bb.215:
	v_cmp_eq_u16_e32 vcc_lo, 15, v10
	s_cbranch_vccz .LBB7_218
; %bb.216:
	global_load_u16 v3, v[0:1], off
	s_mov_b32 s2, -1
	s_mov_b32 s22, 0
	s_waitcnt vmcnt(0)
	v_lshlrev_b32_e32 v3, 16, v3
	s_delay_alu instid0(VALU_DEP_1)
	v_cvt_f64_f32_e32 v[6:7], v3
	s_branch .LBB7_219
.LBB7_217:
	s_mov_b32 s3, -1
                                        ; implicit-def: $vgpr6_vgpr7
	s_branch .LBB7_220
.LBB7_218:
	s_mov_b32 s22, -1
                                        ; implicit-def: $vgpr6_vgpr7
.LBB7_219:
	s_mov_b32 s3, 0
.LBB7_220:
	s_delay_alu instid0(SALU_CYCLE_1)
	s_and_b32 vcc_lo, exec_lo, s3
	s_cbranch_vccz .LBB7_224
; %bb.221:
	v_cmp_eq_u16_e32 vcc_lo, 11, v10
	s_cbranch_vccz .LBB7_223
; %bb.222:
	global_load_u8 v3, v[0:1], off
	v_mov_b32_e32 v6, 0
	s_mov_b32 s22, 0
	s_mov_b32 s2, -1
	s_waitcnt vmcnt(0)
	v_cmp_ne_u16_e32 vcc_lo, 0, v3
	v_cndmask_b32_e64 v7, 0, 0x3ff00000, vcc_lo
	s_branch .LBB7_224
.LBB7_223:
	s_mov_b32 s22, -1
                                        ; implicit-def: $vgpr6_vgpr7
.LBB7_224:
	s_branch .LBB7_23
.LBB7_225:
	v_cmp_gt_i16_e32 vcc_lo, 5, v10
	s_cbranch_vccnz .LBB7_230
; %bb.226:
	v_cmp_gt_i16_e32 vcc_lo, 8, v10
	s_cbranch_vccnz .LBB7_231
; %bb.227:
	v_cmp_gt_i16_e32 vcc_lo, 9, v10
	s_cbranch_vccnz .LBB7_232
; %bb.228:
	v_cmp_lt_i16_e32 vcc_lo, 9, v10
	s_cbranch_vccz .LBB7_233
; %bb.229:
	global_load_b64 v[6:7], v[0:1], off
	s_mov_b32 s2, 0
	s_branch .LBB7_234
.LBB7_230:
                                        ; implicit-def: $vgpr6_vgpr7
	s_branch .LBB7_252
.LBB7_231:
	s_mov_b32 s2, -1
                                        ; implicit-def: $vgpr6_vgpr7
	s_branch .LBB7_240
.LBB7_232:
	s_mov_b32 s2, -1
                                        ; implicit-def: $vgpr6_vgpr7
	s_branch .LBB7_237
.LBB7_233:
	s_mov_b32 s2, -1
                                        ; implicit-def: $vgpr6_vgpr7
.LBB7_234:
	s_delay_alu instid0(SALU_CYCLE_1)
	s_and_not1_b32 vcc_lo, exec_lo, s2
	s_cbranch_vccnz .LBB7_236
; %bb.235:
	global_load_b32 v3, v[0:1], off
	s_waitcnt vmcnt(0)
	v_cvt_f64_f32_e32 v[6:7], v3
.LBB7_236:
	s_mov_b32 s2, 0
.LBB7_237:
	s_delay_alu instid0(SALU_CYCLE_1)
	s_and_not1_b32 vcc_lo, exec_lo, s2
	s_cbranch_vccnz .LBB7_239
; %bb.238:
	global_load_b32 v3, v[0:1], off
	s_waitcnt vmcnt(0)
	v_cvt_f32_f16_e32 v3, v3
	s_delay_alu instid0(VALU_DEP_1)
	v_cvt_f64_f32_e32 v[6:7], v3
.LBB7_239:
	s_mov_b32 s2, 0
.LBB7_240:
	s_delay_alu instid0(SALU_CYCLE_1)
	s_and_not1_b32 vcc_lo, exec_lo, s2
	s_cbranch_vccnz .LBB7_251
; %bb.241:
	v_cmp_gt_i16_e32 vcc_lo, 6, v10
	s_cbranch_vccnz .LBB7_244
; %bb.242:
	v_cmp_lt_i16_e32 vcc_lo, 6, v10
	s_cbranch_vccz .LBB7_245
; %bb.243:
	global_load_b64 v[6:7], v[0:1], off
	s_mov_b32 s2, 0
	s_branch .LBB7_246
.LBB7_244:
	s_mov_b32 s2, -1
                                        ; implicit-def: $vgpr6_vgpr7
	s_branch .LBB7_249
.LBB7_245:
	s_mov_b32 s2, -1
                                        ; implicit-def: $vgpr6_vgpr7
.LBB7_246:
	s_delay_alu instid0(SALU_CYCLE_1)
	s_and_not1_b32 vcc_lo, exec_lo, s2
	s_cbranch_vccnz .LBB7_248
; %bb.247:
	global_load_b32 v3, v[0:1], off
	s_waitcnt vmcnt(0)
	v_cvt_f64_f32_e32 v[6:7], v3
.LBB7_248:
	s_mov_b32 s2, 0
.LBB7_249:
	s_delay_alu instid0(SALU_CYCLE_1)
	s_and_not1_b32 vcc_lo, exec_lo, s2
	s_cbranch_vccnz .LBB7_251
; %bb.250:
	global_load_u16 v3, v[0:1], off
	s_waitcnt vmcnt(0)
	v_cvt_f32_f16_e32 v3, v3
	s_delay_alu instid0(VALU_DEP_1)
	v_cvt_f64_f32_e32 v[6:7], v3
.LBB7_251:
	s_cbranch_execnz .LBB7_271
.LBB7_252:
	v_cmp_gt_i16_e32 vcc_lo, 2, v10
	s_cbranch_vccnz .LBB7_256
; %bb.253:
	v_cmp_gt_i16_e32 vcc_lo, 3, v10
	s_cbranch_vccnz .LBB7_257
; %bb.254:
	v_cmp_lt_i16_e32 vcc_lo, 3, v10
	s_cbranch_vccz .LBB7_258
; %bb.255:
	global_load_b64 v[6:7], v[0:1], off
	s_mov_b32 s2, 0
	s_waitcnt vmcnt(0)
	v_cvt_f64_i32_e32 v[7:8], v7
	v_cvt_f64_u32_e32 v[12:13], v6
	s_delay_alu instid0(VALU_DEP_2) | instskip(NEXT) | instid1(VALU_DEP_1)
	v_ldexp_f64 v[7:8], v[7:8], 32
	v_add_f64 v[6:7], v[7:8], v[12:13]
	s_branch .LBB7_259
.LBB7_256:
	s_mov_b32 s2, -1
                                        ; implicit-def: $vgpr6_vgpr7
	s_branch .LBB7_265
.LBB7_257:
	s_mov_b32 s2, -1
                                        ; implicit-def: $vgpr6_vgpr7
	s_branch .LBB7_262
.LBB7_258:
	s_mov_b32 s2, -1
                                        ; implicit-def: $vgpr6_vgpr7
.LBB7_259:
	s_delay_alu instid0(SALU_CYCLE_1)
	s_and_not1_b32 vcc_lo, exec_lo, s2
	s_cbranch_vccnz .LBB7_261
; %bb.260:
	global_load_b32 v3, v[0:1], off
	s_waitcnt vmcnt(0)
	v_cvt_f64_i32_e32 v[6:7], v3
.LBB7_261:
	s_mov_b32 s2, 0
.LBB7_262:
	s_delay_alu instid0(SALU_CYCLE_1)
	s_and_not1_b32 vcc_lo, exec_lo, s2
	s_cbranch_vccnz .LBB7_264
; %bb.263:
	global_load_i16 v3, v[0:1], off
	s_waitcnt vmcnt(0)
	v_cvt_f64_i32_e32 v[6:7], v3
.LBB7_264:
	s_mov_b32 s2, 0
.LBB7_265:
	s_delay_alu instid0(SALU_CYCLE_1)
	s_and_not1_b32 vcc_lo, exec_lo, s2
	s_cbranch_vccnz .LBB7_271
; %bb.266:
	v_cmp_lt_i16_e32 vcc_lo, 0, v10
	s_mov_b32 s2, 0
	s_cbranch_vccz .LBB7_268
; %bb.267:
	global_load_i8 v3, v[0:1], off
	s_waitcnt vmcnt(0)
	v_cvt_f64_i32_e32 v[6:7], v3
	s_branch .LBB7_269
.LBB7_268:
	s_mov_b32 s2, -1
                                        ; implicit-def: $vgpr6_vgpr7
.LBB7_269:
	s_delay_alu instid0(SALU_CYCLE_1)
	s_and_not1_b32 vcc_lo, exec_lo, s2
	s_cbranch_vccnz .LBB7_271
; %bb.270:
	global_load_u8 v0, v[0:1], off
	s_waitcnt vmcnt(0)
	v_cvt_f64_u32_e32 v[6:7], v0
.LBB7_271:
	s_branch .LBB7_24
.LBB7_272:
	s_mov_b32 s2, 0
.LBB7_273:
	s_mov_b32 s3, 0
                                        ; implicit-def: $vgpr11
.LBB7_274:
	s_and_b32 s35, s2, exec_lo
	s_and_b32 s36, s22, exec_lo
	s_or_not1_b32 s3, s3, exec_lo
.LBB7_275:
	s_or_b32 exec_lo, exec_lo, s37
	s_mov_b32 s22, 0
	s_mov_b32 s2, 0
                                        ; implicit-def: $vgpr0_vgpr1
                                        ; implicit-def: $vgpr2
                                        ; implicit-def: $vgpr8_vgpr9
	s_and_saveexec_b32 s37, s3
	s_cbranch_execz .LBB7_942
; %bb.276:
	s_mov_b32 s2, -1
	s_mov_b32 s38, s36
	s_mov_b32 s39, s35
	s_mov_b32 s40, exec_lo
	v_cmpx_gt_i32_e64 s31, v11
	s_cbranch_execz .LBB7_557
; %bb.277:
	s_and_not1_b32 vcc_lo, exec_lo, s27
	s_cbranch_vccnz .LBB7_282
; %bb.278:
	v_mov_b32_e32 v2, 0
	v_mov_b32_e32 v0, 0
	s_and_not1_b32 vcc_lo, exec_lo, s34
	s_mov_b32 s38, 0
	s_cbranch_vccnz .LBB7_287
; %bb.279:
	v_mov_b32_e32 v2, 0
	s_add_i32 s41, s33, 1
	s_cmp_eq_u32 s25, 2
	s_mov_b32 s39, 0
	s_cbranch_scc1 .LBB7_283
; %bb.280:
	v_dual_mov_b32 v0, 0 :: v_dual_mov_b32 v1, v11
	v_mov_b32_e32 v2, 0
	s_and_b32 s39, s41, 28
	s_mov_b32 s42, 0
	s_mov_b64 s[2:3], s[20:21]
	s_mov_b64 s[22:23], s[16:17]
.LBB7_281:                              ; =>This Inner Loop Header: Depth=1
	s_clause 0x1
	s_load_b256 s[44:51], s[22:23], 0x4
	s_load_b128 s[60:63], s[22:23], 0x24
	s_load_b256 s[52:59], s[2:3], 0x0
	s_add_u32 s22, s22, 48
	s_addc_u32 s23, s23, 0
	s_add_i32 s42, s42, 4
	s_add_u32 s2, s2, 32
	s_addc_u32 s3, s3, 0
	s_cmp_eq_u32 s39, s42
	s_waitcnt lgkmcnt(0)
	v_mul_hi_u32 v3, s45, v1
	s_delay_alu instid0(VALU_DEP_1) | instskip(NEXT) | instid1(VALU_DEP_1)
	v_add_nc_u32_e32 v3, v1, v3
	v_lshrrev_b32_e32 v3, s46, v3
	s_waitcnt vmcnt(0)
	s_delay_alu instid0(VALU_DEP_1) | instskip(SKIP_1) | instid1(VALU_DEP_2)
	v_mul_hi_u32 v6, s48, v3
	v_mul_lo_u32 v8, v3, s44
	v_add_nc_u32_e32 v6, v3, v6
	s_delay_alu instid0(VALU_DEP_2) | instskip(NEXT) | instid1(VALU_DEP_2)
	v_sub_nc_u32_e32 v1, v1, v8
	v_lshrrev_b32_e32 v6, s49, v6
	s_delay_alu instid0(VALU_DEP_2) | instskip(SKIP_1) | instid1(VALU_DEP_3)
	v_mul_lo_u32 v8, v1, s52
	v_mul_lo_u32 v12, v1, s53
	v_mul_hi_u32 v7, s51, v6
	s_delay_alu instid0(VALU_DEP_1) | instskip(NEXT) | instid1(VALU_DEP_1)
	v_add_nc_u32_e32 v7, v6, v7
	v_lshrrev_b32_e32 v7, s60, v7
	s_delay_alu instid0(VALU_DEP_1) | instskip(SKIP_1) | instid1(VALU_DEP_2)
	v_mul_hi_u32 v9, s62, v7
	v_mul_lo_u32 v13, v7, s50
	v_add_nc_u32_e32 v1, v7, v9
	v_mul_lo_u32 v9, v6, s47
	s_delay_alu instid0(VALU_DEP_3) | instskip(NEXT) | instid1(VALU_DEP_3)
	v_sub_nc_u32_e32 v6, v6, v13
	v_lshrrev_b32_e32 v1, s63, v1
	s_delay_alu instid0(VALU_DEP_2) | instskip(SKIP_2) | instid1(VALU_DEP_4)
	v_mul_lo_u32 v13, v6, s56
	v_mul_lo_u32 v6, v6, s57
	v_sub_nc_u32_e32 v3, v3, v9
	v_mul_lo_u32 v14, v1, s61
	s_delay_alu instid0(VALU_DEP_2) | instskip(SKIP_1) | instid1(VALU_DEP_3)
	v_mul_lo_u32 v9, v3, s54
	v_mul_lo_u32 v3, v3, s55
	v_sub_nc_u32_e32 v7, v7, v14
	s_delay_alu instid0(VALU_DEP_3) | instskip(NEXT) | instid1(VALU_DEP_2)
	v_add3_u32 v2, v8, v2, v9
	v_mul_lo_u32 v14, v7, s58
	v_mul_lo_u32 v7, v7, s59
	v_add3_u32 v0, v12, v0, v3
	s_delay_alu instid0(VALU_DEP_3) | instskip(NEXT) | instid1(VALU_DEP_2)
	v_add3_u32 v2, v13, v2, v14
	v_add3_u32 v0, v6, v0, v7
	s_cbranch_scc0 .LBB7_281
	s_branch .LBB7_284
.LBB7_282:
	s_mov_b32 s38, -1
                                        ; implicit-def: $vgpr2
                                        ; implicit-def: $vgpr0
	s_branch .LBB7_287
.LBB7_283:
	v_dual_mov_b32 v1, v11 :: v_dual_mov_b32 v0, 0
.LBB7_284:
	s_and_b32 s41, s41, 3
	s_delay_alu instid0(SALU_CYCLE_1)
	s_cmp_eq_u32 s41, 0
	s_cbranch_scc1 .LBB7_287
; %bb.285:
	s_lshl_b32 s2, s39, 3
	s_mul_i32 s22, s39, 12
	s_add_u32 s2, s2, s16
	s_addc_u32 s3, s17, 0
	s_add_u32 s2, s2, 0xc4
	s_addc_u32 s3, s3, 0
	;; [unrolled: 2-line block ×3, first 2 shown]
	.p2align	6
.LBB7_286:                              ; =>This Inner Loop Header: Depth=1
	s_clause 0x1
	s_load_b64 s[42:43], s[22:23], 0x4
	s_load_b32 s39, s[22:23], 0xc
	s_load_b64 s[44:45], s[2:3], 0x0
	s_add_u32 s22, s22, 12
	s_addc_u32 s23, s23, 0
	s_add_u32 s2, s2, 8
	s_addc_u32 s3, s3, 0
	s_add_i32 s41, s41, -1
	s_delay_alu instid0(SALU_CYCLE_1) | instskip(SKIP_2) | instid1(VALU_DEP_1)
	s_cmp_lg_u32 s41, 0
	s_waitcnt lgkmcnt(0)
	v_mul_hi_u32 v3, s43, v1
	v_add_nc_u32_e32 v3, v1, v3
	s_delay_alu instid0(VALU_DEP_1) | instskip(SKIP_1) | instid1(VALU_DEP_1)
	v_lshrrev_b32_e32 v3, s39, v3
	s_waitcnt vmcnt(0)
	v_mul_lo_u32 v6, v3, s42
	s_delay_alu instid0(VALU_DEP_1) | instskip(NEXT) | instid1(VALU_DEP_1)
	v_sub_nc_u32_e32 v1, v1, v6
	v_mad_u64_u32 v[6:7], null, v1, s44, v[2:3]
	v_mad_u64_u32 v[7:8], null, v1, s45, v[0:1]
	s_delay_alu instid0(VALU_DEP_2) | instskip(NEXT) | instid1(VALU_DEP_2)
	v_dual_mov_b32 v1, v3 :: v_dual_mov_b32 v2, v6
	v_mov_b32_e32 v0, v7
	s_cbranch_scc1 .LBB7_286
.LBB7_287:
	s_and_not1_b32 vcc_lo, exec_lo, s38
	s_cbranch_vccnz .LBB7_290
; %bb.288:
	s_waitcnt lgkmcnt(0)
	v_mul_hi_u32 v0, s13, v11
	s_and_not1_b32 vcc_lo, exec_lo, s30
	s_delay_alu instid0(VALU_DEP_1) | instskip(NEXT) | instid1(VALU_DEP_1)
	v_add_nc_u32_e32 v0, v11, v0
	v_lshrrev_b32_e32 v1, s14, v0
	s_delay_alu instid0(VALU_DEP_1) | instskip(NEXT) | instid1(VALU_DEP_1)
	v_mul_lo_u32 v0, v1, s12
	v_sub_nc_u32_e32 v0, v11, v0
	s_delay_alu instid0(VALU_DEP_1)
	v_mul_lo_u32 v2, v0, s8
	v_mul_lo_u32 v0, v0, s9
	s_cbranch_vccnz .LBB7_290
; %bb.289:
	v_mul_hi_u32 v3, s18, v1
	s_delay_alu instid0(VALU_DEP_1) | instskip(NEXT) | instid1(VALU_DEP_1)
	v_add_nc_u32_e32 v3, v1, v3
	v_lshrrev_b32_e32 v3, s19, v3
	s_delay_alu instid0(VALU_DEP_1) | instskip(NEXT) | instid1(VALU_DEP_1)
	v_mul_lo_u32 v3, v3, s15
	v_sub_nc_u32_e32 v3, v1, v3
	s_waitcnt vmcnt(0)
	s_delay_alu instid0(VALU_DEP_1) | instskip(SKIP_1) | instid1(VALU_DEP_2)
	v_mad_u64_u32 v[6:7], null, v3, s10, v[2:3]
	v_mad_u64_u32 v[1:2], null, v3, s11, v[0:1]
	v_mov_b32_e32 v2, v6
	s_delay_alu instid0(VALU_DEP_2)
	v_mov_b32_e32 v0, v1
.LBB7_290:
	v_cmp_gt_i16_e32 vcc_lo, 11, v10
	s_waitcnt lgkmcnt(0)
	s_delay_alu instid0(VALU_DEP_2) | instskip(NEXT) | instid1(VALU_DEP_1)
	v_add_co_u32 v0, s2, s6, v0
	v_add_co_ci_u32_e64 v1, null, s7, 0, s2
	s_mov_b32 s2, 0
	s_cbranch_vccnz .LBB7_297
; %bb.291:
	v_cmp_lt_i16_e32 vcc_lo, 25, v10
	s_cbranch_vccz .LBB7_358
; %bb.292:
	v_cmp_lt_i16_e32 vcc_lo, 28, v10
	s_cbranch_vccz .LBB7_359
	;; [unrolled: 3-line block ×4, first 2 shown]
; %bb.295:
	v_cmp_eq_u16_e32 vcc_lo, 46, v10
	s_mov_b32 s3, 0
	s_cbranch_vccz .LBB7_367
; %bb.296:
	global_load_b32 v3, v[0:1], off
	s_mov_b32 s2, -1
	s_mov_b32 s22, 0
	s_waitcnt vmcnt(0)
	v_lshlrev_b32_e32 v3, 16, v3
	s_delay_alu instid0(VALU_DEP_1)
	v_cvt_f64_f32_e32 v[6:7], v3
	s_branch .LBB7_369
.LBB7_297:
	s_mov_b32 s22, s36
                                        ; implicit-def: $vgpr6_vgpr7
	s_cbranch_execnz .LBB7_506
.LBB7_298:
	s_and_not1_b32 vcc_lo, exec_lo, s2
	s_cbranch_vccnz .LBB7_554
.LBB7_299:
	s_waitcnt vmcnt(0)
	s_delay_alu instid0(VALU_DEP_1) | instskip(SKIP_2) | instid1(VALU_DEP_2)
	v_trunc_f64_e32 v[0:1], v[6:7]
	v_cmp_class_f64_e64 vcc_lo, v[6:7], 0x1f8
	s_mov_b32 s23, exec_lo
	v_ldexp_f64 v[8:9], v[0:1], 0xffffffe0
	s_delay_alu instid0(VALU_DEP_1) | instskip(NEXT) | instid1(VALU_DEP_1)
	v_floor_f64_e32 v[8:9], v[8:9]
	v_fma_f64 v[0:1], 0xc1f00000, v[8:9], v[0:1]
	v_cvt_i32_f64_e32 v3, v[8:9]
	s_delay_alu instid0(VALU_DEP_2) | instskip(NEXT) | instid1(VALU_DEP_1)
	v_cvt_u32_f64_e32 v0, v[0:1]
	v_dual_cndmask_b32 v7, -1, v3 :: v_dual_cndmask_b32 v6, -1, v0
	v_mov_b32_e32 v0, 0
	v_mov_b32_e32 v1, 0
	s_delay_alu instid0(VALU_DEP_3)
	v_cmpx_lt_i64_e32 -1, v[6:7]
	s_cbranch_execz .LBB7_311
; %bb.300:
	v_mov_b32_e32 v0, 0
	v_mov_b32_e32 v1, 0x3ff00000
	s_mov_b32 s38, exec_lo
	v_cmpx_lt_i64_e32 0, v[6:7]
	s_cbranch_execz .LBB7_310
; %bb.301:
                                        ; implicit-def: $vgpr0_vgpr1
	s_mov_b32 s2, exec_lo
	v_cmpx_ne_u64_e32 1, v[6:7]
	s_xor_b32 s39, exec_lo, s2
	s_cbranch_execz .LBB7_307
; %bb.302:
	v_mov_b32_e32 v0, 0
	v_mov_b32_e32 v1, 0x7ff80000
	s_mov_b32 s41, exec_lo
	v_cmpx_gt_u64_e32 0x201, v[6:7]
	s_cbranch_execz .LBB7_306
; %bb.303:
	v_mov_b32_e32 v8, 0
	v_lshlrev_b64 v[6:7], 1, v[6:7]
	v_dual_mov_b32 v9, 0x3ff00000 :: v_dual_mov_b32 v0, v4
	v_mov_b32_e32 v1, v5
	s_mov_b64 s[2:3], 2
	s_mov_b32 s42, 0
.LBB7_304:                              ; =>This Inner Loop Header: Depth=1
	v_cvt_f64_u32_e32 v[12:13], s3
	v_cvt_f64_u32_e32 v[14:15], s2
	s_add_u32 s2, s2, 2
	s_addc_u32 s3, s3, 0
	s_delay_alu instid0(SALU_CYCLE_1) | instskip(SKIP_1) | instid1(VALU_DEP_3)
	v_cmp_ge_u64_e32 vcc_lo, s[2:3], v[6:7]
	s_or_b32 s42, vcc_lo, s42
	v_ldexp_f64 v[12:13], v[12:13], 32
	s_delay_alu instid0(VALU_DEP_1) | instskip(NEXT) | instid1(VALU_DEP_1)
	v_add_f64 v[12:13], v[12:13], v[14:15]
	v_mul_f64 v[8:9], v[8:9], v[12:13]
	v_dual_mov_b32 v13, v1 :: v_dual_mov_b32 v12, v0
	s_delay_alu instid0(VALU_DEP_1)
	v_fma_f64 v[0:1], v[4:5], v[12:13], -v[8:9]
	v_dual_mov_b32 v8, v12 :: v_dual_mov_b32 v9, v13
	s_and_not1_b32 exec_lo, exec_lo, s42
	s_cbranch_execnz .LBB7_304
; %bb.305:
	s_or_b32 exec_lo, exec_lo, s42
.LBB7_306:
	s_delay_alu instid0(SALU_CYCLE_1)
	s_or_b32 exec_lo, exec_lo, s41
.LBB7_307:
	s_and_not1_saveexec_b32 s2, s39
; %bb.308:
	v_dual_mov_b32 v0, v4 :: v_dual_mov_b32 v1, v5
; %bb.309:
	s_or_b32 exec_lo, exec_lo, s2
.LBB7_310:
	s_delay_alu instid0(SALU_CYCLE_1)
	s_or_b32 exec_lo, exec_lo, s38
.LBB7_311:
	s_delay_alu instid0(SALU_CYCLE_1) | instskip(SKIP_2) | instid1(VALU_DEP_1)
	s_or_b32 exec_lo, exec_lo, s23
	v_and_b32_e64 v8, 0xff, s29
	v_add_co_u32 v6, s2, s4, v2
	v_add_co_ci_u32_e64 v7, null, s5, 0, s2
	s_delay_alu instid0(VALU_DEP_3)
	v_cmp_gt_i16_e32 vcc_lo, 11, v8
	s_mov_b32 s3, 0
	s_mov_b32 s23, -1
	s_mov_b32 s2, s35
	s_cbranch_vccnz .LBB7_318
; %bb.312:
	v_cmp_lt_i16_e32 vcc_lo, 25, v8
	s_cbranch_vccz .LBB7_360
; %bb.313:
	v_cmp_lt_i16_e32 vcc_lo, 28, v8
	s_cbranch_vccz .LBB7_362
	;; [unrolled: 3-line block ×4, first 2 shown]
; %bb.316:
	v_cmp_eq_u16_e32 vcc_lo, 46, v8
	s_mov_b32 s23, 0
	s_mov_b32 s2, -1
	s_cbranch_vccz .LBB7_373
; %bb.317:
	v_cvt_f32_f64_e32 v2, v[0:1]
	s_mov_b32 s3, -1
	s_mov_b32 s2, 0
	s_delay_alu instid0(VALU_DEP_1) | instskip(SKIP_1) | instid1(VALU_DEP_2)
	v_bfe_u32 v3, v2, 16, 1
	v_cmp_o_f32_e32 vcc_lo, v2, v2
	v_add3_u32 v3, v2, v3, 0x7fff
	s_delay_alu instid0(VALU_DEP_1) | instskip(NEXT) | instid1(VALU_DEP_1)
	v_lshrrev_b32_e32 v3, 16, v3
	v_cndmask_b32_e32 v2, 0x7fc0, v3, vcc_lo
	global_store_b32 v[6:7], v2, off
	s_branch .LBB7_373
.LBB7_318:
	s_and_b32 vcc_lo, exec_lo, s23
	s_cbranch_vccz .LBB7_442
; %bb.319:
	v_cmp_gt_i16_e32 vcc_lo, 5, v8
	s_mov_b32 s3, -1
	s_cbranch_vccnz .LBB7_340
; %bb.320:
	v_cmp_gt_i16_e32 vcc_lo, 8, v8
	s_cbranch_vccnz .LBB7_330
; %bb.321:
	v_cmp_gt_i16_e32 vcc_lo, 9, v8
	s_cbranch_vccnz .LBB7_327
; %bb.322:
	v_cmp_lt_i16_e32 vcc_lo, 9, v8
	s_cbranch_vccz .LBB7_324
; %bb.323:
	v_mov_b32_e32 v2, 0
	s_mov_b32 s3, 0
	s_delay_alu instid0(VALU_DEP_1)
	v_mov_b32_e32 v3, v2
	global_store_b128 v[6:7], v[0:3], off
.LBB7_324:
	s_and_not1_b32 vcc_lo, exec_lo, s3
	s_cbranch_vccnz .LBB7_326
; %bb.325:
	v_cvt_f32_f64_e32 v2, v[0:1]
	v_mov_b32_e32 v3, 0
	global_store_b64 v[6:7], v[2:3], off
.LBB7_326:
	s_mov_b32 s3, 0
.LBB7_327:
	s_delay_alu instid0(SALU_CYCLE_1)
	s_and_not1_b32 vcc_lo, exec_lo, s3
	s_cbranch_vccnz .LBB7_329
; %bb.328:
	v_cvt_f32_f64_e32 v2, v[0:1]
	s_delay_alu instid0(VALU_DEP_1) | instskip(NEXT) | instid1(VALU_DEP_1)
	v_cvt_f16_f32_e32 v2, v2
	v_and_b32_e32 v2, 0xffff, v2
	global_store_b32 v[6:7], v2, off
.LBB7_329:
	s_mov_b32 s3, 0
.LBB7_330:
	s_delay_alu instid0(SALU_CYCLE_1)
	s_and_not1_b32 vcc_lo, exec_lo, s3
	s_cbranch_vccnz .LBB7_339
; %bb.331:
	v_cmp_gt_i16_e32 vcc_lo, 6, v8
	s_mov_b32 s3, -1
	s_cbranch_vccnz .LBB7_337
; %bb.332:
	v_cmp_lt_i16_e32 vcc_lo, 6, v8
	s_cbranch_vccz .LBB7_334
; %bb.333:
	s_mov_b32 s3, 0
	global_store_b64 v[6:7], v[0:1], off
.LBB7_334:
	s_and_not1_b32 vcc_lo, exec_lo, s3
	s_cbranch_vccnz .LBB7_336
; %bb.335:
	v_cvt_f32_f64_e32 v2, v[0:1]
	global_store_b32 v[6:7], v2, off
.LBB7_336:
	s_mov_b32 s3, 0
.LBB7_337:
	s_delay_alu instid0(SALU_CYCLE_1)
	s_and_not1_b32 vcc_lo, exec_lo, s3
	s_cbranch_vccnz .LBB7_339
; %bb.338:
	v_cvt_f32_f64_e32 v2, v[0:1]
	s_delay_alu instid0(VALU_DEP_1)
	v_cvt_f16_f32_e32 v2, v2
	global_store_b16 v[6:7], v2, off
.LBB7_339:
	s_mov_b32 s3, 0
.LBB7_340:
	s_delay_alu instid0(SALU_CYCLE_1)
	s_and_not1_b32 vcc_lo, exec_lo, s3
	s_cbranch_vccnz .LBB7_356
; %bb.341:
	v_cmp_gt_i16_e32 vcc_lo, 2, v8
	s_mov_b32 s3, -1
	s_cbranch_vccnz .LBB7_351
; %bb.342:
	v_cmp_gt_i16_e32 vcc_lo, 3, v8
	s_cbranch_vccnz .LBB7_348
; %bb.343:
	v_cmp_lt_i16_e32 vcc_lo, 3, v8
	s_cbranch_vccz .LBB7_345
; %bb.344:
	v_trunc_f64_e32 v[2:3], v[0:1]
	s_mov_b32 s3, 0
	s_delay_alu instid0(VALU_DEP_1) | instskip(NEXT) | instid1(VALU_DEP_1)
	v_ldexp_f64 v[12:13], v[2:3], 0xffffffe0
	v_floor_f64_e32 v[12:13], v[12:13]
	s_delay_alu instid0(VALU_DEP_1) | instskip(SKIP_1) | instid1(VALU_DEP_2)
	v_fma_f64 v[2:3], 0xc1f00000, v[12:13], v[2:3]
	v_cvt_i32_f64_e32 v13, v[12:13]
	v_cvt_u32_f64_e32 v12, v[2:3]
	global_store_b64 v[6:7], v[12:13], off
.LBB7_345:
	s_and_not1_b32 vcc_lo, exec_lo, s3
	s_cbranch_vccnz .LBB7_347
; %bb.346:
	v_cvt_i32_f64_e32 v2, v[0:1]
	global_store_b32 v[6:7], v2, off
.LBB7_347:
	s_mov_b32 s3, 0
.LBB7_348:
	s_delay_alu instid0(SALU_CYCLE_1)
	s_and_not1_b32 vcc_lo, exec_lo, s3
	s_cbranch_vccnz .LBB7_350
; %bb.349:
	v_cvt_i32_f64_e32 v2, v[0:1]
	global_store_b16 v[6:7], v2, off
.LBB7_350:
	s_mov_b32 s3, 0
.LBB7_351:
	s_delay_alu instid0(SALU_CYCLE_1)
	s_and_not1_b32 vcc_lo, exec_lo, s3
	s_cbranch_vccnz .LBB7_356
; %bb.352:
	v_cmp_lt_i16_e32 vcc_lo, 0, v8
	s_mov_b32 s3, -1
	s_cbranch_vccz .LBB7_354
; %bb.353:
	v_cvt_i32_f64_e32 v2, v[0:1]
	s_mov_b32 s3, 0
	global_store_b8 v[6:7], v2, off
.LBB7_354:
	s_and_not1_b32 vcc_lo, exec_lo, s3
	s_cbranch_vccnz .LBB7_356
; %bb.355:
	v_trunc_f64_e32 v[0:1], v[0:1]
	s_delay_alu instid0(VALU_DEP_1) | instskip(NEXT) | instid1(VALU_DEP_1)
	v_ldexp_f64 v[2:3], v[0:1], 0xffffffe0
	v_floor_f64_e32 v[2:3], v[2:3]
	s_delay_alu instid0(VALU_DEP_1) | instskip(NEXT) | instid1(VALU_DEP_1)
	v_fma_f64 v[0:1], 0xc1f00000, v[2:3], v[0:1]
	v_cvt_u32_f64_e32 v0, v[0:1]
	global_store_b8 v[6:7], v0, off
.LBB7_356:
	s_branch .LBB7_443
.LBB7_357:
	s_mov_b32 s3, 0
	s_branch .LBB7_555
.LBB7_358:
	s_mov_b32 s3, -1
	s_mov_b32 s22, s36
                                        ; implicit-def: $vgpr6_vgpr7
	s_branch .LBB7_472
.LBB7_359:
	s_mov_b32 s3, -1
	s_mov_b32 s22, s36
                                        ; implicit-def: $vgpr6_vgpr7
	s_branch .LBB7_451
.LBB7_360:
	s_mov_b32 s2, s35
	s_branch .LBB7_400
.LBB7_361:
	s_mov_b32 s3, -1
	s_mov_b32 s22, s36
                                        ; implicit-def: $vgpr6_vgpr7
	s_branch .LBB7_446
.LBB7_362:
	s_mov_b32 s2, s35
	s_branch .LBB7_383
.LBB7_363:
	s_mov_b32 s3, -1
	s_mov_b32 s22, s36
	s_branch .LBB7_368
.LBB7_364:
	s_mov_b32 s2, s35
	s_branch .LBB7_379
.LBB7_365:
	s_or_saveexec_b32 s35, s35
                                        ; implicit-def: $sgpr36
	s_delay_alu instid0(SALU_CYCLE_1)
	s_xor_b32 exec_lo, exec_lo, s35
	s_cbranch_execz .LBB7_77
.LBB7_366:
	v_add_f32_e64 v3, 0x42800000, |v2|
	s_and_not1_b32 s23, s23, exec_lo
	s_mov_b32 s36, 0
	s_delay_alu instid0(VALU_DEP_1) | instskip(NEXT) | instid1(VALU_DEP_1)
	v_and_b32_e32 v3, 0xff, v3
	v_cmp_ne_u32_e32 vcc_lo, 0, v3
	s_and_b32 s39, vcc_lo, exec_lo
	s_delay_alu instid0(SALU_CYCLE_1)
	s_or_b32 s23, s23, s39
	s_or_b32 exec_lo, exec_lo, s35
	v_mov_b32_e32 v9, s36
	s_and_saveexec_b32 s35, s23
	s_cbranch_execnz .LBB7_78
	s_branch .LBB7_79
.LBB7_367:
	s_mov_b32 s22, -1
.LBB7_368:
                                        ; implicit-def: $vgpr6_vgpr7
.LBB7_369:
	s_and_b32 vcc_lo, exec_lo, s3
	s_cbranch_vccz .LBB7_445
; %bb.370:
	v_cmp_eq_u16_e32 vcc_lo, 44, v10
	s_cbranch_vccz .LBB7_444
; %bb.371:
	global_load_u8 v3, v[0:1], off
	s_mov_b32 s22, 0
	s_mov_b32 s2, -1
	s_waitcnt vmcnt(0)
	v_lshlrev_b32_e32 v6, 23, v3
	v_cmp_ne_u32_e32 vcc_lo, 0xff, v3
	s_delay_alu instid0(VALU_DEP_2) | instskip(NEXT) | instid1(VALU_DEP_1)
	v_cvt_f64_f32_e32 v[6:7], v6
	v_cndmask_b32_e32 v6, 0x20000000, v6, vcc_lo
	s_delay_alu instid0(VALU_DEP_2) | instskip(SKIP_1) | instid1(VALU_DEP_2)
	v_cndmask_b32_e32 v7, 0x7ff80000, v7, vcc_lo
	v_cmp_ne_u32_e32 vcc_lo, 0, v3
	v_cndmask_b32_e32 v7, 0x38000000, v7, vcc_lo
	s_delay_alu instid0(VALU_DEP_4)
	v_cndmask_b32_e32 v6, 0, v6, vcc_lo
	s_branch .LBB7_445
.LBB7_372:
	s_mov_b32 s2, s35
.LBB7_373:
	s_and_b32 vcc_lo, exec_lo, s23
	s_cbranch_vccz .LBB7_378
; %bb.374:
	v_cmp_eq_u16_e32 vcc_lo, 44, v8
	s_mov_b32 s2, -1
	s_cbranch_vccz .LBB7_378
; %bb.375:
	v_cvt_f32_f64_e32 v2, v[0:1]
	v_mov_b32_e32 v3, 0xff
	s_mov_b32 s3, exec_lo
	s_delay_alu instid0(VALU_DEP_2) | instskip(NEXT) | instid1(VALU_DEP_1)
	v_bfe_u32 v9, v2, 23, 8
	v_cmpx_ne_u32_e32 0xff, v9
; %bb.376:
	v_and_b32_e32 v3, 0x400000, v2
	v_and_or_b32 v9, 0x3fffff, v2, v9
	v_lshrrev_b32_e32 v2, 23, v2
	s_delay_alu instid0(VALU_DEP_3) | instskip(NEXT) | instid1(VALU_DEP_3)
	v_cmp_ne_u32_e32 vcc_lo, 0, v3
	v_cmp_ne_u32_e64 s2, 0, v9
	s_delay_alu instid0(VALU_DEP_1) | instskip(NEXT) | instid1(SALU_CYCLE_1)
	s_and_b32 s2, vcc_lo, s2
	v_cndmask_b32_e64 v3, 0, 1, s2
	s_delay_alu instid0(VALU_DEP_1)
	v_add_nc_u32_e32 v3, v2, v3
; %bb.377:
	s_or_b32 exec_lo, exec_lo, s3
	s_mov_b32 s3, -1
	s_mov_b32 s2, 0
	global_store_b8 v[6:7], v3, off
.LBB7_378:
	s_mov_b32 s23, 0
.LBB7_379:
	s_delay_alu instid0(SALU_CYCLE_1)
	s_and_b32 vcc_lo, exec_lo, s23
	s_cbranch_vccz .LBB7_382
; %bb.380:
	v_cmp_eq_u16_e32 vcc_lo, 29, v8
	s_mov_b32 s2, -1
	s_cbranch_vccz .LBB7_382
; %bb.381:
	v_trunc_f64_e32 v[2:3], v[0:1]
	s_mov_b32 s3, -1
	s_mov_b32 s2, 0
	s_mov_b32 s23, 0
	s_delay_alu instid0(VALU_DEP_1) | instskip(NEXT) | instid1(VALU_DEP_1)
	v_ldexp_f64 v[12:13], v[2:3], 0xffffffe0
	v_floor_f64_e32 v[12:13], v[12:13]
	s_delay_alu instid0(VALU_DEP_1) | instskip(SKIP_1) | instid1(VALU_DEP_2)
	v_fma_f64 v[2:3], 0xc1f00000, v[12:13], v[2:3]
	v_cvt_u32_f64_e32 v13, v[12:13]
	v_cvt_u32_f64_e32 v12, v[2:3]
	global_store_b64 v[6:7], v[12:13], off
	s_branch .LBB7_383
.LBB7_382:
	s_mov_b32 s23, 0
.LBB7_383:
	s_delay_alu instid0(SALU_CYCLE_1)
	s_and_b32 vcc_lo, exec_lo, s23
	s_cbranch_vccz .LBB7_399
; %bb.384:
	v_cmp_gt_i16_e32 vcc_lo, 27, v8
	s_mov_b32 s3, -1
	s_cbranch_vccnz .LBB7_390
; %bb.385:
	v_cmp_lt_i16_e32 vcc_lo, 27, v8
	s_cbranch_vccz .LBB7_387
; %bb.386:
	v_cvt_u32_f64_e32 v2, v[0:1]
	s_mov_b32 s3, 0
	global_store_b32 v[6:7], v2, off
.LBB7_387:
	s_and_not1_b32 vcc_lo, exec_lo, s3
	s_cbranch_vccnz .LBB7_389
; %bb.388:
	v_cvt_u32_f64_e32 v2, v[0:1]
	global_store_b16 v[6:7], v2, off
.LBB7_389:
	s_mov_b32 s3, 0
.LBB7_390:
	s_delay_alu instid0(SALU_CYCLE_1)
	s_and_not1_b32 vcc_lo, exec_lo, s3
	s_cbranch_vccnz .LBB7_398
; %bb.391:
	v_cvt_f32_f64_e32 v2, v[0:1]
	v_mov_b32_e32 v9, 0x80
	s_mov_b32 s3, exec_lo
	s_delay_alu instid0(VALU_DEP_2) | instskip(NEXT) | instid1(VALU_DEP_1)
	v_and_b32_e32 v3, 0x7fffffff, v2
	v_cmpx_gt_u32_e32 0x43800000, v3
	s_cbranch_execz .LBB7_397
; %bb.392:
	v_cmp_lt_u32_e32 vcc_lo, 0x3bffffff, v3
	s_mov_b32 s23, 0
                                        ; implicit-def: $vgpr3
	s_and_saveexec_b32 s38, vcc_lo
	s_delay_alu instid0(SALU_CYCLE_1)
	s_xor_b32 s38, exec_lo, s38
	s_cbranch_execz .LBB7_583
; %bb.393:
	v_bfe_u32 v3, v2, 20, 1
	s_mov_b32 s23, exec_lo
	s_delay_alu instid0(VALU_DEP_1) | instskip(NEXT) | instid1(VALU_DEP_1)
	v_add3_u32 v3, v2, v3, 0x487ffff
	v_lshrrev_b32_e32 v3, 20, v3
	s_or_saveexec_b32 s38, s38
                                        ; implicit-def: $sgpr39
	s_delay_alu instid0(SALU_CYCLE_1)
	s_xor_b32 exec_lo, exec_lo, s38
	s_cbranch_execnz .LBB7_584
.LBB7_394:
	s_or_b32 exec_lo, exec_lo, s38
	v_mov_b32_e32 v9, s39
	s_and_saveexec_b32 s38, s23
.LBB7_395:
	v_lshrrev_b32_e32 v2, 24, v2
	s_delay_alu instid0(VALU_DEP_1)
	v_and_or_b32 v9, 0x80, v2, v3
.LBB7_396:
	s_or_b32 exec_lo, exec_lo, s38
.LBB7_397:
	s_delay_alu instid0(SALU_CYCLE_1)
	s_or_b32 exec_lo, exec_lo, s3
	global_store_b8 v[6:7], v9, off
.LBB7_398:
	s_mov_b32 s3, -1
.LBB7_399:
	s_mov_b32 s23, 0
.LBB7_400:
	s_delay_alu instid0(SALU_CYCLE_1)
	s_and_b32 vcc_lo, exec_lo, s23
	s_cbranch_vccz .LBB7_441
; %bb.401:
	v_cmp_lt_i16_e32 vcc_lo, 22, v8
	s_mov_b32 s23, -1
	s_cbranch_vccz .LBB7_433
; %bb.402:
	v_cmp_gt_i16_e32 vcc_lo, 24, v8
	s_mov_b32 s3, -1
	s_cbranch_vccnz .LBB7_422
; %bb.403:
	v_cmp_lt_i16_e32 vcc_lo, 24, v8
	s_cbranch_vccz .LBB7_411
; %bb.404:
	v_cvt_f32_f64_e32 v2, v[0:1]
	v_mov_b32_e32 v9, 0x80
	s_mov_b32 s3, exec_lo
	s_delay_alu instid0(VALU_DEP_2) | instskip(NEXT) | instid1(VALU_DEP_1)
	v_and_b32_e32 v3, 0x7fffffff, v2
	v_cmpx_gt_u32_e32 0x47800000, v3
	s_cbranch_execz .LBB7_410
; %bb.405:
	v_cmp_lt_u32_e32 vcc_lo, 0x37ffffff, v3
	s_mov_b32 s23, 0
                                        ; implicit-def: $vgpr3
	s_and_saveexec_b32 s38, vcc_lo
	s_delay_alu instid0(SALU_CYCLE_1)
	s_xor_b32 s38, exec_lo, s38
	s_cbranch_execz .LBB7_586
; %bb.406:
	v_bfe_u32 v3, v2, 21, 1
	s_mov_b32 s23, exec_lo
	s_delay_alu instid0(VALU_DEP_1) | instskip(NEXT) | instid1(VALU_DEP_1)
	v_add3_u32 v3, v2, v3, 0x88fffff
	v_lshrrev_b32_e32 v3, 21, v3
	s_or_saveexec_b32 s38, s38
                                        ; implicit-def: $sgpr39
	s_delay_alu instid0(SALU_CYCLE_1)
	s_xor_b32 exec_lo, exec_lo, s38
	s_cbranch_execnz .LBB7_587
.LBB7_407:
	s_or_b32 exec_lo, exec_lo, s38
	v_mov_b32_e32 v9, s39
	s_and_saveexec_b32 s38, s23
.LBB7_408:
	v_lshrrev_b32_e32 v2, 24, v2
	s_delay_alu instid0(VALU_DEP_1)
	v_and_or_b32 v9, 0x80, v2, v3
.LBB7_409:
	s_or_b32 exec_lo, exec_lo, s38
.LBB7_410:
	s_delay_alu instid0(SALU_CYCLE_1)
	s_or_b32 exec_lo, exec_lo, s3
	s_mov_b32 s3, 0
	global_store_b8 v[6:7], v9, off
.LBB7_411:
	s_and_b32 vcc_lo, exec_lo, s3
	s_cbranch_vccz .LBB7_421
; %bb.412:
	v_cvt_f32_f64_e32 v2, v[0:1]
	s_mov_b32 s3, exec_lo
                                        ; implicit-def: $vgpr3
	s_delay_alu instid0(VALU_DEP_1) | instskip(NEXT) | instid1(VALU_DEP_1)
	v_and_b32_e32 v9, 0x7fffffff, v2
	v_cmpx_gt_u32_e32 0x43f00000, v9
	s_xor_b32 s3, exec_lo, s3
	s_cbranch_execz .LBB7_418
; %bb.413:
	s_mov_b32 s23, exec_lo
                                        ; implicit-def: $vgpr3
	v_cmpx_lt_u32_e32 0x3c7fffff, v9
	s_xor_b32 s23, exec_lo, s23
; %bb.414:
	v_bfe_u32 v3, v2, 20, 1
	s_delay_alu instid0(VALU_DEP_1) | instskip(NEXT) | instid1(VALU_DEP_1)
	v_add3_u32 v3, v2, v3, 0x407ffff
	v_and_b32_e32 v9, 0xff00000, v3
	v_lshrrev_b32_e32 v3, 20, v3
	s_delay_alu instid0(VALU_DEP_2) | instskip(NEXT) | instid1(VALU_DEP_2)
	v_cmp_ne_u32_e32 vcc_lo, 0x7f00000, v9
	v_cndmask_b32_e32 v3, 0x7e, v3, vcc_lo
; %bb.415:
	s_and_not1_saveexec_b32 s23, s23
; %bb.416:
	v_add_f32_e64 v3, 0x46800000, |v2|
; %bb.417:
	s_or_b32 exec_lo, exec_lo, s23
                                        ; implicit-def: $vgpr9
.LBB7_418:
	s_and_not1_saveexec_b32 s3, s3
; %bb.419:
	v_mov_b32_e32 v3, 0x7f
	v_cmp_lt_u32_e32 vcc_lo, 0x7f800000, v9
	s_delay_alu instid0(VALU_DEP_2)
	v_cndmask_b32_e32 v3, 0x7e, v3, vcc_lo
; %bb.420:
	s_or_b32 exec_lo, exec_lo, s3
	v_lshrrev_b32_e32 v2, 24, v2
	s_delay_alu instid0(VALU_DEP_1)
	v_and_or_b32 v2, 0x80, v2, v3
	global_store_b8 v[6:7], v2, off
.LBB7_421:
	s_mov_b32 s3, 0
.LBB7_422:
	s_delay_alu instid0(SALU_CYCLE_1)
	s_and_not1_b32 vcc_lo, exec_lo, s3
	s_cbranch_vccnz .LBB7_432
; %bb.423:
	v_cvt_f32_f64_e32 v2, v[0:1]
	s_mov_b32 s3, exec_lo
                                        ; implicit-def: $vgpr3
	s_delay_alu instid0(VALU_DEP_1) | instskip(NEXT) | instid1(VALU_DEP_1)
	v_and_b32_e32 v9, 0x7fffffff, v2
	v_cmpx_gt_u32_e32 0x47800000, v9
	s_xor_b32 s3, exec_lo, s3
	s_cbranch_execz .LBB7_429
; %bb.424:
	s_mov_b32 s23, exec_lo
                                        ; implicit-def: $vgpr3
	v_cmpx_lt_u32_e32 0x387fffff, v9
	s_xor_b32 s23, exec_lo, s23
; %bb.425:
	v_bfe_u32 v3, v2, 21, 1
	s_delay_alu instid0(VALU_DEP_1) | instskip(NEXT) | instid1(VALU_DEP_1)
	v_add3_u32 v3, v2, v3, 0x80fffff
	v_lshrrev_b32_e32 v3, 21, v3
; %bb.426:
	s_and_not1_saveexec_b32 s23, s23
; %bb.427:
	v_add_f32_e64 v3, 0x43000000, |v2|
; %bb.428:
	s_or_b32 exec_lo, exec_lo, s23
                                        ; implicit-def: $vgpr9
.LBB7_429:
	s_and_not1_saveexec_b32 s3, s3
; %bb.430:
	v_mov_b32_e32 v3, 0x7f
	v_cmp_lt_u32_e32 vcc_lo, 0x7f800000, v9
	s_delay_alu instid0(VALU_DEP_2)
	v_cndmask_b32_e32 v3, 0x7c, v3, vcc_lo
; %bb.431:
	s_or_b32 exec_lo, exec_lo, s3
	v_lshrrev_b32_e32 v2, 24, v2
	s_delay_alu instid0(VALU_DEP_1)
	v_and_or_b32 v2, 0x80, v2, v3
	global_store_b8 v[6:7], v2, off
.LBB7_432:
	s_mov_b32 s23, 0
	s_mov_b32 s3, -1
.LBB7_433:
	s_and_not1_b32 vcc_lo, exec_lo, s23
	s_cbranch_vccnz .LBB7_441
; %bb.434:
	v_cmp_lt_i16_e32 vcc_lo, 14, v8
	s_mov_b32 s23, -1
	s_cbranch_vccz .LBB7_438
; %bb.435:
	v_cmp_eq_u16_e32 vcc_lo, 15, v8
	s_mov_b32 s2, -1
	s_cbranch_vccz .LBB7_437
; %bb.436:
	v_cvt_f32_f64_e32 v2, v[0:1]
	s_mov_b32 s3, -1
	s_mov_b32 s2, 0
	s_delay_alu instid0(VALU_DEP_1) | instskip(SKIP_1) | instid1(VALU_DEP_2)
	v_bfe_u32 v3, v2, 16, 1
	v_cmp_o_f32_e32 vcc_lo, v2, v2
	v_add3_u32 v3, v2, v3, 0x7fff
	s_delay_alu instid0(VALU_DEP_1) | instskip(NEXT) | instid1(VALU_DEP_1)
	v_lshrrev_b32_e32 v3, 16, v3
	v_cndmask_b32_e32 v2, 0x7fc0, v3, vcc_lo
	global_store_b16 v[6:7], v2, off
.LBB7_437:
	s_mov_b32 s23, 0
.LBB7_438:
	s_delay_alu instid0(SALU_CYCLE_1)
	s_and_b32 vcc_lo, exec_lo, s23
	s_cbranch_vccz .LBB7_441
; %bb.439:
	v_cmp_eq_u16_e32 vcc_lo, 11, v8
	s_mov_b32 s2, -1
	s_cbranch_vccz .LBB7_441
; %bb.440:
	v_cmp_neq_f64_e32 vcc_lo, 0, v[0:1]
	s_mov_b32 s3, -1
	s_mov_b32 s2, 0
	v_cndmask_b32_e64 v2, 0, 1, vcc_lo
	global_store_b8 v[6:7], v2, off
.LBB7_441:
.LBB7_442:
	s_and_not1_b32 vcc_lo, exec_lo, s3
	s_cbranch_vccnz .LBB7_357
.LBB7_443:
	v_add_nc_u32_e32 v11, 0x80, v11
	s_mov_b32 s3, -1
	s_branch .LBB7_556
.LBB7_444:
	s_mov_b32 s22, -1
                                        ; implicit-def: $vgpr6_vgpr7
.LBB7_445:
	s_mov_b32 s3, 0
.LBB7_446:
	s_delay_alu instid0(SALU_CYCLE_1)
	s_and_b32 vcc_lo, exec_lo, s3
	s_cbranch_vccz .LBB7_450
; %bb.447:
	v_cmp_eq_u16_e32 vcc_lo, 29, v10
	s_cbranch_vccz .LBB7_449
; %bb.448:
	global_load_b64 v[6:7], v[0:1], off
	s_mov_b32 s2, -1
	s_mov_b32 s22, 0
	s_mov_b32 s3, 0
	s_waitcnt vmcnt(0)
	v_cvt_f64_u32_e32 v[7:8], v7
	v_cvt_f64_u32_e32 v[12:13], v6
	s_delay_alu instid0(VALU_DEP_2) | instskip(NEXT) | instid1(VALU_DEP_1)
	v_ldexp_f64 v[7:8], v[7:8], 32
	v_add_f64 v[6:7], v[7:8], v[12:13]
	s_branch .LBB7_451
.LBB7_449:
	s_mov_b32 s22, -1
                                        ; implicit-def: $vgpr6_vgpr7
.LBB7_450:
	s_mov_b32 s3, 0
.LBB7_451:
	s_delay_alu instid0(SALU_CYCLE_1)
	s_and_b32 vcc_lo, exec_lo, s3
	s_cbranch_vccz .LBB7_471
; %bb.452:
	v_cmp_gt_i16_e32 vcc_lo, 27, v10
	s_cbranch_vccnz .LBB7_455
; %bb.453:
	v_cmp_lt_i16_e32 vcc_lo, 27, v10
	s_cbranch_vccz .LBB7_456
; %bb.454:
	global_load_b32 v3, v[0:1], off
	s_mov_b32 s2, 0
	s_waitcnt vmcnt(0)
	v_cvt_f64_u32_e32 v[6:7], v3
	s_branch .LBB7_457
.LBB7_455:
	s_mov_b32 s2, -1
                                        ; implicit-def: $vgpr6_vgpr7
	s_branch .LBB7_460
.LBB7_456:
	s_mov_b32 s2, -1
                                        ; implicit-def: $vgpr6_vgpr7
.LBB7_457:
	s_delay_alu instid0(SALU_CYCLE_1)
	s_and_not1_b32 vcc_lo, exec_lo, s2
	s_cbranch_vccnz .LBB7_459
; %bb.458:
	global_load_u16 v3, v[0:1], off
	s_waitcnt vmcnt(0)
	v_cvt_f64_u32_e32 v[6:7], v3
.LBB7_459:
	s_mov_b32 s2, 0
.LBB7_460:
	s_delay_alu instid0(SALU_CYCLE_1)
	s_and_not1_b32 vcc_lo, exec_lo, s2
	s_cbranch_vccnz .LBB7_470
; %bb.461:
	global_load_u8 v3, v[0:1], off
	s_mov_b32 s23, 0
	s_mov_b32 s38, exec_lo
                                        ; implicit-def: $sgpr2_sgpr3
	s_waitcnt vmcnt(0)
	v_cmpx_lt_i16_e32 0x7f, v3
	s_xor_b32 s38, exec_lo, s38
	s_cbranch_execz .LBB7_465
; %bb.462:
	s_mov_b32 s39, -1
	s_mov_b32 s23, exec_lo
                                        ; implicit-def: $sgpr2_sgpr3
	v_cmpx_eq_u16_e32 0x80, v3
; %bb.463:
	s_mov_b32 s3, 0x7ff80000
	s_brev_b32 s2, 4
	s_xor_b32 s39, exec_lo, -1
; %bb.464:
	s_or_b32 exec_lo, exec_lo, s23
	s_delay_alu instid0(SALU_CYCLE_1)
	s_and_b32 s23, s39, exec_lo
.LBB7_465:
	s_or_saveexec_b32 s38, s38
	v_dual_mov_b32 v7, s3 :: v_dual_mov_b32 v6, s2
	s_xor_b32 exec_lo, exec_lo, s38
; %bb.466:
	v_cmp_ne_u16_e32 vcc_lo, 0, v3
	v_mov_b32_e32 v6, 0
	v_mov_b32_e32 v7, 0
	s_and_not1_b32 s2, s23, exec_lo
	s_and_b32 s3, vcc_lo, exec_lo
	s_delay_alu instid0(SALU_CYCLE_1)
	s_or_b32 s23, s2, s3
; %bb.467:
	s_or_b32 exec_lo, exec_lo, s38
	s_and_saveexec_b32 s2, s23
	s_cbranch_execz .LBB7_469
; %bb.468:
	v_and_b32_e32 v6, 0xffff, v3
	v_lshlrev_b32_e32 v3, 24, v3
	s_delay_alu instid0(VALU_DEP_2) | instskip(NEXT) | instid1(VALU_DEP_2)
	v_and_b32_e32 v7, 7, v6
	v_and_b32_e32 v3, 0x80000000, v3
	s_delay_alu instid0(VALU_DEP_2) | instskip(NEXT) | instid1(VALU_DEP_1)
	v_clz_i32_u32_e32 v8, v7
	v_min_u32_e32 v8, 32, v8
	s_delay_alu instid0(VALU_DEP_1) | instskip(SKIP_1) | instid1(VALU_DEP_2)
	v_subrev_nc_u32_e32 v9, 28, v8
	v_sub_nc_u32_e32 v8, 29, v8
	v_lshlrev_b32_e32 v9, v9, v6
	v_bfe_u32 v6, v6, 3, 4
	s_delay_alu instid0(VALU_DEP_2) | instskip(NEXT) | instid1(VALU_DEP_2)
	v_and_b32_e32 v9, 7, v9
	v_cmp_eq_u32_e32 vcc_lo, 0, v6
	s_delay_alu instid0(VALU_DEP_2) | instskip(NEXT) | instid1(VALU_DEP_1)
	v_dual_cndmask_b32 v6, v6, v8 :: v_dual_cndmask_b32 v7, v7, v9
	v_lshl_add_u32 v6, v6, 23, 0x3b800000
	s_delay_alu instid0(VALU_DEP_2) | instskip(NEXT) | instid1(VALU_DEP_1)
	v_lshlrev_b32_e32 v7, 20, v7
	v_or3_b32 v3, v3, v6, v7
	s_delay_alu instid0(VALU_DEP_1)
	v_cvt_f64_f32_e32 v[6:7], v3
.LBB7_469:
	s_or_b32 exec_lo, exec_lo, s2
.LBB7_470:
	s_mov_b32 s2, -1
.LBB7_471:
	s_mov_b32 s3, 0
.LBB7_472:
	s_delay_alu instid0(SALU_CYCLE_1)
	s_and_b32 vcc_lo, exec_lo, s3
	s_cbranch_vccz .LBB7_505
; %bb.473:
	v_cmp_lt_i16_e32 vcc_lo, 22, v10
	s_cbranch_vccz .LBB7_485
; %bb.474:
	v_cmp_gt_i16_e32 vcc_lo, 24, v10
	s_cbranch_vccnz .LBB7_486
; %bb.475:
	v_cmp_lt_i16_e32 vcc_lo, 24, v10
	s_cbranch_vccz .LBB7_487
; %bb.476:
	global_load_u8 v3, v[0:1], off
	s_mov_b32 s23, 0
	s_mov_b32 s38, exec_lo
                                        ; implicit-def: $sgpr2_sgpr3
	s_waitcnt vmcnt(0)
	v_cmpx_lt_i16_e32 0x7f, v3
	s_xor_b32 s38, exec_lo, s38
	s_cbranch_execz .LBB7_480
; %bb.477:
	s_mov_b32 s39, -1
	s_mov_b32 s23, exec_lo
                                        ; implicit-def: $sgpr2_sgpr3
	v_cmpx_eq_u16_e32 0x80, v3
; %bb.478:
	s_mov_b32 s3, 0x7ff80000
	s_brev_b32 s2, 4
	s_xor_b32 s39, exec_lo, -1
; %bb.479:
	s_or_b32 exec_lo, exec_lo, s23
	s_delay_alu instid0(SALU_CYCLE_1)
	s_and_b32 s23, s39, exec_lo
.LBB7_480:
	s_or_saveexec_b32 s38, s38
	v_dual_mov_b32 v7, s3 :: v_dual_mov_b32 v6, s2
	s_xor_b32 exec_lo, exec_lo, s38
; %bb.481:
	v_cmp_ne_u16_e32 vcc_lo, 0, v3
	v_mov_b32_e32 v6, 0
	v_mov_b32_e32 v7, 0
	s_and_not1_b32 s2, s23, exec_lo
	s_and_b32 s3, vcc_lo, exec_lo
	s_delay_alu instid0(SALU_CYCLE_1)
	s_or_b32 s23, s2, s3
; %bb.482:
	s_or_b32 exec_lo, exec_lo, s38
	s_and_saveexec_b32 s2, s23
	s_cbranch_execz .LBB7_484
; %bb.483:
	v_and_b32_e32 v6, 0xffff, v3
	v_lshlrev_b32_e32 v3, 24, v3
	s_delay_alu instid0(VALU_DEP_2) | instskip(NEXT) | instid1(VALU_DEP_2)
	v_and_b32_e32 v7, 3, v6
	v_and_b32_e32 v3, 0x80000000, v3
	s_delay_alu instid0(VALU_DEP_2) | instskip(NEXT) | instid1(VALU_DEP_1)
	v_clz_i32_u32_e32 v8, v7
	v_min_u32_e32 v8, 32, v8
	s_delay_alu instid0(VALU_DEP_1) | instskip(SKIP_1) | instid1(VALU_DEP_2)
	v_subrev_nc_u32_e32 v9, 29, v8
	v_sub_nc_u32_e32 v8, 30, v8
	v_lshlrev_b32_e32 v9, v9, v6
	v_bfe_u32 v6, v6, 2, 5
	s_delay_alu instid0(VALU_DEP_2) | instskip(NEXT) | instid1(VALU_DEP_2)
	v_and_b32_e32 v9, 3, v9
	v_cmp_eq_u32_e32 vcc_lo, 0, v6
	s_delay_alu instid0(VALU_DEP_2) | instskip(NEXT) | instid1(VALU_DEP_1)
	v_dual_cndmask_b32 v6, v6, v8 :: v_dual_cndmask_b32 v7, v7, v9
	v_lshl_add_u32 v6, v6, 23, 0x37800000
	s_delay_alu instid0(VALU_DEP_2) | instskip(NEXT) | instid1(VALU_DEP_1)
	v_lshlrev_b32_e32 v7, 21, v7
	v_or3_b32 v3, v3, v6, v7
	s_delay_alu instid0(VALU_DEP_1)
	v_cvt_f64_f32_e32 v[6:7], v3
.LBB7_484:
	s_or_b32 exec_lo, exec_lo, s2
	s_mov_b32 s2, 0
	s_branch .LBB7_488
.LBB7_485:
	s_mov_b32 s3, -1
                                        ; implicit-def: $vgpr6_vgpr7
	s_branch .LBB7_494
.LBB7_486:
	s_mov_b32 s2, -1
                                        ; implicit-def: $vgpr6_vgpr7
	s_branch .LBB7_491
.LBB7_487:
	s_mov_b32 s2, -1
                                        ; implicit-def: $vgpr6_vgpr7
.LBB7_488:
	s_delay_alu instid0(SALU_CYCLE_1)
	s_and_b32 vcc_lo, exec_lo, s2
	s_cbranch_vccz .LBB7_490
; %bb.489:
	global_load_u8 v3, v[0:1], off
	s_waitcnt vmcnt(0)
	v_lshlrev_b32_e32 v3, 24, v3
	s_delay_alu instid0(VALU_DEP_1) | instskip(NEXT) | instid1(VALU_DEP_1)
	v_and_b32_e32 v6, 0x7f000000, v3
	v_clz_i32_u32_e32 v7, v6
	v_cmp_ne_u32_e32 vcc_lo, 0, v6
	v_add_nc_u32_e32 v9, 0x1000000, v6
	s_delay_alu instid0(VALU_DEP_3) | instskip(NEXT) | instid1(VALU_DEP_1)
	v_min_u32_e32 v7, 32, v7
	v_sub_nc_u32_e64 v7, v7, 4 clamp
	s_delay_alu instid0(VALU_DEP_1) | instskip(SKIP_1) | instid1(VALU_DEP_2)
	v_lshlrev_b32_e32 v8, v7, v6
	v_lshlrev_b32_e32 v7, 23, v7
	v_lshrrev_b32_e32 v8, 4, v8
	s_delay_alu instid0(VALU_DEP_1) | instskip(SKIP_1) | instid1(VALU_DEP_2)
	v_sub_nc_u32_e32 v7, v8, v7
	v_ashrrev_i32_e32 v8, 8, v9
	v_add_nc_u32_e32 v7, 0x3c000000, v7
	s_delay_alu instid0(VALU_DEP_1) | instskip(NEXT) | instid1(VALU_DEP_1)
	v_and_or_b32 v7, 0x7f800000, v8, v7
	v_cndmask_b32_e32 v6, 0, v7, vcc_lo
	s_delay_alu instid0(VALU_DEP_1) | instskip(NEXT) | instid1(VALU_DEP_1)
	v_and_or_b32 v3, 0x80000000, v3, v6
	v_cvt_f64_f32_e32 v[6:7], v3
.LBB7_490:
	s_mov_b32 s2, 0
.LBB7_491:
	s_delay_alu instid0(SALU_CYCLE_1)
	s_and_not1_b32 vcc_lo, exec_lo, s2
	s_cbranch_vccnz .LBB7_493
; %bb.492:
	global_load_u8 v3, v[0:1], off
	s_waitcnt vmcnt(0)
	v_lshlrev_b32_e32 v6, 25, v3
	v_lshlrev_b16 v3, 8, v3
	s_delay_alu instid0(VALU_DEP_2) | instskip(NEXT) | instid1(VALU_DEP_2)
	v_lshrrev_b32_e32 v7, 4, v6
	v_and_or_b32 v8, 0x7f00, v3, 0.5
	v_cmp_gt_u32_e32 vcc_lo, 0x8000000, v6
	v_bfe_i32 v3, v3, 0, 16
	s_delay_alu instid0(VALU_DEP_4) | instskip(NEXT) | instid1(VALU_DEP_1)
	v_or_b32_e32 v7, 0x70000000, v7
	v_dual_add_f32 v8, -0.5, v8 :: v_dual_mul_f32 v7, 0x7800000, v7
	s_delay_alu instid0(VALU_DEP_1) | instskip(NEXT) | instid1(VALU_DEP_1)
	v_cndmask_b32_e32 v6, v7, v8, vcc_lo
	v_and_or_b32 v3, 0x80000000, v3, v6
	s_delay_alu instid0(VALU_DEP_1)
	v_cvt_f64_f32_e32 v[6:7], v3
.LBB7_493:
	s_mov_b32 s3, 0
	s_mov_b32 s2, -1
.LBB7_494:
	s_and_not1_b32 vcc_lo, exec_lo, s3
	s_cbranch_vccnz .LBB7_505
; %bb.495:
	v_cmp_lt_i16_e32 vcc_lo, 14, v10
	s_cbranch_vccz .LBB7_498
; %bb.496:
	v_cmp_eq_u16_e32 vcc_lo, 15, v10
	s_cbranch_vccz .LBB7_499
; %bb.497:
	global_load_u16 v3, v[0:1], off
	s_mov_b32 s2, -1
	s_mov_b32 s22, 0
	s_waitcnt vmcnt(0)
	v_lshlrev_b32_e32 v3, 16, v3
	s_delay_alu instid0(VALU_DEP_1)
	v_cvt_f64_f32_e32 v[6:7], v3
	s_branch .LBB7_500
.LBB7_498:
	s_mov_b32 s3, -1
                                        ; implicit-def: $vgpr6_vgpr7
	s_branch .LBB7_501
.LBB7_499:
	s_mov_b32 s22, -1
                                        ; implicit-def: $vgpr6_vgpr7
.LBB7_500:
	s_mov_b32 s3, 0
.LBB7_501:
	s_delay_alu instid0(SALU_CYCLE_1)
	s_and_b32 vcc_lo, exec_lo, s3
	s_cbranch_vccz .LBB7_505
; %bb.502:
	v_cmp_eq_u16_e32 vcc_lo, 11, v10
	s_cbranch_vccz .LBB7_504
; %bb.503:
	global_load_u8 v3, v[0:1], off
	s_waitcnt vmcnt(1)
	v_mov_b32_e32 v6, 0
	s_mov_b32 s22, 0
	s_mov_b32 s2, -1
	s_waitcnt vmcnt(0)
	v_cmp_ne_u16_e32 vcc_lo, 0, v3
	v_cndmask_b32_e64 v7, 0, 0x3ff00000, vcc_lo
	s_branch .LBB7_505
.LBB7_504:
	s_mov_b32 s22, -1
                                        ; implicit-def: $vgpr6_vgpr7
.LBB7_505:
	s_branch .LBB7_298
.LBB7_506:
	v_cmp_gt_i16_e32 vcc_lo, 5, v10
	s_cbranch_vccnz .LBB7_511
; %bb.507:
	v_cmp_gt_i16_e32 vcc_lo, 8, v10
	s_cbranch_vccnz .LBB7_512
; %bb.508:
	;; [unrolled: 3-line block ×3, first 2 shown]
	v_cmp_lt_i16_e32 vcc_lo, 9, v10
	s_cbranch_vccz .LBB7_514
; %bb.510:
	global_load_b64 v[6:7], v[0:1], off
	s_mov_b32 s2, 0
	s_branch .LBB7_515
.LBB7_511:
	s_mov_b32 s2, -1
                                        ; implicit-def: $vgpr6_vgpr7
	s_branch .LBB7_533
.LBB7_512:
	s_mov_b32 s2, -1
                                        ; implicit-def: $vgpr6_vgpr7
	s_branch .LBB7_521
.LBB7_513:
	s_mov_b32 s2, -1
                                        ; implicit-def: $vgpr6_vgpr7
	s_branch .LBB7_518
.LBB7_514:
	s_mov_b32 s2, -1
                                        ; implicit-def: $vgpr6_vgpr7
.LBB7_515:
	s_delay_alu instid0(SALU_CYCLE_1)
	s_and_not1_b32 vcc_lo, exec_lo, s2
	s_cbranch_vccnz .LBB7_517
; %bb.516:
	global_load_b32 v3, v[0:1], off
	s_waitcnt vmcnt(0)
	v_cvt_f64_f32_e32 v[6:7], v3
.LBB7_517:
	s_mov_b32 s2, 0
.LBB7_518:
	s_delay_alu instid0(SALU_CYCLE_1)
	s_and_not1_b32 vcc_lo, exec_lo, s2
	s_cbranch_vccnz .LBB7_520
; %bb.519:
	global_load_b32 v3, v[0:1], off
	s_waitcnt vmcnt(0)
	v_cvt_f32_f16_e32 v3, v3
	s_delay_alu instid0(VALU_DEP_1)
	v_cvt_f64_f32_e32 v[6:7], v3
.LBB7_520:
	s_mov_b32 s2, 0
.LBB7_521:
	s_delay_alu instid0(SALU_CYCLE_1)
	s_and_not1_b32 vcc_lo, exec_lo, s2
	s_cbranch_vccnz .LBB7_532
; %bb.522:
	v_cmp_gt_i16_e32 vcc_lo, 6, v10
	s_cbranch_vccnz .LBB7_525
; %bb.523:
	v_cmp_lt_i16_e32 vcc_lo, 6, v10
	s_cbranch_vccz .LBB7_526
; %bb.524:
	global_load_b64 v[6:7], v[0:1], off
	s_mov_b32 s2, 0
	s_branch .LBB7_527
.LBB7_525:
	s_mov_b32 s2, -1
                                        ; implicit-def: $vgpr6_vgpr7
	s_branch .LBB7_530
.LBB7_526:
	s_mov_b32 s2, -1
                                        ; implicit-def: $vgpr6_vgpr7
.LBB7_527:
	s_delay_alu instid0(SALU_CYCLE_1)
	s_and_not1_b32 vcc_lo, exec_lo, s2
	s_cbranch_vccnz .LBB7_529
; %bb.528:
	global_load_b32 v3, v[0:1], off
	s_waitcnt vmcnt(0)
	v_cvt_f64_f32_e32 v[6:7], v3
.LBB7_529:
	s_mov_b32 s2, 0
.LBB7_530:
	s_delay_alu instid0(SALU_CYCLE_1)
	s_and_not1_b32 vcc_lo, exec_lo, s2
	s_cbranch_vccnz .LBB7_532
; %bb.531:
	global_load_u16 v3, v[0:1], off
	s_waitcnt vmcnt(0)
	v_cvt_f32_f16_e32 v3, v3
	s_delay_alu instid0(VALU_DEP_1)
	v_cvt_f64_f32_e32 v[6:7], v3
.LBB7_532:
	s_mov_b32 s2, 0
.LBB7_533:
	s_delay_alu instid0(SALU_CYCLE_1)
	s_and_not1_b32 vcc_lo, exec_lo, s2
	s_cbranch_vccnz .LBB7_553
; %bb.534:
	v_cmp_gt_i16_e32 vcc_lo, 2, v10
	s_cbranch_vccnz .LBB7_538
; %bb.535:
	v_cmp_gt_i16_e32 vcc_lo, 3, v10
	s_cbranch_vccnz .LBB7_539
; %bb.536:
	v_cmp_lt_i16_e32 vcc_lo, 3, v10
	s_cbranch_vccz .LBB7_540
; %bb.537:
	global_load_b64 v[6:7], v[0:1], off
	s_mov_b32 s2, 0
	s_waitcnt vmcnt(0)
	v_cvt_f64_i32_e32 v[7:8], v7
	v_cvt_f64_u32_e32 v[12:13], v6
	s_delay_alu instid0(VALU_DEP_2) | instskip(NEXT) | instid1(VALU_DEP_1)
	v_ldexp_f64 v[7:8], v[7:8], 32
	v_add_f64 v[6:7], v[7:8], v[12:13]
	s_branch .LBB7_541
.LBB7_538:
	s_mov_b32 s2, -1
                                        ; implicit-def: $vgpr6_vgpr7
	s_branch .LBB7_547
.LBB7_539:
	s_mov_b32 s2, -1
                                        ; implicit-def: $vgpr6_vgpr7
	s_branch .LBB7_544
.LBB7_540:
	s_mov_b32 s2, -1
                                        ; implicit-def: $vgpr6_vgpr7
.LBB7_541:
	s_delay_alu instid0(SALU_CYCLE_1)
	s_and_not1_b32 vcc_lo, exec_lo, s2
	s_cbranch_vccnz .LBB7_543
; %bb.542:
	global_load_b32 v3, v[0:1], off
	s_waitcnt vmcnt(0)
	v_cvt_f64_i32_e32 v[6:7], v3
.LBB7_543:
	s_mov_b32 s2, 0
.LBB7_544:
	s_delay_alu instid0(SALU_CYCLE_1)
	s_and_not1_b32 vcc_lo, exec_lo, s2
	s_cbranch_vccnz .LBB7_546
; %bb.545:
	global_load_i16 v3, v[0:1], off
	s_waitcnt vmcnt(0)
	v_cvt_f64_i32_e32 v[6:7], v3
.LBB7_546:
	s_mov_b32 s2, 0
.LBB7_547:
	s_delay_alu instid0(SALU_CYCLE_1)
	s_and_not1_b32 vcc_lo, exec_lo, s2
	s_cbranch_vccnz .LBB7_553
; %bb.548:
	v_cmp_lt_i16_e32 vcc_lo, 0, v10
	s_mov_b32 s2, 0
	s_cbranch_vccz .LBB7_550
; %bb.549:
	global_load_i8 v3, v[0:1], off
	s_waitcnt vmcnt(0)
	v_cvt_f64_i32_e32 v[6:7], v3
	s_branch .LBB7_551
.LBB7_550:
	s_mov_b32 s2, -1
                                        ; implicit-def: $vgpr6_vgpr7
.LBB7_551:
	s_delay_alu instid0(SALU_CYCLE_1)
	s_and_not1_b32 vcc_lo, exec_lo, s2
	s_cbranch_vccnz .LBB7_553
; %bb.552:
	global_load_u8 v0, v[0:1], off
	s_waitcnt vmcnt(0)
	v_cvt_f64_u32_e32 v[6:7], v0
.LBB7_553:
	s_branch .LBB7_299
.LBB7_554:
	s_mov_b32 s3, 0
	s_mov_b32 s2, s35
.LBB7_555:
                                        ; implicit-def: $vgpr11
.LBB7_556:
	s_and_not1_b32 s23, s35, exec_lo
	s_and_b32 s2, s2, exec_lo
	s_and_not1_b32 s38, s36, exec_lo
	s_and_b32 s22, s22, exec_lo
	s_or_b32 s39, s23, s2
	s_or_b32 s38, s38, s22
	s_or_not1_b32 s2, s3, exec_lo
.LBB7_557:
	s_or_b32 exec_lo, exec_lo, s40
	s_mov_b32 s3, 0
	s_mov_b32 s23, 0
	;; [unrolled: 1-line block ×3, first 2 shown]
                                        ; implicit-def: $vgpr0_vgpr1
                                        ; implicit-def: $vgpr2
                                        ; implicit-def: $vgpr8_vgpr9
	s_and_saveexec_b32 s40, s2
	s_cbranch_execz .LBB7_941
; %bb.558:
	s_mov_b32 s43, -1
	s_mov_b32 s22, s38
	s_mov_b32 s23, s39
	s_mov_b32 s41, exec_lo
	v_cmpx_gt_i32_e64 s31, v11
	s_cbranch_execz .LBB7_842
; %bb.559:
	s_and_not1_b32 vcc_lo, exec_lo, s27
	s_cbranch_vccnz .LBB7_564
; %bb.560:
	v_mov_b32_e32 v2, 0
	v_mov_b32_e32 v0, 0
	s_and_not1_b32 vcc_lo, exec_lo, s34
	s_mov_b32 s42, 0
	s_cbranch_vccnz .LBB7_569
; %bb.561:
	v_mov_b32_e32 v2, 0
	s_add_i32 s44, s33, 1
	s_cmp_eq_u32 s25, 2
	s_mov_b32 s43, 0
	s_cbranch_scc1 .LBB7_565
; %bb.562:
	v_dual_mov_b32 v0, 0 :: v_dual_mov_b32 v1, v11
	v_mov_b32_e32 v2, 0
	s_and_b32 s43, s44, 28
	s_mov_b32 s45, 0
	s_mov_b64 s[2:3], s[20:21]
	s_mov_b64 s[22:23], s[16:17]
.LBB7_563:                              ; =>This Inner Loop Header: Depth=1
	s_clause 0x1
	s_load_b256 s[48:55], s[22:23], 0x4
	s_load_b128 s[64:67], s[22:23], 0x24
	s_load_b256 s[56:63], s[2:3], 0x0
	s_add_u32 s22, s22, 48
	s_addc_u32 s23, s23, 0
	s_add_i32 s45, s45, 4
	s_add_u32 s2, s2, 32
	s_addc_u32 s3, s3, 0
	s_cmp_eq_u32 s43, s45
	s_waitcnt lgkmcnt(0)
	v_mul_hi_u32 v3, s49, v1
	s_delay_alu instid0(VALU_DEP_1) | instskip(NEXT) | instid1(VALU_DEP_1)
	v_add_nc_u32_e32 v3, v1, v3
	v_lshrrev_b32_e32 v3, s50, v3
	s_waitcnt vmcnt(0)
	s_delay_alu instid0(VALU_DEP_1) | instskip(SKIP_1) | instid1(VALU_DEP_2)
	v_mul_hi_u32 v6, s52, v3
	v_mul_lo_u32 v8, v3, s48
	v_add_nc_u32_e32 v6, v3, v6
	s_delay_alu instid0(VALU_DEP_2) | instskip(NEXT) | instid1(VALU_DEP_2)
	v_sub_nc_u32_e32 v1, v1, v8
	v_lshrrev_b32_e32 v6, s53, v6
	s_delay_alu instid0(VALU_DEP_2) | instskip(SKIP_1) | instid1(VALU_DEP_3)
	v_mul_lo_u32 v8, v1, s56
	v_mul_lo_u32 v12, v1, s57
	v_mul_hi_u32 v7, s55, v6
	s_delay_alu instid0(VALU_DEP_1) | instskip(NEXT) | instid1(VALU_DEP_1)
	v_add_nc_u32_e32 v7, v6, v7
	v_lshrrev_b32_e32 v7, s64, v7
	s_delay_alu instid0(VALU_DEP_1) | instskip(SKIP_1) | instid1(VALU_DEP_2)
	v_mul_hi_u32 v9, s66, v7
	v_mul_lo_u32 v13, v7, s54
	v_add_nc_u32_e32 v1, v7, v9
	v_mul_lo_u32 v9, v6, s51
	s_delay_alu instid0(VALU_DEP_3) | instskip(NEXT) | instid1(VALU_DEP_3)
	v_sub_nc_u32_e32 v6, v6, v13
	v_lshrrev_b32_e32 v1, s67, v1
	s_delay_alu instid0(VALU_DEP_2) | instskip(SKIP_2) | instid1(VALU_DEP_4)
	v_mul_lo_u32 v13, v6, s60
	v_mul_lo_u32 v6, v6, s61
	v_sub_nc_u32_e32 v3, v3, v9
	v_mul_lo_u32 v14, v1, s65
	s_delay_alu instid0(VALU_DEP_2) | instskip(SKIP_1) | instid1(VALU_DEP_3)
	v_mul_lo_u32 v9, v3, s58
	v_mul_lo_u32 v3, v3, s59
	v_sub_nc_u32_e32 v7, v7, v14
	s_delay_alu instid0(VALU_DEP_3) | instskip(NEXT) | instid1(VALU_DEP_2)
	v_add3_u32 v2, v8, v2, v9
	v_mul_lo_u32 v14, v7, s62
	v_mul_lo_u32 v7, v7, s63
	v_add3_u32 v0, v12, v0, v3
	s_delay_alu instid0(VALU_DEP_3) | instskip(NEXT) | instid1(VALU_DEP_2)
	v_add3_u32 v2, v13, v2, v14
	v_add3_u32 v0, v6, v0, v7
	s_cbranch_scc0 .LBB7_563
	s_branch .LBB7_566
.LBB7_564:
	s_mov_b32 s42, -1
                                        ; implicit-def: $vgpr2
                                        ; implicit-def: $vgpr0
	s_branch .LBB7_569
.LBB7_565:
	v_dual_mov_b32 v1, v11 :: v_dual_mov_b32 v0, 0
.LBB7_566:
	s_and_b32 s44, s44, 3
	s_delay_alu instid0(SALU_CYCLE_1)
	s_cmp_eq_u32 s44, 0
	s_cbranch_scc1 .LBB7_569
; %bb.567:
	s_lshl_b32 s2, s43, 3
	s_mul_i32 s22, s43, 12
	s_add_u32 s2, s2, s16
	s_addc_u32 s3, s17, 0
	s_add_u32 s2, s2, 0xc4
	s_addc_u32 s3, s3, 0
	;; [unrolled: 2-line block ×3, first 2 shown]
	.p2align	6
.LBB7_568:                              ; =>This Inner Loop Header: Depth=1
	s_clause 0x1
	s_load_b64 s[46:47], s[22:23], 0x4
	s_load_b32 s43, s[22:23], 0xc
	s_load_b64 s[48:49], s[2:3], 0x0
	s_add_u32 s22, s22, 12
	s_addc_u32 s23, s23, 0
	s_add_u32 s2, s2, 8
	s_addc_u32 s3, s3, 0
	s_add_i32 s44, s44, -1
	s_delay_alu instid0(SALU_CYCLE_1) | instskip(SKIP_2) | instid1(VALU_DEP_1)
	s_cmp_lg_u32 s44, 0
	s_waitcnt lgkmcnt(0)
	v_mul_hi_u32 v3, s47, v1
	v_add_nc_u32_e32 v3, v1, v3
	s_delay_alu instid0(VALU_DEP_1) | instskip(SKIP_1) | instid1(VALU_DEP_1)
	v_lshrrev_b32_e32 v3, s43, v3
	s_waitcnt vmcnt(0)
	v_mul_lo_u32 v6, v3, s46
	s_delay_alu instid0(VALU_DEP_1) | instskip(NEXT) | instid1(VALU_DEP_1)
	v_sub_nc_u32_e32 v1, v1, v6
	v_mad_u64_u32 v[6:7], null, v1, s48, v[2:3]
	v_mad_u64_u32 v[7:8], null, v1, s49, v[0:1]
	s_delay_alu instid0(VALU_DEP_2) | instskip(NEXT) | instid1(VALU_DEP_2)
	v_dual_mov_b32 v1, v3 :: v_dual_mov_b32 v2, v6
	v_mov_b32_e32 v0, v7
	s_cbranch_scc1 .LBB7_568
.LBB7_569:
	s_and_not1_b32 vcc_lo, exec_lo, s42
	s_cbranch_vccnz .LBB7_572
; %bb.570:
	s_waitcnt lgkmcnt(0)
	v_mul_hi_u32 v0, s13, v11
	s_and_not1_b32 vcc_lo, exec_lo, s30
	s_delay_alu instid0(VALU_DEP_1) | instskip(NEXT) | instid1(VALU_DEP_1)
	v_add_nc_u32_e32 v0, v11, v0
	v_lshrrev_b32_e32 v1, s14, v0
	s_delay_alu instid0(VALU_DEP_1) | instskip(NEXT) | instid1(VALU_DEP_1)
	v_mul_lo_u32 v0, v1, s12
	v_sub_nc_u32_e32 v0, v11, v0
	s_delay_alu instid0(VALU_DEP_1)
	v_mul_lo_u32 v2, v0, s8
	v_mul_lo_u32 v0, v0, s9
	s_cbranch_vccnz .LBB7_572
; %bb.571:
	v_mul_hi_u32 v3, s18, v1
	s_delay_alu instid0(VALU_DEP_1) | instskip(NEXT) | instid1(VALU_DEP_1)
	v_add_nc_u32_e32 v3, v1, v3
	v_lshrrev_b32_e32 v3, s19, v3
	s_delay_alu instid0(VALU_DEP_1) | instskip(NEXT) | instid1(VALU_DEP_1)
	v_mul_lo_u32 v3, v3, s15
	v_sub_nc_u32_e32 v3, v1, v3
	s_waitcnt vmcnt(0)
	s_delay_alu instid0(VALU_DEP_1) | instskip(SKIP_1) | instid1(VALU_DEP_2)
	v_mad_u64_u32 v[6:7], null, v3, s10, v[2:3]
	v_mad_u64_u32 v[1:2], null, v3, s11, v[0:1]
	v_mov_b32_e32 v2, v6
	s_delay_alu instid0(VALU_DEP_2)
	v_mov_b32_e32 v0, v1
.LBB7_572:
	v_cmp_gt_i16_e32 vcc_lo, 11, v10
	s_waitcnt lgkmcnt(0)
	s_delay_alu instid0(VALU_DEP_2) | instskip(NEXT) | instid1(VALU_DEP_1)
	v_add_co_u32 v0, s2, s6, v0
	v_add_co_ci_u32_e64 v1, null, s7, 0, s2
	s_mov_b32 s2, 0
	s_cbranch_vccnz .LBB7_579
; %bb.573:
	v_cmp_lt_i16_e32 vcc_lo, 25, v10
	s_cbranch_vccz .LBB7_580
; %bb.574:
	v_cmp_lt_i16_e32 vcc_lo, 28, v10
	s_cbranch_vccz .LBB7_581
	;; [unrolled: 3-line block ×4, first 2 shown]
; %bb.577:
	v_cmp_eq_u16_e32 vcc_lo, 46, v10
	s_mov_b32 s3, 0
	s_cbranch_vccz .LBB7_588
; %bb.578:
	global_load_b32 v3, v[0:1], off
	s_mov_b32 s2, -1
	s_mov_b32 s22, 0
	s_waitcnt vmcnt(0)
	v_lshlrev_b32_e32 v3, 16, v3
	s_delay_alu instid0(VALU_DEP_1)
	v_cvt_f64_f32_e32 v[6:7], v3
	s_branch .LBB7_590
.LBB7_579:
	s_mov_b32 s3, -1
	s_mov_b32 s22, s38
                                        ; implicit-def: $vgpr6_vgpr7
	s_branch .LBB7_655
.LBB7_580:
	s_mov_b32 s3, -1
	s_mov_b32 s22, s38
                                        ; implicit-def: $vgpr6_vgpr7
	s_branch .LBB7_621
.LBB7_581:
	s_mov_b32 s3, -1
	s_mov_b32 s22, s38
                                        ; implicit-def: $vgpr6_vgpr7
	s_branch .LBB7_600
.LBB7_582:
	s_mov_b32 s3, -1
	s_mov_b32 s22, s38
                                        ; implicit-def: $vgpr6_vgpr7
	s_branch .LBB7_595
.LBB7_583:
	s_or_saveexec_b32 s38, s38
                                        ; implicit-def: $sgpr39
	s_delay_alu instid0(SALU_CYCLE_1)
	s_xor_b32 exec_lo, exec_lo, s38
	s_cbranch_execz .LBB7_394
.LBB7_584:
	v_add_f32_e64 v3, 0x46000000, |v2|
	s_and_not1_b32 s23, s23, exec_lo
	s_mov_b32 s39, 0
	s_delay_alu instid0(VALU_DEP_1) | instskip(NEXT) | instid1(VALU_DEP_1)
	v_and_b32_e32 v3, 0xff, v3
	v_cmp_ne_u32_e32 vcc_lo, 0, v3
	s_and_b32 s41, vcc_lo, exec_lo
	s_delay_alu instid0(SALU_CYCLE_1)
	s_or_b32 s23, s23, s41
	s_or_b32 exec_lo, exec_lo, s38
	v_mov_b32_e32 v9, s39
	s_and_saveexec_b32 s38, s23
	s_cbranch_execnz .LBB7_395
	s_branch .LBB7_396
.LBB7_585:
	s_mov_b32 s3, -1
	s_mov_b32 s22, s38
	s_branch .LBB7_589
.LBB7_586:
	s_or_saveexec_b32 s38, s38
                                        ; implicit-def: $sgpr39
	s_delay_alu instid0(SALU_CYCLE_1)
	s_xor_b32 exec_lo, exec_lo, s38
	s_cbranch_execz .LBB7_407
.LBB7_587:
	v_add_f32_e64 v3, 0x42800000, |v2|
	s_and_not1_b32 s23, s23, exec_lo
	s_mov_b32 s39, 0
	s_delay_alu instid0(VALU_DEP_1) | instskip(NEXT) | instid1(VALU_DEP_1)
	v_and_b32_e32 v3, 0xff, v3
	v_cmp_ne_u32_e32 vcc_lo, 0, v3
	s_and_b32 s41, vcc_lo, exec_lo
	s_delay_alu instid0(SALU_CYCLE_1)
	s_or_b32 s23, s23, s41
	s_or_b32 exec_lo, exec_lo, s38
	v_mov_b32_e32 v9, s39
	s_and_saveexec_b32 s38, s23
	s_cbranch_execnz .LBB7_408
	s_branch .LBB7_409
.LBB7_588:
	s_mov_b32 s22, -1
.LBB7_589:
                                        ; implicit-def: $vgpr6_vgpr7
.LBB7_590:
	s_and_b32 vcc_lo, exec_lo, s3
	s_cbranch_vccz .LBB7_594
; %bb.591:
	v_cmp_eq_u16_e32 vcc_lo, 44, v10
	s_cbranch_vccz .LBB7_593
; %bb.592:
	global_load_u8 v3, v[0:1], off
	s_mov_b32 s22, 0
	s_mov_b32 s2, -1
	s_waitcnt vmcnt(0)
	v_lshlrev_b32_e32 v6, 23, v3
	v_cmp_ne_u32_e32 vcc_lo, 0xff, v3
	s_delay_alu instid0(VALU_DEP_2) | instskip(NEXT) | instid1(VALU_DEP_1)
	v_cvt_f64_f32_e32 v[6:7], v6
	v_cndmask_b32_e32 v6, 0x20000000, v6, vcc_lo
	s_delay_alu instid0(VALU_DEP_2) | instskip(SKIP_1) | instid1(VALU_DEP_2)
	v_cndmask_b32_e32 v7, 0x7ff80000, v7, vcc_lo
	v_cmp_ne_u32_e32 vcc_lo, 0, v3
	v_cndmask_b32_e32 v7, 0x38000000, v7, vcc_lo
	s_delay_alu instid0(VALU_DEP_4)
	v_cndmask_b32_e32 v6, 0, v6, vcc_lo
	s_branch .LBB7_594
.LBB7_593:
	s_mov_b32 s22, -1
                                        ; implicit-def: $vgpr6_vgpr7
.LBB7_594:
	s_mov_b32 s3, 0
.LBB7_595:
	s_delay_alu instid0(SALU_CYCLE_1)
	s_and_b32 vcc_lo, exec_lo, s3
	s_cbranch_vccz .LBB7_599
; %bb.596:
	v_cmp_eq_u16_e32 vcc_lo, 29, v10
	s_cbranch_vccz .LBB7_598
; %bb.597:
	global_load_b64 v[6:7], v[0:1], off
	s_mov_b32 s2, -1
	s_mov_b32 s22, 0
	s_mov_b32 s3, 0
	s_waitcnt vmcnt(0)
	v_cvt_f64_u32_e32 v[7:8], v7
	v_cvt_f64_u32_e32 v[12:13], v6
	s_delay_alu instid0(VALU_DEP_2) | instskip(NEXT) | instid1(VALU_DEP_1)
	v_ldexp_f64 v[7:8], v[7:8], 32
	v_add_f64 v[6:7], v[7:8], v[12:13]
	s_branch .LBB7_600
.LBB7_598:
	s_mov_b32 s22, -1
                                        ; implicit-def: $vgpr6_vgpr7
.LBB7_599:
	s_mov_b32 s3, 0
.LBB7_600:
	s_delay_alu instid0(SALU_CYCLE_1)
	s_and_b32 vcc_lo, exec_lo, s3
	s_cbranch_vccz .LBB7_620
; %bb.601:
	v_cmp_gt_i16_e32 vcc_lo, 27, v10
	s_cbranch_vccnz .LBB7_604
; %bb.602:
	v_cmp_lt_i16_e32 vcc_lo, 27, v10
	s_cbranch_vccz .LBB7_605
; %bb.603:
	global_load_b32 v3, v[0:1], off
	s_mov_b32 s2, 0
	s_waitcnt vmcnt(0)
	v_cvt_f64_u32_e32 v[6:7], v3
	s_branch .LBB7_606
.LBB7_604:
	s_mov_b32 s2, -1
                                        ; implicit-def: $vgpr6_vgpr7
	s_branch .LBB7_609
.LBB7_605:
	s_mov_b32 s2, -1
                                        ; implicit-def: $vgpr6_vgpr7
.LBB7_606:
	s_delay_alu instid0(SALU_CYCLE_1)
	s_and_not1_b32 vcc_lo, exec_lo, s2
	s_cbranch_vccnz .LBB7_608
; %bb.607:
	global_load_u16 v3, v[0:1], off
	s_waitcnt vmcnt(0)
	v_cvt_f64_u32_e32 v[6:7], v3
.LBB7_608:
	s_mov_b32 s2, 0
.LBB7_609:
	s_delay_alu instid0(SALU_CYCLE_1)
	s_and_not1_b32 vcc_lo, exec_lo, s2
	s_cbranch_vccnz .LBB7_619
; %bb.610:
	global_load_u8 v3, v[0:1], off
	s_mov_b32 s23, 0
	s_mov_b32 s42, exec_lo
                                        ; implicit-def: $sgpr2_sgpr3
	s_waitcnt vmcnt(0)
	v_cmpx_lt_i16_e32 0x7f, v3
	s_xor_b32 s42, exec_lo, s42
	s_cbranch_execz .LBB7_614
; %bb.611:
	s_mov_b32 s43, -1
	s_mov_b32 s23, exec_lo
                                        ; implicit-def: $sgpr2_sgpr3
	v_cmpx_eq_u16_e32 0x80, v3
; %bb.612:
	s_mov_b32 s3, 0x7ff80000
	s_brev_b32 s2, 4
	s_xor_b32 s43, exec_lo, -1
; %bb.613:
	s_or_b32 exec_lo, exec_lo, s23
	s_delay_alu instid0(SALU_CYCLE_1)
	s_and_b32 s23, s43, exec_lo
.LBB7_614:
	s_or_saveexec_b32 s42, s42
	v_dual_mov_b32 v7, s3 :: v_dual_mov_b32 v6, s2
	s_xor_b32 exec_lo, exec_lo, s42
; %bb.615:
	v_cmp_ne_u16_e32 vcc_lo, 0, v3
	v_mov_b32_e32 v6, 0
	v_mov_b32_e32 v7, 0
	s_and_not1_b32 s2, s23, exec_lo
	s_and_b32 s3, vcc_lo, exec_lo
	s_delay_alu instid0(SALU_CYCLE_1)
	s_or_b32 s23, s2, s3
; %bb.616:
	s_or_b32 exec_lo, exec_lo, s42
	s_and_saveexec_b32 s2, s23
	s_cbranch_execz .LBB7_618
; %bb.617:
	v_and_b32_e32 v6, 0xffff, v3
	v_lshlrev_b32_e32 v3, 24, v3
	s_delay_alu instid0(VALU_DEP_2) | instskip(NEXT) | instid1(VALU_DEP_2)
	v_and_b32_e32 v7, 7, v6
	v_and_b32_e32 v3, 0x80000000, v3
	s_delay_alu instid0(VALU_DEP_2) | instskip(NEXT) | instid1(VALU_DEP_1)
	v_clz_i32_u32_e32 v8, v7
	v_min_u32_e32 v8, 32, v8
	s_delay_alu instid0(VALU_DEP_1) | instskip(SKIP_1) | instid1(VALU_DEP_2)
	v_subrev_nc_u32_e32 v9, 28, v8
	v_sub_nc_u32_e32 v8, 29, v8
	v_lshlrev_b32_e32 v9, v9, v6
	v_bfe_u32 v6, v6, 3, 4
	s_delay_alu instid0(VALU_DEP_2) | instskip(NEXT) | instid1(VALU_DEP_2)
	v_and_b32_e32 v9, 7, v9
	v_cmp_eq_u32_e32 vcc_lo, 0, v6
	s_delay_alu instid0(VALU_DEP_2) | instskip(NEXT) | instid1(VALU_DEP_1)
	v_dual_cndmask_b32 v6, v6, v8 :: v_dual_cndmask_b32 v7, v7, v9
	v_lshl_add_u32 v6, v6, 23, 0x3b800000
	s_delay_alu instid0(VALU_DEP_2) | instskip(NEXT) | instid1(VALU_DEP_1)
	v_lshlrev_b32_e32 v7, 20, v7
	v_or3_b32 v3, v3, v6, v7
	s_delay_alu instid0(VALU_DEP_1)
	v_cvt_f64_f32_e32 v[6:7], v3
.LBB7_618:
	s_or_b32 exec_lo, exec_lo, s2
.LBB7_619:
	s_mov_b32 s2, -1
.LBB7_620:
	s_mov_b32 s3, 0
.LBB7_621:
	s_delay_alu instid0(SALU_CYCLE_1)
	s_and_b32 vcc_lo, exec_lo, s3
	s_cbranch_vccz .LBB7_654
; %bb.622:
	v_cmp_lt_i16_e32 vcc_lo, 22, v10
	s_cbranch_vccz .LBB7_634
; %bb.623:
	v_cmp_gt_i16_e32 vcc_lo, 24, v10
	s_cbranch_vccnz .LBB7_635
; %bb.624:
	v_cmp_lt_i16_e32 vcc_lo, 24, v10
	s_cbranch_vccz .LBB7_636
; %bb.625:
	global_load_u8 v3, v[0:1], off
	s_mov_b32 s23, 0
	s_mov_b32 s42, exec_lo
                                        ; implicit-def: $sgpr2_sgpr3
	s_waitcnt vmcnt(0)
	v_cmpx_lt_i16_e32 0x7f, v3
	s_xor_b32 s42, exec_lo, s42
	s_cbranch_execz .LBB7_629
; %bb.626:
	s_mov_b32 s43, -1
	s_mov_b32 s23, exec_lo
                                        ; implicit-def: $sgpr2_sgpr3
	v_cmpx_eq_u16_e32 0x80, v3
; %bb.627:
	s_mov_b32 s3, 0x7ff80000
	s_brev_b32 s2, 4
	s_xor_b32 s43, exec_lo, -1
; %bb.628:
	s_or_b32 exec_lo, exec_lo, s23
	s_delay_alu instid0(SALU_CYCLE_1)
	s_and_b32 s23, s43, exec_lo
.LBB7_629:
	s_or_saveexec_b32 s42, s42
	v_dual_mov_b32 v7, s3 :: v_dual_mov_b32 v6, s2
	s_xor_b32 exec_lo, exec_lo, s42
; %bb.630:
	v_cmp_ne_u16_e32 vcc_lo, 0, v3
	v_mov_b32_e32 v6, 0
	v_mov_b32_e32 v7, 0
	s_and_not1_b32 s2, s23, exec_lo
	s_and_b32 s3, vcc_lo, exec_lo
	s_delay_alu instid0(SALU_CYCLE_1)
	s_or_b32 s23, s2, s3
; %bb.631:
	s_or_b32 exec_lo, exec_lo, s42
	s_and_saveexec_b32 s2, s23
	s_cbranch_execz .LBB7_633
; %bb.632:
	v_and_b32_e32 v6, 0xffff, v3
	v_lshlrev_b32_e32 v3, 24, v3
	s_delay_alu instid0(VALU_DEP_2) | instskip(NEXT) | instid1(VALU_DEP_2)
	v_and_b32_e32 v7, 3, v6
	v_and_b32_e32 v3, 0x80000000, v3
	s_delay_alu instid0(VALU_DEP_2) | instskip(NEXT) | instid1(VALU_DEP_1)
	v_clz_i32_u32_e32 v8, v7
	v_min_u32_e32 v8, 32, v8
	s_delay_alu instid0(VALU_DEP_1) | instskip(SKIP_1) | instid1(VALU_DEP_2)
	v_subrev_nc_u32_e32 v9, 29, v8
	v_sub_nc_u32_e32 v8, 30, v8
	v_lshlrev_b32_e32 v9, v9, v6
	v_bfe_u32 v6, v6, 2, 5
	s_delay_alu instid0(VALU_DEP_2) | instskip(NEXT) | instid1(VALU_DEP_2)
	v_and_b32_e32 v9, 3, v9
	v_cmp_eq_u32_e32 vcc_lo, 0, v6
	s_delay_alu instid0(VALU_DEP_2) | instskip(NEXT) | instid1(VALU_DEP_1)
	v_dual_cndmask_b32 v6, v6, v8 :: v_dual_cndmask_b32 v7, v7, v9
	v_lshl_add_u32 v6, v6, 23, 0x37800000
	s_delay_alu instid0(VALU_DEP_2) | instskip(NEXT) | instid1(VALU_DEP_1)
	v_lshlrev_b32_e32 v7, 21, v7
	v_or3_b32 v3, v3, v6, v7
	s_delay_alu instid0(VALU_DEP_1)
	v_cvt_f64_f32_e32 v[6:7], v3
.LBB7_633:
	s_or_b32 exec_lo, exec_lo, s2
	s_mov_b32 s2, 0
	s_branch .LBB7_637
.LBB7_634:
	s_mov_b32 s3, -1
                                        ; implicit-def: $vgpr6_vgpr7
	s_branch .LBB7_643
.LBB7_635:
	s_mov_b32 s2, -1
                                        ; implicit-def: $vgpr6_vgpr7
	s_branch .LBB7_640
.LBB7_636:
	s_mov_b32 s2, -1
                                        ; implicit-def: $vgpr6_vgpr7
.LBB7_637:
	s_delay_alu instid0(SALU_CYCLE_1)
	s_and_b32 vcc_lo, exec_lo, s2
	s_cbranch_vccz .LBB7_639
; %bb.638:
	global_load_u8 v3, v[0:1], off
	s_waitcnt vmcnt(0)
	v_lshlrev_b32_e32 v3, 24, v3
	s_delay_alu instid0(VALU_DEP_1) | instskip(NEXT) | instid1(VALU_DEP_1)
	v_and_b32_e32 v6, 0x7f000000, v3
	v_clz_i32_u32_e32 v7, v6
	v_cmp_ne_u32_e32 vcc_lo, 0, v6
	v_add_nc_u32_e32 v9, 0x1000000, v6
	s_delay_alu instid0(VALU_DEP_3) | instskip(NEXT) | instid1(VALU_DEP_1)
	v_min_u32_e32 v7, 32, v7
	v_sub_nc_u32_e64 v7, v7, 4 clamp
	s_delay_alu instid0(VALU_DEP_1) | instskip(SKIP_1) | instid1(VALU_DEP_2)
	v_lshlrev_b32_e32 v8, v7, v6
	v_lshlrev_b32_e32 v7, 23, v7
	v_lshrrev_b32_e32 v8, 4, v8
	s_delay_alu instid0(VALU_DEP_1) | instskip(SKIP_1) | instid1(VALU_DEP_2)
	v_sub_nc_u32_e32 v7, v8, v7
	v_ashrrev_i32_e32 v8, 8, v9
	v_add_nc_u32_e32 v7, 0x3c000000, v7
	s_delay_alu instid0(VALU_DEP_1) | instskip(NEXT) | instid1(VALU_DEP_1)
	v_and_or_b32 v7, 0x7f800000, v8, v7
	v_cndmask_b32_e32 v6, 0, v7, vcc_lo
	s_delay_alu instid0(VALU_DEP_1) | instskip(NEXT) | instid1(VALU_DEP_1)
	v_and_or_b32 v3, 0x80000000, v3, v6
	v_cvt_f64_f32_e32 v[6:7], v3
.LBB7_639:
	s_mov_b32 s2, 0
.LBB7_640:
	s_delay_alu instid0(SALU_CYCLE_1)
	s_and_not1_b32 vcc_lo, exec_lo, s2
	s_cbranch_vccnz .LBB7_642
; %bb.641:
	global_load_u8 v3, v[0:1], off
	s_waitcnt vmcnt(0)
	v_lshlrev_b32_e32 v6, 25, v3
	v_lshlrev_b16 v3, 8, v3
	s_delay_alu instid0(VALU_DEP_2) | instskip(NEXT) | instid1(VALU_DEP_2)
	v_lshrrev_b32_e32 v7, 4, v6
	v_and_or_b32 v8, 0x7f00, v3, 0.5
	v_cmp_gt_u32_e32 vcc_lo, 0x8000000, v6
	v_bfe_i32 v3, v3, 0, 16
	s_delay_alu instid0(VALU_DEP_4) | instskip(NEXT) | instid1(VALU_DEP_1)
	v_or_b32_e32 v7, 0x70000000, v7
	v_dual_add_f32 v8, -0.5, v8 :: v_dual_mul_f32 v7, 0x7800000, v7
	s_delay_alu instid0(VALU_DEP_1) | instskip(NEXT) | instid1(VALU_DEP_1)
	v_cndmask_b32_e32 v6, v7, v8, vcc_lo
	v_and_or_b32 v3, 0x80000000, v3, v6
	s_delay_alu instid0(VALU_DEP_1)
	v_cvt_f64_f32_e32 v[6:7], v3
.LBB7_642:
	s_mov_b32 s3, 0
	s_mov_b32 s2, -1
.LBB7_643:
	s_and_not1_b32 vcc_lo, exec_lo, s3
	s_cbranch_vccnz .LBB7_654
; %bb.644:
	v_cmp_lt_i16_e32 vcc_lo, 14, v10
	s_cbranch_vccz .LBB7_647
; %bb.645:
	v_cmp_eq_u16_e32 vcc_lo, 15, v10
	s_cbranch_vccz .LBB7_648
; %bb.646:
	global_load_u16 v3, v[0:1], off
	s_mov_b32 s2, -1
	s_mov_b32 s22, 0
	s_waitcnt vmcnt(0)
	v_lshlrev_b32_e32 v3, 16, v3
	s_delay_alu instid0(VALU_DEP_1)
	v_cvt_f64_f32_e32 v[6:7], v3
	s_branch .LBB7_649
.LBB7_647:
	s_mov_b32 s3, -1
                                        ; implicit-def: $vgpr6_vgpr7
	s_branch .LBB7_650
.LBB7_648:
	s_mov_b32 s22, -1
                                        ; implicit-def: $vgpr6_vgpr7
.LBB7_649:
	s_mov_b32 s3, 0
.LBB7_650:
	s_delay_alu instid0(SALU_CYCLE_1)
	s_and_b32 vcc_lo, exec_lo, s3
	s_cbranch_vccz .LBB7_654
; %bb.651:
	v_cmp_eq_u16_e32 vcc_lo, 11, v10
	s_cbranch_vccz .LBB7_653
; %bb.652:
	global_load_u8 v3, v[0:1], off
	s_waitcnt vmcnt(1)
	v_mov_b32_e32 v6, 0
	s_mov_b32 s22, 0
	s_mov_b32 s2, -1
	s_waitcnt vmcnt(0)
	v_cmp_ne_u16_e32 vcc_lo, 0, v3
	v_cndmask_b32_e64 v7, 0, 0x3ff00000, vcc_lo
	s_branch .LBB7_654
.LBB7_653:
	s_mov_b32 s22, -1
                                        ; implicit-def: $vgpr6_vgpr7
.LBB7_654:
	s_mov_b32 s3, 0
.LBB7_655:
	s_delay_alu instid0(SALU_CYCLE_1)
	s_and_b32 vcc_lo, exec_lo, s3
	s_cbranch_vccz .LBB7_704
; %bb.656:
	v_cmp_gt_i16_e32 vcc_lo, 5, v10
	s_cbranch_vccnz .LBB7_661
; %bb.657:
	v_cmp_gt_i16_e32 vcc_lo, 8, v10
	s_cbranch_vccnz .LBB7_662
	;; [unrolled: 3-line block ×3, first 2 shown]
; %bb.659:
	v_cmp_lt_i16_e32 vcc_lo, 9, v10
	s_cbranch_vccz .LBB7_664
; %bb.660:
	global_load_b64 v[6:7], v[0:1], off
	s_mov_b32 s2, 0
	s_branch .LBB7_665
.LBB7_661:
	s_mov_b32 s2, -1
                                        ; implicit-def: $vgpr6_vgpr7
	s_branch .LBB7_683
.LBB7_662:
	s_mov_b32 s2, -1
                                        ; implicit-def: $vgpr6_vgpr7
	s_branch .LBB7_671
.LBB7_663:
	s_mov_b32 s2, -1
                                        ; implicit-def: $vgpr6_vgpr7
	s_branch .LBB7_668
.LBB7_664:
	s_mov_b32 s2, -1
                                        ; implicit-def: $vgpr6_vgpr7
.LBB7_665:
	s_delay_alu instid0(SALU_CYCLE_1)
	s_and_not1_b32 vcc_lo, exec_lo, s2
	s_cbranch_vccnz .LBB7_667
; %bb.666:
	global_load_b32 v3, v[0:1], off
	s_waitcnt vmcnt(0)
	v_cvt_f64_f32_e32 v[6:7], v3
.LBB7_667:
	s_mov_b32 s2, 0
.LBB7_668:
	s_delay_alu instid0(SALU_CYCLE_1)
	s_and_not1_b32 vcc_lo, exec_lo, s2
	s_cbranch_vccnz .LBB7_670
; %bb.669:
	global_load_b32 v3, v[0:1], off
	s_waitcnt vmcnt(0)
	v_cvt_f32_f16_e32 v3, v3
	s_delay_alu instid0(VALU_DEP_1)
	v_cvt_f64_f32_e32 v[6:7], v3
.LBB7_670:
	s_mov_b32 s2, 0
.LBB7_671:
	s_delay_alu instid0(SALU_CYCLE_1)
	s_and_not1_b32 vcc_lo, exec_lo, s2
	s_cbranch_vccnz .LBB7_682
; %bb.672:
	v_cmp_gt_i16_e32 vcc_lo, 6, v10
	s_cbranch_vccnz .LBB7_675
; %bb.673:
	v_cmp_lt_i16_e32 vcc_lo, 6, v10
	s_cbranch_vccz .LBB7_676
; %bb.674:
	global_load_b64 v[6:7], v[0:1], off
	s_mov_b32 s2, 0
	s_branch .LBB7_677
.LBB7_675:
	s_mov_b32 s2, -1
                                        ; implicit-def: $vgpr6_vgpr7
	s_branch .LBB7_680
.LBB7_676:
	s_mov_b32 s2, -1
                                        ; implicit-def: $vgpr6_vgpr7
.LBB7_677:
	s_delay_alu instid0(SALU_CYCLE_1)
	s_and_not1_b32 vcc_lo, exec_lo, s2
	s_cbranch_vccnz .LBB7_679
; %bb.678:
	global_load_b32 v3, v[0:1], off
	s_waitcnt vmcnt(0)
	v_cvt_f64_f32_e32 v[6:7], v3
.LBB7_679:
	s_mov_b32 s2, 0
.LBB7_680:
	s_delay_alu instid0(SALU_CYCLE_1)
	s_and_not1_b32 vcc_lo, exec_lo, s2
	s_cbranch_vccnz .LBB7_682
; %bb.681:
	global_load_u16 v3, v[0:1], off
	s_waitcnt vmcnt(0)
	v_cvt_f32_f16_e32 v3, v3
	s_delay_alu instid0(VALU_DEP_1)
	v_cvt_f64_f32_e32 v[6:7], v3
.LBB7_682:
	s_mov_b32 s2, 0
.LBB7_683:
	s_delay_alu instid0(SALU_CYCLE_1)
	s_and_not1_b32 vcc_lo, exec_lo, s2
	s_cbranch_vccnz .LBB7_703
; %bb.684:
	v_cmp_gt_i16_e32 vcc_lo, 2, v10
	s_cbranch_vccnz .LBB7_688
; %bb.685:
	v_cmp_gt_i16_e32 vcc_lo, 3, v10
	s_cbranch_vccnz .LBB7_689
; %bb.686:
	v_cmp_lt_i16_e32 vcc_lo, 3, v10
	s_cbranch_vccz .LBB7_690
; %bb.687:
	global_load_b64 v[6:7], v[0:1], off
	s_mov_b32 s2, 0
	s_waitcnt vmcnt(0)
	v_cvt_f64_i32_e32 v[7:8], v7
	v_cvt_f64_u32_e32 v[12:13], v6
	s_delay_alu instid0(VALU_DEP_2) | instskip(NEXT) | instid1(VALU_DEP_1)
	v_ldexp_f64 v[7:8], v[7:8], 32
	v_add_f64 v[6:7], v[7:8], v[12:13]
	s_branch .LBB7_691
.LBB7_688:
	s_mov_b32 s2, -1
                                        ; implicit-def: $vgpr6_vgpr7
	s_branch .LBB7_697
.LBB7_689:
	s_mov_b32 s2, -1
                                        ; implicit-def: $vgpr6_vgpr7
	s_branch .LBB7_694
.LBB7_690:
	s_mov_b32 s2, -1
                                        ; implicit-def: $vgpr6_vgpr7
.LBB7_691:
	s_delay_alu instid0(SALU_CYCLE_1)
	s_and_not1_b32 vcc_lo, exec_lo, s2
	s_cbranch_vccnz .LBB7_693
; %bb.692:
	global_load_b32 v3, v[0:1], off
	s_waitcnt vmcnt(0)
	v_cvt_f64_i32_e32 v[6:7], v3
.LBB7_693:
	s_mov_b32 s2, 0
.LBB7_694:
	s_delay_alu instid0(SALU_CYCLE_1)
	s_and_not1_b32 vcc_lo, exec_lo, s2
	s_cbranch_vccnz .LBB7_696
; %bb.695:
	global_load_i16 v3, v[0:1], off
	s_waitcnt vmcnt(0)
	v_cvt_f64_i32_e32 v[6:7], v3
.LBB7_696:
	s_mov_b32 s2, 0
.LBB7_697:
	s_delay_alu instid0(SALU_CYCLE_1)
	s_and_not1_b32 vcc_lo, exec_lo, s2
	s_cbranch_vccnz .LBB7_703
; %bb.698:
	v_cmp_lt_i16_e32 vcc_lo, 0, v10
	s_mov_b32 s2, 0
	s_cbranch_vccz .LBB7_700
; %bb.699:
	global_load_i8 v3, v[0:1], off
	s_waitcnt vmcnt(0)
	v_cvt_f64_i32_e32 v[6:7], v3
	s_branch .LBB7_701
.LBB7_700:
	s_mov_b32 s2, -1
                                        ; implicit-def: $vgpr6_vgpr7
.LBB7_701:
	s_delay_alu instid0(SALU_CYCLE_1)
	s_and_not1_b32 vcc_lo, exec_lo, s2
	s_cbranch_vccnz .LBB7_703
; %bb.702:
	global_load_u8 v0, v[0:1], off
	s_waitcnt vmcnt(0)
	v_cvt_f64_u32_e32 v[6:7], v0
.LBB7_703:
	s_mov_b32 s2, -1
.LBB7_704:
	s_delay_alu instid0(SALU_CYCLE_1)
	s_and_not1_b32 vcc_lo, exec_lo, s2
	s_cbranch_vccnz .LBB7_724
; %bb.705:
	s_waitcnt vmcnt(0)
	s_delay_alu instid0(VALU_DEP_1) | instskip(SKIP_2) | instid1(VALU_DEP_2)
	v_trunc_f64_e32 v[0:1], v[6:7]
	v_cmp_class_f64_e64 vcc_lo, v[6:7], 0x1f8
	s_mov_b32 s23, exec_lo
	v_ldexp_f64 v[8:9], v[0:1], 0xffffffe0
	s_delay_alu instid0(VALU_DEP_1) | instskip(NEXT) | instid1(VALU_DEP_1)
	v_floor_f64_e32 v[8:9], v[8:9]
	v_fma_f64 v[0:1], 0xc1f00000, v[8:9], v[0:1]
	v_cvt_i32_f64_e32 v3, v[8:9]
	s_delay_alu instid0(VALU_DEP_2) | instskip(NEXT) | instid1(VALU_DEP_1)
	v_cvt_u32_f64_e32 v0, v[0:1]
	v_dual_cndmask_b32 v7, -1, v3 :: v_dual_cndmask_b32 v6, -1, v0
	v_mov_b32_e32 v0, 0
	v_mov_b32_e32 v1, 0
	s_delay_alu instid0(VALU_DEP_3)
	v_cmpx_lt_i64_e32 -1, v[6:7]
	s_cbranch_execz .LBB7_717
; %bb.706:
	v_mov_b32_e32 v0, 0
	v_mov_b32_e32 v1, 0x3ff00000
	s_mov_b32 s42, exec_lo
	v_cmpx_lt_i64_e32 0, v[6:7]
	s_cbranch_execz .LBB7_716
; %bb.707:
                                        ; implicit-def: $vgpr0_vgpr1
	s_mov_b32 s2, exec_lo
	v_cmpx_ne_u64_e32 1, v[6:7]
	s_xor_b32 s43, exec_lo, s2
	s_cbranch_execz .LBB7_713
; %bb.708:
	v_mov_b32_e32 v0, 0
	v_mov_b32_e32 v1, 0x7ff80000
	s_mov_b32 s44, exec_lo
	v_cmpx_gt_u64_e32 0x201, v[6:7]
	s_cbranch_execz .LBB7_712
; %bb.709:
	v_mov_b32_e32 v8, 0
	v_lshlrev_b64 v[6:7], 1, v[6:7]
	v_dual_mov_b32 v9, 0x3ff00000 :: v_dual_mov_b32 v0, v4
	v_mov_b32_e32 v1, v5
	s_mov_b64 s[2:3], 2
	s_mov_b32 s45, 0
.LBB7_710:                              ; =>This Inner Loop Header: Depth=1
	v_cvt_f64_u32_e32 v[12:13], s3
	v_cvt_f64_u32_e32 v[14:15], s2
	s_add_u32 s2, s2, 2
	s_addc_u32 s3, s3, 0
	s_delay_alu instid0(SALU_CYCLE_1) | instskip(SKIP_1) | instid1(VALU_DEP_3)
	v_cmp_ge_u64_e32 vcc_lo, s[2:3], v[6:7]
	s_or_b32 s45, vcc_lo, s45
	v_ldexp_f64 v[12:13], v[12:13], 32
	s_delay_alu instid0(VALU_DEP_1) | instskip(NEXT) | instid1(VALU_DEP_1)
	v_add_f64 v[12:13], v[12:13], v[14:15]
	v_mul_f64 v[8:9], v[8:9], v[12:13]
	v_dual_mov_b32 v13, v1 :: v_dual_mov_b32 v12, v0
	s_delay_alu instid0(VALU_DEP_1)
	v_fma_f64 v[0:1], v[4:5], v[12:13], -v[8:9]
	v_dual_mov_b32 v8, v12 :: v_dual_mov_b32 v9, v13
	s_and_not1_b32 exec_lo, exec_lo, s45
	s_cbranch_execnz .LBB7_710
; %bb.711:
	s_or_b32 exec_lo, exec_lo, s45
.LBB7_712:
	s_delay_alu instid0(SALU_CYCLE_1)
	s_or_b32 exec_lo, exec_lo, s44
.LBB7_713:
	s_and_not1_saveexec_b32 s2, s43
; %bb.714:
	v_dual_mov_b32 v0, v4 :: v_dual_mov_b32 v1, v5
; %bb.715:
	s_or_b32 exec_lo, exec_lo, s2
.LBB7_716:
	s_delay_alu instid0(SALU_CYCLE_1)
	s_or_b32 exec_lo, exec_lo, s42
.LBB7_717:
	s_delay_alu instid0(SALU_CYCLE_1) | instskip(SKIP_2) | instid1(VALU_DEP_1)
	s_or_b32 exec_lo, exec_lo, s23
	v_and_b32_e64 v8, 0xff, s29
	v_add_co_u32 v6, s2, s4, v2
	v_add_co_ci_u32_e64 v7, null, s5, 0, s2
	s_delay_alu instid0(VALU_DEP_3)
	v_cmp_gt_i16_e32 vcc_lo, 11, v8
	s_mov_b32 s3, 0
	s_mov_b32 s23, -1
	s_mov_b32 s2, s39
	s_cbranch_vccnz .LBB7_725
; %bb.718:
	v_cmp_lt_i16_e32 vcc_lo, 25, v8
	s_cbranch_vccz .LBB7_766
; %bb.719:
	v_cmp_lt_i16_e32 vcc_lo, 28, v8
	s_cbranch_vccz .LBB7_767
	;; [unrolled: 3-line block ×4, first 2 shown]
; %bb.722:
	v_cmp_eq_u16_e32 vcc_lo, 46, v8
	s_mov_b32 s23, 0
	s_mov_b32 s2, -1
	s_cbranch_vccz .LBB7_770
; %bb.723:
	v_cvt_f32_f64_e32 v2, v[0:1]
	s_mov_b32 s3, -1
	s_mov_b32 s2, 0
	s_delay_alu instid0(VALU_DEP_1) | instskip(SKIP_1) | instid1(VALU_DEP_2)
	v_bfe_u32 v3, v2, 16, 1
	v_cmp_o_f32_e32 vcc_lo, v2, v2
	v_add3_u32 v3, v2, v3, 0x7fff
	s_delay_alu instid0(VALU_DEP_1) | instskip(NEXT) | instid1(VALU_DEP_1)
	v_lshrrev_b32_e32 v3, 16, v3
	v_cndmask_b32_e32 v2, 0x7fc0, v3, vcc_lo
	global_store_b32 v[6:7], v2, off
	s_branch .LBB7_770
.LBB7_724:
	s_mov_b32 s3, 0
	s_mov_b32 s2, s39
	s_branch .LBB7_765
.LBB7_725:
	s_and_b32 vcc_lo, exec_lo, s23
	s_cbranch_vccz .LBB7_839
; %bb.726:
	v_cmp_gt_i16_e32 vcc_lo, 5, v8
	s_mov_b32 s3, -1
	s_cbranch_vccnz .LBB7_747
; %bb.727:
	v_cmp_gt_i16_e32 vcc_lo, 8, v8
	s_cbranch_vccnz .LBB7_737
; %bb.728:
	v_cmp_gt_i16_e32 vcc_lo, 9, v8
	s_cbranch_vccnz .LBB7_734
; %bb.729:
	v_cmp_lt_i16_e32 vcc_lo, 9, v8
	s_cbranch_vccz .LBB7_731
; %bb.730:
	v_mov_b32_e32 v2, 0
	s_mov_b32 s3, 0
	s_delay_alu instid0(VALU_DEP_1)
	v_mov_b32_e32 v3, v2
	global_store_b128 v[6:7], v[0:3], off
.LBB7_731:
	s_and_not1_b32 vcc_lo, exec_lo, s3
	s_cbranch_vccnz .LBB7_733
; %bb.732:
	v_cvt_f32_f64_e32 v2, v[0:1]
	v_mov_b32_e32 v3, 0
	global_store_b64 v[6:7], v[2:3], off
.LBB7_733:
	s_mov_b32 s3, 0
.LBB7_734:
	s_delay_alu instid0(SALU_CYCLE_1)
	s_and_not1_b32 vcc_lo, exec_lo, s3
	s_cbranch_vccnz .LBB7_736
; %bb.735:
	v_cvt_f32_f64_e32 v2, v[0:1]
	s_delay_alu instid0(VALU_DEP_1) | instskip(NEXT) | instid1(VALU_DEP_1)
	v_cvt_f16_f32_e32 v2, v2
	v_and_b32_e32 v2, 0xffff, v2
	global_store_b32 v[6:7], v2, off
.LBB7_736:
	s_mov_b32 s3, 0
.LBB7_737:
	s_delay_alu instid0(SALU_CYCLE_1)
	s_and_not1_b32 vcc_lo, exec_lo, s3
	s_cbranch_vccnz .LBB7_746
; %bb.738:
	v_cmp_gt_i16_e32 vcc_lo, 6, v8
	s_mov_b32 s3, -1
	s_cbranch_vccnz .LBB7_744
; %bb.739:
	v_cmp_lt_i16_e32 vcc_lo, 6, v8
	s_cbranch_vccz .LBB7_741
; %bb.740:
	s_mov_b32 s3, 0
	global_store_b64 v[6:7], v[0:1], off
.LBB7_741:
	s_and_not1_b32 vcc_lo, exec_lo, s3
	s_cbranch_vccnz .LBB7_743
; %bb.742:
	v_cvt_f32_f64_e32 v2, v[0:1]
	global_store_b32 v[6:7], v2, off
.LBB7_743:
	s_mov_b32 s3, 0
.LBB7_744:
	s_delay_alu instid0(SALU_CYCLE_1)
	s_and_not1_b32 vcc_lo, exec_lo, s3
	s_cbranch_vccnz .LBB7_746
; %bb.745:
	v_cvt_f32_f64_e32 v2, v[0:1]
	s_delay_alu instid0(VALU_DEP_1)
	v_cvt_f16_f32_e32 v2, v2
	global_store_b16 v[6:7], v2, off
.LBB7_746:
	s_mov_b32 s3, 0
.LBB7_747:
	s_delay_alu instid0(SALU_CYCLE_1)
	s_and_not1_b32 vcc_lo, exec_lo, s3
	s_cbranch_vccnz .LBB7_763
; %bb.748:
	v_cmp_gt_i16_e32 vcc_lo, 2, v8
	s_mov_b32 s3, -1
	s_cbranch_vccnz .LBB7_758
; %bb.749:
	v_cmp_gt_i16_e32 vcc_lo, 3, v8
	s_cbranch_vccnz .LBB7_755
; %bb.750:
	v_cmp_lt_i16_e32 vcc_lo, 3, v8
	s_cbranch_vccz .LBB7_752
; %bb.751:
	v_trunc_f64_e32 v[2:3], v[0:1]
	s_mov_b32 s3, 0
	s_delay_alu instid0(VALU_DEP_1) | instskip(NEXT) | instid1(VALU_DEP_1)
	v_ldexp_f64 v[12:13], v[2:3], 0xffffffe0
	v_floor_f64_e32 v[12:13], v[12:13]
	s_delay_alu instid0(VALU_DEP_1) | instskip(SKIP_1) | instid1(VALU_DEP_2)
	v_fma_f64 v[2:3], 0xc1f00000, v[12:13], v[2:3]
	v_cvt_i32_f64_e32 v13, v[12:13]
	v_cvt_u32_f64_e32 v12, v[2:3]
	global_store_b64 v[6:7], v[12:13], off
.LBB7_752:
	s_and_not1_b32 vcc_lo, exec_lo, s3
	s_cbranch_vccnz .LBB7_754
; %bb.753:
	v_cvt_i32_f64_e32 v2, v[0:1]
	global_store_b32 v[6:7], v2, off
.LBB7_754:
	s_mov_b32 s3, 0
.LBB7_755:
	s_delay_alu instid0(SALU_CYCLE_1)
	s_and_not1_b32 vcc_lo, exec_lo, s3
	s_cbranch_vccnz .LBB7_757
; %bb.756:
	v_cvt_i32_f64_e32 v2, v[0:1]
	global_store_b16 v[6:7], v2, off
.LBB7_757:
	s_mov_b32 s3, 0
.LBB7_758:
	s_delay_alu instid0(SALU_CYCLE_1)
	s_and_not1_b32 vcc_lo, exec_lo, s3
	s_cbranch_vccnz .LBB7_763
; %bb.759:
	v_cmp_lt_i16_e32 vcc_lo, 0, v8
	s_mov_b32 s3, -1
	s_cbranch_vccz .LBB7_761
; %bb.760:
	v_cvt_i32_f64_e32 v2, v[0:1]
	s_mov_b32 s3, 0
	global_store_b8 v[6:7], v2, off
.LBB7_761:
	s_and_not1_b32 vcc_lo, exec_lo, s3
	s_cbranch_vccnz .LBB7_763
; %bb.762:
	v_trunc_f64_e32 v[0:1], v[0:1]
	s_delay_alu instid0(VALU_DEP_1) | instskip(NEXT) | instid1(VALU_DEP_1)
	v_ldexp_f64 v[2:3], v[0:1], 0xffffffe0
	v_floor_f64_e32 v[2:3], v[2:3]
	s_delay_alu instid0(VALU_DEP_1) | instskip(NEXT) | instid1(VALU_DEP_1)
	v_fma_f64 v[0:1], 0xc1f00000, v[2:3], v[0:1]
	v_cvt_u32_f64_e32 v0, v[0:1]
	global_store_b8 v[6:7], v0, off
.LBB7_763:
	s_branch .LBB7_840
.LBB7_764:
	s_mov_b32 s3, 0
.LBB7_765:
                                        ; implicit-def: $vgpr11
	s_branch .LBB7_841
.LBB7_766:
	s_mov_b32 s2, s39
	s_branch .LBB7_797
.LBB7_767:
	s_mov_b32 s2, s39
	s_branch .LBB7_780
.LBB7_768:
	s_mov_b32 s2, s39
	s_branch .LBB7_776
.LBB7_769:
	s_mov_b32 s2, s39
.LBB7_770:
	s_and_b32 vcc_lo, exec_lo, s23
	s_cbranch_vccz .LBB7_775
; %bb.771:
	v_cmp_eq_u16_e32 vcc_lo, 44, v8
	s_mov_b32 s2, -1
	s_cbranch_vccz .LBB7_775
; %bb.772:
	v_cvt_f32_f64_e32 v2, v[0:1]
	v_mov_b32_e32 v3, 0xff
	s_mov_b32 s3, exec_lo
	s_delay_alu instid0(VALU_DEP_2) | instskip(NEXT) | instid1(VALU_DEP_1)
	v_bfe_u32 v9, v2, 23, 8
	v_cmpx_ne_u32_e32 0xff, v9
; %bb.773:
	v_and_b32_e32 v3, 0x400000, v2
	v_and_or_b32 v9, 0x3fffff, v2, v9
	v_lshrrev_b32_e32 v2, 23, v2
	s_delay_alu instid0(VALU_DEP_3) | instskip(NEXT) | instid1(VALU_DEP_3)
	v_cmp_ne_u32_e32 vcc_lo, 0, v3
	v_cmp_ne_u32_e64 s2, 0, v9
	s_delay_alu instid0(VALU_DEP_1) | instskip(NEXT) | instid1(SALU_CYCLE_1)
	s_and_b32 s2, vcc_lo, s2
	v_cndmask_b32_e64 v3, 0, 1, s2
	s_delay_alu instid0(VALU_DEP_1)
	v_add_nc_u32_e32 v3, v2, v3
; %bb.774:
	s_or_b32 exec_lo, exec_lo, s3
	s_mov_b32 s3, -1
	s_mov_b32 s2, 0
	global_store_b8 v[6:7], v3, off
.LBB7_775:
	s_mov_b32 s23, 0
.LBB7_776:
	s_delay_alu instid0(SALU_CYCLE_1)
	s_and_b32 vcc_lo, exec_lo, s23
	s_cbranch_vccz .LBB7_779
; %bb.777:
	v_cmp_eq_u16_e32 vcc_lo, 29, v8
	s_mov_b32 s2, -1
	s_cbranch_vccz .LBB7_779
; %bb.778:
	v_trunc_f64_e32 v[2:3], v[0:1]
	s_mov_b32 s3, -1
	s_mov_b32 s2, 0
	s_mov_b32 s23, 0
	s_delay_alu instid0(VALU_DEP_1) | instskip(NEXT) | instid1(VALU_DEP_1)
	v_ldexp_f64 v[12:13], v[2:3], 0xffffffe0
	v_floor_f64_e32 v[12:13], v[12:13]
	s_delay_alu instid0(VALU_DEP_1) | instskip(SKIP_1) | instid1(VALU_DEP_2)
	v_fma_f64 v[2:3], 0xc1f00000, v[12:13], v[2:3]
	v_cvt_u32_f64_e32 v13, v[12:13]
	v_cvt_u32_f64_e32 v12, v[2:3]
	global_store_b64 v[6:7], v[12:13], off
	s_branch .LBB7_780
.LBB7_779:
	s_mov_b32 s23, 0
.LBB7_780:
	s_delay_alu instid0(SALU_CYCLE_1)
	s_and_b32 vcc_lo, exec_lo, s23
	s_cbranch_vccz .LBB7_796
; %bb.781:
	v_cmp_gt_i16_e32 vcc_lo, 27, v8
	s_mov_b32 s3, -1
	s_cbranch_vccnz .LBB7_787
; %bb.782:
	v_cmp_lt_i16_e32 vcc_lo, 27, v8
	s_cbranch_vccz .LBB7_784
; %bb.783:
	v_cvt_u32_f64_e32 v2, v[0:1]
	s_mov_b32 s3, 0
	global_store_b32 v[6:7], v2, off
.LBB7_784:
	s_and_not1_b32 vcc_lo, exec_lo, s3
	s_cbranch_vccnz .LBB7_786
; %bb.785:
	v_cvt_u32_f64_e32 v2, v[0:1]
	global_store_b16 v[6:7], v2, off
.LBB7_786:
	s_mov_b32 s3, 0
.LBB7_787:
	s_delay_alu instid0(SALU_CYCLE_1)
	s_and_not1_b32 vcc_lo, exec_lo, s3
	s_cbranch_vccnz .LBB7_795
; %bb.788:
	v_cvt_f32_f64_e32 v2, v[0:1]
	v_mov_b32_e32 v9, 0x80
	s_mov_b32 s3, exec_lo
	s_delay_alu instid0(VALU_DEP_2) | instskip(NEXT) | instid1(VALU_DEP_1)
	v_and_b32_e32 v3, 0x7fffffff, v2
	v_cmpx_gt_u32_e32 0x43800000, v3
	s_cbranch_execz .LBB7_794
; %bb.789:
	v_cmp_lt_u32_e32 vcc_lo, 0x3bffffff, v3
	s_mov_b32 s23, 0
                                        ; implicit-def: $vgpr3
	s_and_saveexec_b32 s42, vcc_lo
	s_delay_alu instid0(SALU_CYCLE_1)
	s_xor_b32 s42, exec_lo, s42
	s_cbranch_execz .LBB7_868
; %bb.790:
	v_bfe_u32 v3, v2, 20, 1
	s_mov_b32 s23, exec_lo
	s_delay_alu instid0(VALU_DEP_1) | instskip(NEXT) | instid1(VALU_DEP_1)
	v_add3_u32 v3, v2, v3, 0x487ffff
	v_lshrrev_b32_e32 v3, 20, v3
	s_or_saveexec_b32 s42, s42
                                        ; implicit-def: $sgpr43
	s_delay_alu instid0(SALU_CYCLE_1)
	s_xor_b32 exec_lo, exec_lo, s42
	s_cbranch_execnz .LBB7_869
.LBB7_791:
	s_or_b32 exec_lo, exec_lo, s42
	v_mov_b32_e32 v9, s43
	s_and_saveexec_b32 s42, s23
.LBB7_792:
	v_lshrrev_b32_e32 v2, 24, v2
	s_delay_alu instid0(VALU_DEP_1)
	v_and_or_b32 v9, 0x80, v2, v3
.LBB7_793:
	s_or_b32 exec_lo, exec_lo, s42
.LBB7_794:
	s_delay_alu instid0(SALU_CYCLE_1)
	s_or_b32 exec_lo, exec_lo, s3
	global_store_b8 v[6:7], v9, off
.LBB7_795:
	s_mov_b32 s3, -1
.LBB7_796:
	s_mov_b32 s23, 0
.LBB7_797:
	s_delay_alu instid0(SALU_CYCLE_1)
	s_and_b32 vcc_lo, exec_lo, s23
	s_cbranch_vccz .LBB7_838
; %bb.798:
	v_cmp_lt_i16_e32 vcc_lo, 22, v8
	s_mov_b32 s23, -1
	s_cbranch_vccz .LBB7_830
; %bb.799:
	v_cmp_gt_i16_e32 vcc_lo, 24, v8
	s_mov_b32 s3, -1
	s_cbranch_vccnz .LBB7_819
; %bb.800:
	v_cmp_lt_i16_e32 vcc_lo, 24, v8
	s_cbranch_vccz .LBB7_808
; %bb.801:
	v_cvt_f32_f64_e32 v2, v[0:1]
	v_mov_b32_e32 v9, 0x80
	s_mov_b32 s3, exec_lo
	s_delay_alu instid0(VALU_DEP_2) | instskip(NEXT) | instid1(VALU_DEP_1)
	v_and_b32_e32 v3, 0x7fffffff, v2
	v_cmpx_gt_u32_e32 0x47800000, v3
	s_cbranch_execz .LBB7_807
; %bb.802:
	v_cmp_lt_u32_e32 vcc_lo, 0x37ffffff, v3
	s_mov_b32 s23, 0
                                        ; implicit-def: $vgpr3
	s_and_saveexec_b32 s42, vcc_lo
	s_delay_alu instid0(SALU_CYCLE_1)
	s_xor_b32 s42, exec_lo, s42
	s_cbranch_execz .LBB7_871
; %bb.803:
	v_bfe_u32 v3, v2, 21, 1
	s_mov_b32 s23, exec_lo
	s_delay_alu instid0(VALU_DEP_1) | instskip(NEXT) | instid1(VALU_DEP_1)
	v_add3_u32 v3, v2, v3, 0x88fffff
	v_lshrrev_b32_e32 v3, 21, v3
	s_or_saveexec_b32 s42, s42
                                        ; implicit-def: $sgpr43
	s_delay_alu instid0(SALU_CYCLE_1)
	s_xor_b32 exec_lo, exec_lo, s42
	s_cbranch_execnz .LBB7_872
.LBB7_804:
	s_or_b32 exec_lo, exec_lo, s42
	v_mov_b32_e32 v9, s43
	s_and_saveexec_b32 s42, s23
.LBB7_805:
	v_lshrrev_b32_e32 v2, 24, v2
	s_delay_alu instid0(VALU_DEP_1)
	v_and_or_b32 v9, 0x80, v2, v3
.LBB7_806:
	s_or_b32 exec_lo, exec_lo, s42
.LBB7_807:
	s_delay_alu instid0(SALU_CYCLE_1)
	s_or_b32 exec_lo, exec_lo, s3
	s_mov_b32 s3, 0
	global_store_b8 v[6:7], v9, off
.LBB7_808:
	s_and_b32 vcc_lo, exec_lo, s3
	s_cbranch_vccz .LBB7_818
; %bb.809:
	v_cvt_f32_f64_e32 v2, v[0:1]
	s_mov_b32 s3, exec_lo
                                        ; implicit-def: $vgpr3
	s_delay_alu instid0(VALU_DEP_1) | instskip(NEXT) | instid1(VALU_DEP_1)
	v_and_b32_e32 v9, 0x7fffffff, v2
	v_cmpx_gt_u32_e32 0x43f00000, v9
	s_xor_b32 s3, exec_lo, s3
	s_cbranch_execz .LBB7_815
; %bb.810:
	s_mov_b32 s23, exec_lo
                                        ; implicit-def: $vgpr3
	v_cmpx_lt_u32_e32 0x3c7fffff, v9
	s_xor_b32 s23, exec_lo, s23
; %bb.811:
	v_bfe_u32 v3, v2, 20, 1
	s_delay_alu instid0(VALU_DEP_1) | instskip(NEXT) | instid1(VALU_DEP_1)
	v_add3_u32 v3, v2, v3, 0x407ffff
	v_and_b32_e32 v9, 0xff00000, v3
	v_lshrrev_b32_e32 v3, 20, v3
	s_delay_alu instid0(VALU_DEP_2) | instskip(NEXT) | instid1(VALU_DEP_2)
	v_cmp_ne_u32_e32 vcc_lo, 0x7f00000, v9
	v_cndmask_b32_e32 v3, 0x7e, v3, vcc_lo
; %bb.812:
	s_and_not1_saveexec_b32 s23, s23
; %bb.813:
	v_add_f32_e64 v3, 0x46800000, |v2|
; %bb.814:
	s_or_b32 exec_lo, exec_lo, s23
                                        ; implicit-def: $vgpr9
.LBB7_815:
	s_and_not1_saveexec_b32 s3, s3
; %bb.816:
	v_mov_b32_e32 v3, 0x7f
	v_cmp_lt_u32_e32 vcc_lo, 0x7f800000, v9
	s_delay_alu instid0(VALU_DEP_2)
	v_cndmask_b32_e32 v3, 0x7e, v3, vcc_lo
; %bb.817:
	s_or_b32 exec_lo, exec_lo, s3
	v_lshrrev_b32_e32 v2, 24, v2
	s_delay_alu instid0(VALU_DEP_1)
	v_and_or_b32 v2, 0x80, v2, v3
	global_store_b8 v[6:7], v2, off
.LBB7_818:
	s_mov_b32 s3, 0
.LBB7_819:
	s_delay_alu instid0(SALU_CYCLE_1)
	s_and_not1_b32 vcc_lo, exec_lo, s3
	s_cbranch_vccnz .LBB7_829
; %bb.820:
	v_cvt_f32_f64_e32 v2, v[0:1]
	s_mov_b32 s3, exec_lo
                                        ; implicit-def: $vgpr3
	s_delay_alu instid0(VALU_DEP_1) | instskip(NEXT) | instid1(VALU_DEP_1)
	v_and_b32_e32 v9, 0x7fffffff, v2
	v_cmpx_gt_u32_e32 0x47800000, v9
	s_xor_b32 s3, exec_lo, s3
	s_cbranch_execz .LBB7_826
; %bb.821:
	s_mov_b32 s23, exec_lo
                                        ; implicit-def: $vgpr3
	v_cmpx_lt_u32_e32 0x387fffff, v9
	s_xor_b32 s23, exec_lo, s23
; %bb.822:
	v_bfe_u32 v3, v2, 21, 1
	s_delay_alu instid0(VALU_DEP_1) | instskip(NEXT) | instid1(VALU_DEP_1)
	v_add3_u32 v3, v2, v3, 0x80fffff
	v_lshrrev_b32_e32 v3, 21, v3
; %bb.823:
	s_and_not1_saveexec_b32 s23, s23
; %bb.824:
	v_add_f32_e64 v3, 0x43000000, |v2|
; %bb.825:
	s_or_b32 exec_lo, exec_lo, s23
                                        ; implicit-def: $vgpr9
.LBB7_826:
	s_and_not1_saveexec_b32 s3, s3
; %bb.827:
	v_mov_b32_e32 v3, 0x7f
	v_cmp_lt_u32_e32 vcc_lo, 0x7f800000, v9
	s_delay_alu instid0(VALU_DEP_2)
	v_cndmask_b32_e32 v3, 0x7c, v3, vcc_lo
; %bb.828:
	s_or_b32 exec_lo, exec_lo, s3
	v_lshrrev_b32_e32 v2, 24, v2
	s_delay_alu instid0(VALU_DEP_1)
	v_and_or_b32 v2, 0x80, v2, v3
	global_store_b8 v[6:7], v2, off
.LBB7_829:
	s_mov_b32 s23, 0
	s_mov_b32 s3, -1
.LBB7_830:
	s_and_not1_b32 vcc_lo, exec_lo, s23
	s_cbranch_vccnz .LBB7_838
; %bb.831:
	v_cmp_lt_i16_e32 vcc_lo, 14, v8
	s_mov_b32 s23, -1
	s_cbranch_vccz .LBB7_835
; %bb.832:
	v_cmp_eq_u16_e32 vcc_lo, 15, v8
	s_mov_b32 s2, -1
	s_cbranch_vccz .LBB7_834
; %bb.833:
	v_cvt_f32_f64_e32 v2, v[0:1]
	s_mov_b32 s3, -1
	s_mov_b32 s2, 0
	s_delay_alu instid0(VALU_DEP_1) | instskip(SKIP_1) | instid1(VALU_DEP_2)
	v_bfe_u32 v3, v2, 16, 1
	v_cmp_o_f32_e32 vcc_lo, v2, v2
	v_add3_u32 v3, v2, v3, 0x7fff
	s_delay_alu instid0(VALU_DEP_1) | instskip(NEXT) | instid1(VALU_DEP_1)
	v_lshrrev_b32_e32 v3, 16, v3
	v_cndmask_b32_e32 v2, 0x7fc0, v3, vcc_lo
	global_store_b16 v[6:7], v2, off
.LBB7_834:
	s_mov_b32 s23, 0
.LBB7_835:
	s_delay_alu instid0(SALU_CYCLE_1)
	s_and_b32 vcc_lo, exec_lo, s23
	s_cbranch_vccz .LBB7_838
; %bb.836:
	v_cmp_eq_u16_e32 vcc_lo, 11, v8
	s_mov_b32 s2, -1
	s_cbranch_vccz .LBB7_838
; %bb.837:
	v_cmp_neq_f64_e32 vcc_lo, 0, v[0:1]
	s_mov_b32 s3, -1
	s_mov_b32 s2, 0
	v_cndmask_b32_e64 v2, 0, 1, vcc_lo
	global_store_b8 v[6:7], v2, off
.LBB7_838:
.LBB7_839:
	s_and_not1_b32 vcc_lo, exec_lo, s3
	s_cbranch_vccnz .LBB7_764
.LBB7_840:
	v_add_nc_u32_e32 v11, 0x80, v11
	s_mov_b32 s3, -1
.LBB7_841:
	s_and_not1_b32 s23, s39, exec_lo
	s_and_b32 s2, s2, exec_lo
	s_and_not1_b32 s42, s38, exec_lo
	s_and_b32 s22, s22, exec_lo
	s_or_b32 s23, s23, s2
	s_or_b32 s22, s42, s22
	s_or_not1_b32 s43, s3, exec_lo
.LBB7_842:
	s_or_b32 exec_lo, exec_lo, s41
	s_mov_b32 s2, 0
	s_mov_b32 s3, 0
	;; [unrolled: 1-line block ×3, first 2 shown]
                                        ; implicit-def: $vgpr0_vgpr1
                                        ; implicit-def: $vgpr2
                                        ; implicit-def: $vgpr8_vgpr9
	s_and_saveexec_b32 s41, s43
	s_cbranch_execz .LBB7_940
; %bb.843:
	v_cmp_gt_i32_e32 vcc_lo, s31, v11
	s_mov_b32 s43, s22
                                        ; implicit-def: $vgpr0_vgpr1
                                        ; implicit-def: $vgpr2
                                        ; implicit-def: $vgpr8_vgpr9
	s_and_saveexec_b32 s31, vcc_lo
	s_cbranch_execz .LBB7_939
; %bb.844:
	s_and_not1_b32 vcc_lo, exec_lo, s27
	s_cbranch_vccnz .LBB7_849
; %bb.845:
	v_mov_b32_e32 v2, 0
	v_mov_b32_e32 v0, 0
	s_and_not1_b32 vcc_lo, exec_lo, s34
	s_mov_b32 s34, 0
	s_cbranch_vccnz .LBB7_854
; %bb.846:
	v_mov_b32_e32 v2, 0
	s_add_i32 s42, s33, 1
	s_cmp_eq_u32 s25, 2
	s_mov_b32 s33, 0
	s_cbranch_scc1 .LBB7_850
; %bb.847:
	v_dual_mov_b32 v0, 0 :: v_dual_mov_b32 v1, v11
	v_mov_b32_e32 v2, 0
	s_and_b32 s33, s42, 28
	s_mov_b32 s43, 0
	s_mov_b64 s[2:3], s[16:17]
.LBB7_848:                              ; =>This Inner Loop Header: Depth=1
	s_clause 0x1
	s_load_b256 s[44:51], s[2:3], 0x4
	s_load_b128 s[60:63], s[2:3], 0x24
	s_load_b256 s[52:59], s[20:21], 0x0
	s_add_u32 s2, s2, 48
	s_addc_u32 s3, s3, 0
	s_add_i32 s43, s43, 4
	s_add_u32 s20, s20, 32
	s_addc_u32 s21, s21, 0
	s_cmp_eq_u32 s33, s43
	s_waitcnt lgkmcnt(0)
	v_mul_hi_u32 v3, s45, v1
	s_delay_alu instid0(VALU_DEP_1) | instskip(NEXT) | instid1(VALU_DEP_1)
	v_add_nc_u32_e32 v3, v1, v3
	v_lshrrev_b32_e32 v3, s46, v3
	s_waitcnt vmcnt(0)
	s_delay_alu instid0(VALU_DEP_1) | instskip(SKIP_1) | instid1(VALU_DEP_2)
	v_mul_hi_u32 v6, s48, v3
	v_mul_lo_u32 v8, v3, s44
	v_add_nc_u32_e32 v6, v3, v6
	s_delay_alu instid0(VALU_DEP_2) | instskip(NEXT) | instid1(VALU_DEP_2)
	v_sub_nc_u32_e32 v1, v1, v8
	v_lshrrev_b32_e32 v6, s49, v6
	s_delay_alu instid0(VALU_DEP_2) | instskip(SKIP_1) | instid1(VALU_DEP_3)
	v_mul_lo_u32 v8, v1, s52
	v_mul_lo_u32 v12, v1, s53
	v_mul_hi_u32 v7, s51, v6
	s_delay_alu instid0(VALU_DEP_1) | instskip(NEXT) | instid1(VALU_DEP_1)
	v_add_nc_u32_e32 v7, v6, v7
	v_lshrrev_b32_e32 v7, s60, v7
	s_delay_alu instid0(VALU_DEP_1) | instskip(SKIP_1) | instid1(VALU_DEP_2)
	v_mul_hi_u32 v9, s62, v7
	v_mul_lo_u32 v13, v7, s50
	v_add_nc_u32_e32 v1, v7, v9
	v_mul_lo_u32 v9, v6, s47
	s_delay_alu instid0(VALU_DEP_3) | instskip(NEXT) | instid1(VALU_DEP_3)
	v_sub_nc_u32_e32 v6, v6, v13
	v_lshrrev_b32_e32 v1, s63, v1
	s_delay_alu instid0(VALU_DEP_2) | instskip(SKIP_2) | instid1(VALU_DEP_4)
	v_mul_lo_u32 v13, v6, s56
	v_mul_lo_u32 v6, v6, s57
	v_sub_nc_u32_e32 v3, v3, v9
	v_mul_lo_u32 v14, v1, s61
	s_delay_alu instid0(VALU_DEP_2) | instskip(SKIP_1) | instid1(VALU_DEP_3)
	v_mul_lo_u32 v9, v3, s54
	v_mul_lo_u32 v3, v3, s55
	v_sub_nc_u32_e32 v7, v7, v14
	s_delay_alu instid0(VALU_DEP_3) | instskip(NEXT) | instid1(VALU_DEP_2)
	v_add3_u32 v2, v8, v2, v9
	v_mul_lo_u32 v14, v7, s58
	v_mul_lo_u32 v7, v7, s59
	v_add3_u32 v0, v12, v0, v3
	s_delay_alu instid0(VALU_DEP_3) | instskip(NEXT) | instid1(VALU_DEP_2)
	v_add3_u32 v2, v13, v2, v14
	v_add3_u32 v0, v6, v0, v7
	s_cbranch_scc0 .LBB7_848
	s_branch .LBB7_851
.LBB7_849:
	s_mov_b32 s34, -1
                                        ; implicit-def: $vgpr2
                                        ; implicit-def: $vgpr0
	s_branch .LBB7_854
.LBB7_850:
	v_dual_mov_b32 v1, v11 :: v_dual_mov_b32 v0, 0
.LBB7_851:
	s_and_b32 s42, s42, 3
	s_delay_alu instid0(SALU_CYCLE_1)
	s_cmp_eq_u32 s42, 0
	s_cbranch_scc1 .LBB7_854
; %bb.852:
	s_lshl_b32 s2, s33, 3
	s_mul_i32 s20, s33, 12
	s_add_u32 s2, s2, s16
	s_addc_u32 s3, s17, 0
	s_add_u32 s2, s2, 0xc4
	s_addc_u32 s3, s3, 0
	;; [unrolled: 2-line block ×3, first 2 shown]
.LBB7_853:                              ; =>This Inner Loop Header: Depth=1
	s_clause 0x1
	s_load_b64 s[44:45], s[20:21], 0x4
	s_load_b32 s33, s[20:21], 0xc
	s_load_b64 s[46:47], s[2:3], 0x0
	s_add_u32 s20, s20, 12
	s_addc_u32 s21, s21, 0
	s_add_u32 s2, s2, 8
	s_addc_u32 s3, s3, 0
	s_add_i32 s42, s42, -1
	s_delay_alu instid0(SALU_CYCLE_1) | instskip(SKIP_2) | instid1(VALU_DEP_1)
	s_cmp_lg_u32 s42, 0
	s_waitcnt lgkmcnt(0)
	v_mul_hi_u32 v3, s45, v1
	v_add_nc_u32_e32 v3, v1, v3
	s_delay_alu instid0(VALU_DEP_1) | instskip(SKIP_1) | instid1(VALU_DEP_1)
	v_lshrrev_b32_e32 v3, s33, v3
	s_waitcnt vmcnt(0)
	v_mul_lo_u32 v6, v3, s44
	s_delay_alu instid0(VALU_DEP_1) | instskip(NEXT) | instid1(VALU_DEP_1)
	v_sub_nc_u32_e32 v1, v1, v6
	v_mad_u64_u32 v[6:7], null, v1, s46, v[2:3]
	v_mad_u64_u32 v[7:8], null, v1, s47, v[0:1]
	s_delay_alu instid0(VALU_DEP_2) | instskip(NEXT) | instid1(VALU_DEP_2)
	v_dual_mov_b32 v1, v3 :: v_dual_mov_b32 v2, v6
	v_mov_b32_e32 v0, v7
	s_cbranch_scc1 .LBB7_853
.LBB7_854:
	s_and_not1_b32 vcc_lo, exec_lo, s34
	s_cbranch_vccnz .LBB7_857
; %bb.855:
	s_waitcnt lgkmcnt(0)
	v_mul_hi_u32 v0, s13, v11
	s_and_not1_b32 vcc_lo, exec_lo, s30
	s_delay_alu instid0(VALU_DEP_1) | instskip(NEXT) | instid1(VALU_DEP_1)
	v_add_nc_u32_e32 v0, v11, v0
	v_lshrrev_b32_e32 v1, s14, v0
	s_delay_alu instid0(VALU_DEP_1) | instskip(NEXT) | instid1(VALU_DEP_1)
	v_mul_lo_u32 v0, v1, s12
	v_sub_nc_u32_e32 v0, v11, v0
	s_delay_alu instid0(VALU_DEP_1)
	v_mul_lo_u32 v2, v0, s8
	v_mul_lo_u32 v0, v0, s9
	s_cbranch_vccnz .LBB7_857
; %bb.856:
	v_mul_hi_u32 v3, s18, v1
	s_delay_alu instid0(VALU_DEP_1) | instskip(NEXT) | instid1(VALU_DEP_1)
	v_add_nc_u32_e32 v3, v1, v3
	v_lshrrev_b32_e32 v3, s19, v3
	s_delay_alu instid0(VALU_DEP_1) | instskip(NEXT) | instid1(VALU_DEP_1)
	v_mul_lo_u32 v3, v3, s15
	v_sub_nc_u32_e32 v3, v1, v3
	s_waitcnt vmcnt(0)
	s_delay_alu instid0(VALU_DEP_1) | instskip(SKIP_1) | instid1(VALU_DEP_2)
	v_mad_u64_u32 v[6:7], null, v3, s10, v[2:3]
	v_mad_u64_u32 v[1:2], null, v3, s11, v[0:1]
	v_mov_b32_e32 v2, v6
	s_delay_alu instid0(VALU_DEP_2)
	v_mov_b32_e32 v0, v1
.LBB7_857:
	v_cmp_gt_i16_e32 vcc_lo, 11, v10
	s_waitcnt lgkmcnt(0)
	s_delay_alu instid0(VALU_DEP_2) | instskip(NEXT) | instid1(VALU_DEP_1)
	v_add_co_u32 v0, s2, s6, v0
	v_add_co_ci_u32_e64 v1, null, s7, 0, s2
	s_mov_b32 s2, 0
	s_cbranch_vccnz .LBB7_864
; %bb.858:
	v_cmp_lt_i16_e32 vcc_lo, 25, v10
	s_mov_b32 s7, 0
	s_cbranch_vccz .LBB7_865
; %bb.859:
	v_cmp_lt_i16_e32 vcc_lo, 28, v10
	s_cbranch_vccz .LBB7_866
; %bb.860:
	v_cmp_lt_i16_e32 vcc_lo, 43, v10
	;; [unrolled: 3-line block ×3, first 2 shown]
	s_cbranch_vccz .LBB7_870
; %bb.862:
	v_cmp_eq_u16_e32 vcc_lo, 46, v10
	s_mov_b32 s3, 0
	s_cbranch_vccz .LBB7_873
; %bb.863:
	global_load_b32 v3, v[0:1], off
	s_mov_b32 s6, 0
	s_mov_b32 s2, -1
	s_waitcnt vmcnt(0)
	v_lshlrev_b32_e32 v3, 16, v3
	s_delay_alu instid0(VALU_DEP_1)
	v_cvt_f64_f32_e32 v[8:9], v3
	s_branch .LBB7_875
.LBB7_864:
	s_mov_b32 s3, -1
	s_mov_b32 s7, 0
	s_mov_b32 s6, s22
                                        ; implicit-def: $vgpr8_vgpr9
	s_branch .LBB7_938
.LBB7_865:
	s_mov_b32 s3, -1
	s_mov_b32 s6, s22
                                        ; implicit-def: $vgpr8_vgpr9
	s_branch .LBB7_906
.LBB7_866:
	s_mov_b32 s3, -1
	s_mov_b32 s6, s22
                                        ; implicit-def: $vgpr8_vgpr9
	s_branch .LBB7_885
.LBB7_867:
	s_mov_b32 s3, -1
	s_mov_b32 s6, s22
                                        ; implicit-def: $vgpr8_vgpr9
	s_branch .LBB7_880
.LBB7_868:
	s_or_saveexec_b32 s42, s42
                                        ; implicit-def: $sgpr43
	s_delay_alu instid0(SALU_CYCLE_1)
	s_xor_b32 exec_lo, exec_lo, s42
	s_cbranch_execz .LBB7_791
.LBB7_869:
	v_add_f32_e64 v3, 0x46000000, |v2|
	s_and_not1_b32 s23, s23, exec_lo
	s_mov_b32 s43, 0
	s_delay_alu instid0(VALU_DEP_1) | instskip(NEXT) | instid1(VALU_DEP_1)
	v_and_b32_e32 v3, 0xff, v3
	v_cmp_ne_u32_e32 vcc_lo, 0, v3
	s_and_b32 s44, vcc_lo, exec_lo
	s_delay_alu instid0(SALU_CYCLE_1)
	s_or_b32 s23, s23, s44
	s_or_b32 exec_lo, exec_lo, s42
	v_mov_b32_e32 v9, s43
	s_and_saveexec_b32 s42, s23
	s_cbranch_execnz .LBB7_792
	s_branch .LBB7_793
.LBB7_870:
	s_mov_b32 s3, -1
	s_mov_b32 s6, s22
	s_branch .LBB7_874
.LBB7_871:
	s_or_saveexec_b32 s42, s42
                                        ; implicit-def: $sgpr43
	s_delay_alu instid0(SALU_CYCLE_1)
	s_xor_b32 exec_lo, exec_lo, s42
	s_cbranch_execz .LBB7_804
.LBB7_872:
	v_add_f32_e64 v3, 0x42800000, |v2|
	s_and_not1_b32 s23, s23, exec_lo
	s_mov_b32 s43, 0
	s_delay_alu instid0(VALU_DEP_1) | instskip(NEXT) | instid1(VALU_DEP_1)
	v_and_b32_e32 v3, 0xff, v3
	v_cmp_ne_u32_e32 vcc_lo, 0, v3
	s_and_b32 s44, vcc_lo, exec_lo
	s_delay_alu instid0(SALU_CYCLE_1)
	s_or_b32 s23, s23, s44
	s_or_b32 exec_lo, exec_lo, s42
	v_mov_b32_e32 v9, s43
	s_and_saveexec_b32 s42, s23
	s_cbranch_execnz .LBB7_805
	s_branch .LBB7_806
.LBB7_873:
	s_mov_b32 s6, -1
.LBB7_874:
                                        ; implicit-def: $vgpr8_vgpr9
.LBB7_875:
	s_and_b32 vcc_lo, exec_lo, s3
	s_cbranch_vccz .LBB7_879
; %bb.876:
	v_cmp_eq_u16_e32 vcc_lo, 44, v10
	s_cbranch_vccz .LBB7_878
; %bb.877:
	global_load_u8 v3, v[0:1], off
	s_mov_b32 s6, 0
	s_mov_b32 s2, -1
	s_waitcnt vmcnt(0)
	v_lshlrev_b32_e32 v6, 23, v3
	v_cmp_ne_u32_e32 vcc_lo, 0xff, v3
	s_delay_alu instid0(VALU_DEP_2) | instskip(NEXT) | instid1(VALU_DEP_1)
	v_cvt_f64_f32_e32 v[6:7], v6
	v_cndmask_b32_e32 v6, 0x20000000, v6, vcc_lo
	s_delay_alu instid0(VALU_DEP_2) | instskip(SKIP_1) | instid1(VALU_DEP_2)
	v_cndmask_b32_e32 v7, 0x7ff80000, v7, vcc_lo
	v_cmp_ne_u32_e32 vcc_lo, 0, v3
	v_cndmask_b32_e32 v9, 0x38000000, v7, vcc_lo
	s_delay_alu instid0(VALU_DEP_4)
	v_cndmask_b32_e32 v8, 0, v6, vcc_lo
	s_branch .LBB7_879
.LBB7_878:
	s_mov_b32 s6, -1
                                        ; implicit-def: $vgpr8_vgpr9
.LBB7_879:
	s_mov_b32 s3, 0
.LBB7_880:
	s_delay_alu instid0(SALU_CYCLE_1)
	s_and_b32 vcc_lo, exec_lo, s3
	s_cbranch_vccz .LBB7_884
; %bb.881:
	v_cmp_eq_u16_e32 vcc_lo, 29, v10
	s_cbranch_vccz .LBB7_883
; %bb.882:
	global_load_b64 v[6:7], v[0:1], off
	s_mov_b32 s6, 0
	s_mov_b32 s2, -1
	s_mov_b32 s3, 0
	s_waitcnt vmcnt(0)
	v_cvt_f64_u32_e32 v[7:8], v7
	v_cvt_f64_u32_e32 v[11:12], v6
	s_delay_alu instid0(VALU_DEP_2) | instskip(NEXT) | instid1(VALU_DEP_1)
	v_ldexp_f64 v[7:8], v[7:8], 32
	v_add_f64 v[8:9], v[7:8], v[11:12]
	s_branch .LBB7_885
.LBB7_883:
	s_mov_b32 s6, -1
                                        ; implicit-def: $vgpr8_vgpr9
.LBB7_884:
	s_mov_b32 s3, 0
.LBB7_885:
	s_delay_alu instid0(SALU_CYCLE_1)
	s_and_b32 vcc_lo, exec_lo, s3
	s_cbranch_vccz .LBB7_905
; %bb.886:
	v_cmp_gt_i16_e32 vcc_lo, 27, v10
	s_cbranch_vccnz .LBB7_889
; %bb.887:
	v_cmp_lt_i16_e32 vcc_lo, 27, v10
	s_cbranch_vccz .LBB7_890
; %bb.888:
	global_load_b32 v3, v[0:1], off
	s_mov_b32 s2, 0
	s_waitcnt vmcnt(0)
	v_cvt_f64_u32_e32 v[8:9], v3
	s_branch .LBB7_891
.LBB7_889:
	s_mov_b32 s2, -1
                                        ; implicit-def: $vgpr8_vgpr9
	s_branch .LBB7_894
.LBB7_890:
	s_mov_b32 s2, -1
                                        ; implicit-def: $vgpr8_vgpr9
.LBB7_891:
	s_delay_alu instid0(SALU_CYCLE_1)
	s_and_not1_b32 vcc_lo, exec_lo, s2
	s_cbranch_vccnz .LBB7_893
; %bb.892:
	global_load_u16 v3, v[0:1], off
	s_waitcnt vmcnt(0)
	v_cvt_f64_u32_e32 v[8:9], v3
.LBB7_893:
	s_mov_b32 s2, 0
.LBB7_894:
	s_delay_alu instid0(SALU_CYCLE_1)
	s_and_not1_b32 vcc_lo, exec_lo, s2
	s_cbranch_vccnz .LBB7_904
; %bb.895:
	global_load_u8 v3, v[0:1], off
	s_mov_b32 s8, 0
	s_mov_b32 s9, exec_lo
                                        ; implicit-def: $sgpr2_sgpr3
	s_waitcnt vmcnt(0)
	v_cmpx_lt_i16_e32 0x7f, v3
	s_xor_b32 s9, exec_lo, s9
	s_cbranch_execz .LBB7_899
; %bb.896:
	s_mov_b32 s10, -1
	s_mov_b32 s8, exec_lo
                                        ; implicit-def: $sgpr2_sgpr3
	v_cmpx_eq_u16_e32 0x80, v3
; %bb.897:
	s_mov_b32 s3, 0x7ff80000
	s_brev_b32 s2, 4
	s_xor_b32 s10, exec_lo, -1
; %bb.898:
	s_or_b32 exec_lo, exec_lo, s8
	s_delay_alu instid0(SALU_CYCLE_1)
	s_and_b32 s8, s10, exec_lo
.LBB7_899:
	s_or_saveexec_b32 s9, s9
	v_dual_mov_b32 v9, s3 :: v_dual_mov_b32 v8, s2
	s_xor_b32 exec_lo, exec_lo, s9
; %bb.900:
	v_cmp_ne_u16_e32 vcc_lo, 0, v3
	v_mov_b32_e32 v8, 0
	v_mov_b32_e32 v9, 0
	s_and_not1_b32 s2, s8, exec_lo
	s_and_b32 s3, vcc_lo, exec_lo
	s_delay_alu instid0(SALU_CYCLE_1)
	s_or_b32 s8, s2, s3
; %bb.901:
	s_or_b32 exec_lo, exec_lo, s9
	s_and_saveexec_b32 s2, s8
	s_cbranch_execz .LBB7_903
; %bb.902:
	v_and_b32_e32 v6, 0xffff, v3
	v_lshlrev_b32_e32 v3, 24, v3
	s_delay_alu instid0(VALU_DEP_2) | instskip(NEXT) | instid1(VALU_DEP_2)
	v_and_b32_e32 v7, 7, v6
	v_and_b32_e32 v3, 0x80000000, v3
	s_delay_alu instid0(VALU_DEP_2) | instskip(NEXT) | instid1(VALU_DEP_1)
	v_clz_i32_u32_e32 v8, v7
	v_min_u32_e32 v8, 32, v8
	s_delay_alu instid0(VALU_DEP_1) | instskip(SKIP_1) | instid1(VALU_DEP_2)
	v_subrev_nc_u32_e32 v9, 28, v8
	v_sub_nc_u32_e32 v8, 29, v8
	v_lshlrev_b32_e32 v9, v9, v6
	v_bfe_u32 v6, v6, 3, 4
	s_delay_alu instid0(VALU_DEP_2) | instskip(NEXT) | instid1(VALU_DEP_2)
	v_and_b32_e32 v9, 7, v9
	v_cmp_eq_u32_e32 vcc_lo, 0, v6
	s_delay_alu instid0(VALU_DEP_2) | instskip(NEXT) | instid1(VALU_DEP_1)
	v_dual_cndmask_b32 v6, v6, v8 :: v_dual_cndmask_b32 v7, v7, v9
	v_lshl_add_u32 v6, v6, 23, 0x3b800000
	s_delay_alu instid0(VALU_DEP_2) | instskip(NEXT) | instid1(VALU_DEP_1)
	v_lshlrev_b32_e32 v7, 20, v7
	v_or3_b32 v3, v3, v6, v7
	s_delay_alu instid0(VALU_DEP_1)
	v_cvt_f64_f32_e32 v[8:9], v3
.LBB7_903:
	s_or_b32 exec_lo, exec_lo, s2
.LBB7_904:
	s_mov_b32 s2, -1
.LBB7_905:
	s_mov_b32 s3, 0
.LBB7_906:
	s_delay_alu instid0(SALU_CYCLE_1)
	s_and_b32 vcc_lo, exec_lo, s3
	s_cbranch_vccz .LBB7_937
; %bb.907:
	v_cmp_lt_i16_e32 vcc_lo, 22, v10
	s_cbranch_vccz .LBB7_919
; %bb.908:
	v_cmp_gt_i16_e32 vcc_lo, 24, v10
	s_cbranch_vccnz .LBB7_920
; %bb.909:
	v_cmp_lt_i16_e32 vcc_lo, 24, v10
	s_cbranch_vccz .LBB7_921
; %bb.910:
	global_load_u8 v3, v[0:1], off
	s_mov_b32 s8, exec_lo
                                        ; implicit-def: $sgpr2_sgpr3
	s_waitcnt vmcnt(0)
	v_cmpx_lt_i16_e32 0x7f, v3
	s_xor_b32 s8, exec_lo, s8
	s_cbranch_execz .LBB7_914
; %bb.911:
	s_mov_b32 s9, -1
	s_mov_b32 s7, exec_lo
                                        ; implicit-def: $sgpr2_sgpr3
	v_cmpx_eq_u16_e32 0x80, v3
; %bb.912:
	s_mov_b32 s3, 0x7ff80000
	s_brev_b32 s2, 4
	s_xor_b32 s9, exec_lo, -1
; %bb.913:
	s_or_b32 exec_lo, exec_lo, s7
	s_delay_alu instid0(SALU_CYCLE_1)
	s_and_b32 s7, s9, exec_lo
.LBB7_914:
	s_or_saveexec_b32 s8, s8
	v_dual_mov_b32 v9, s3 :: v_dual_mov_b32 v8, s2
	s_xor_b32 exec_lo, exec_lo, s8
; %bb.915:
	v_cmp_ne_u16_e32 vcc_lo, 0, v3
	v_mov_b32_e32 v8, 0
	v_mov_b32_e32 v9, 0
	s_and_not1_b32 s2, s7, exec_lo
	s_and_b32 s3, vcc_lo, exec_lo
	s_delay_alu instid0(SALU_CYCLE_1)
	s_or_b32 s7, s2, s3
; %bb.916:
	s_or_b32 exec_lo, exec_lo, s8
	s_and_saveexec_b32 s2, s7
	s_cbranch_execz .LBB7_918
; %bb.917:
	v_and_b32_e32 v6, 0xffff, v3
	v_lshlrev_b32_e32 v3, 24, v3
	s_delay_alu instid0(VALU_DEP_2) | instskip(NEXT) | instid1(VALU_DEP_2)
	v_and_b32_e32 v7, 3, v6
	v_and_b32_e32 v3, 0x80000000, v3
	s_delay_alu instid0(VALU_DEP_2) | instskip(NEXT) | instid1(VALU_DEP_1)
	v_clz_i32_u32_e32 v8, v7
	v_min_u32_e32 v8, 32, v8
	s_delay_alu instid0(VALU_DEP_1) | instskip(SKIP_1) | instid1(VALU_DEP_2)
	v_subrev_nc_u32_e32 v9, 29, v8
	v_sub_nc_u32_e32 v8, 30, v8
	v_lshlrev_b32_e32 v9, v9, v6
	v_bfe_u32 v6, v6, 2, 5
	s_delay_alu instid0(VALU_DEP_2) | instskip(NEXT) | instid1(VALU_DEP_2)
	v_and_b32_e32 v9, 3, v9
	v_cmp_eq_u32_e32 vcc_lo, 0, v6
	s_delay_alu instid0(VALU_DEP_2) | instskip(NEXT) | instid1(VALU_DEP_1)
	v_dual_cndmask_b32 v6, v6, v8 :: v_dual_cndmask_b32 v7, v7, v9
	v_lshl_add_u32 v6, v6, 23, 0x37800000
	s_delay_alu instid0(VALU_DEP_2) | instskip(NEXT) | instid1(VALU_DEP_1)
	v_lshlrev_b32_e32 v7, 21, v7
	v_or3_b32 v3, v3, v6, v7
	s_delay_alu instid0(VALU_DEP_1)
	v_cvt_f64_f32_e32 v[8:9], v3
.LBB7_918:
	s_or_b32 exec_lo, exec_lo, s2
	s_mov_b32 s2, 0
	s_branch .LBB7_922
.LBB7_919:
	s_mov_b32 s3, -1
                                        ; implicit-def: $vgpr8_vgpr9
	s_branch .LBB7_928
.LBB7_920:
	s_mov_b32 s2, -1
                                        ; implicit-def: $vgpr8_vgpr9
	s_branch .LBB7_925
.LBB7_921:
	s_mov_b32 s2, -1
                                        ; implicit-def: $vgpr8_vgpr9
.LBB7_922:
	s_delay_alu instid0(SALU_CYCLE_1)
	s_and_b32 vcc_lo, exec_lo, s2
	s_cbranch_vccz .LBB7_924
; %bb.923:
	global_load_u8 v3, v[0:1], off
	s_waitcnt vmcnt(0)
	v_lshlrev_b32_e32 v3, 24, v3
	s_delay_alu instid0(VALU_DEP_1) | instskip(NEXT) | instid1(VALU_DEP_1)
	v_and_b32_e32 v6, 0x7f000000, v3
	v_clz_i32_u32_e32 v7, v6
	v_cmp_ne_u32_e32 vcc_lo, 0, v6
	v_add_nc_u32_e32 v9, 0x1000000, v6
	s_delay_alu instid0(VALU_DEP_3) | instskip(NEXT) | instid1(VALU_DEP_1)
	v_min_u32_e32 v7, 32, v7
	v_sub_nc_u32_e64 v7, v7, 4 clamp
	s_delay_alu instid0(VALU_DEP_1) | instskip(SKIP_1) | instid1(VALU_DEP_2)
	v_lshlrev_b32_e32 v8, v7, v6
	v_lshlrev_b32_e32 v7, 23, v7
	v_lshrrev_b32_e32 v8, 4, v8
	s_delay_alu instid0(VALU_DEP_1) | instskip(SKIP_1) | instid1(VALU_DEP_2)
	v_sub_nc_u32_e32 v7, v8, v7
	v_ashrrev_i32_e32 v8, 8, v9
	v_add_nc_u32_e32 v7, 0x3c000000, v7
	s_delay_alu instid0(VALU_DEP_1) | instskip(NEXT) | instid1(VALU_DEP_1)
	v_and_or_b32 v7, 0x7f800000, v8, v7
	v_cndmask_b32_e32 v6, 0, v7, vcc_lo
	s_delay_alu instid0(VALU_DEP_1) | instskip(NEXT) | instid1(VALU_DEP_1)
	v_and_or_b32 v3, 0x80000000, v3, v6
	v_cvt_f64_f32_e32 v[8:9], v3
.LBB7_924:
	s_mov_b32 s2, 0
.LBB7_925:
	s_delay_alu instid0(SALU_CYCLE_1)
	s_and_not1_b32 vcc_lo, exec_lo, s2
	s_cbranch_vccnz .LBB7_927
; %bb.926:
	global_load_u8 v3, v[0:1], off
	s_waitcnt vmcnt(0)
	v_lshlrev_b32_e32 v6, 25, v3
	v_lshlrev_b16 v3, 8, v3
	s_delay_alu instid0(VALU_DEP_2) | instskip(NEXT) | instid1(VALU_DEP_2)
	v_lshrrev_b32_e32 v7, 4, v6
	v_and_or_b32 v8, 0x7f00, v3, 0.5
	v_cmp_gt_u32_e32 vcc_lo, 0x8000000, v6
	v_bfe_i32 v3, v3, 0, 16
	s_delay_alu instid0(VALU_DEP_4) | instskip(NEXT) | instid1(VALU_DEP_1)
	v_or_b32_e32 v7, 0x70000000, v7
	v_dual_add_f32 v8, -0.5, v8 :: v_dual_mul_f32 v7, 0x7800000, v7
	s_delay_alu instid0(VALU_DEP_1) | instskip(NEXT) | instid1(VALU_DEP_1)
	v_cndmask_b32_e32 v6, v7, v8, vcc_lo
	v_and_or_b32 v3, 0x80000000, v3, v6
	s_delay_alu instid0(VALU_DEP_1)
	v_cvt_f64_f32_e32 v[8:9], v3
.LBB7_927:
	s_mov_b32 s3, 0
	s_mov_b32 s2, -1
.LBB7_928:
	s_and_not1_b32 vcc_lo, exec_lo, s3
	s_mov_b32 s7, 0
	s_cbranch_vccnz .LBB7_937
; %bb.929:
	v_cmp_lt_i16_e32 vcc_lo, 14, v10
	s_cbranch_vccz .LBB7_932
; %bb.930:
	v_cmp_eq_u16_e32 vcc_lo, 15, v10
	s_cbranch_vccz .LBB7_933
; %bb.931:
	global_load_u16 v3, v[0:1], off
	s_mov_b32 s6, 0
	s_mov_b32 s2, -1
	s_waitcnt vmcnt(0)
	v_lshlrev_b32_e32 v3, 16, v3
	s_delay_alu instid0(VALU_DEP_1)
	v_cvt_f64_f32_e32 v[8:9], v3
	s_branch .LBB7_934
.LBB7_932:
	s_mov_b32 s3, -1
                                        ; implicit-def: $vgpr8_vgpr9
	s_branch .LBB7_935
.LBB7_933:
	s_mov_b32 s6, -1
                                        ; implicit-def: $vgpr8_vgpr9
.LBB7_934:
	s_mov_b32 s3, 0
.LBB7_935:
	s_delay_alu instid0(SALU_CYCLE_1)
	s_and_b32 vcc_lo, exec_lo, s3
	s_cbranch_vccz .LBB7_937
; %bb.936:
	v_cmp_ne_u16_e32 vcc_lo, 11, v10
	s_and_not1_b32 s3, s6, exec_lo
	s_mov_b32 s7, -1
                                        ; implicit-def: $vgpr8_vgpr9
	s_and_b32 s6, vcc_lo, exec_lo
	s_delay_alu instid0(SALU_CYCLE_1)
	s_or_b32 s6, s3, s6
.LBB7_937:
	s_mov_b32 s3, 0
.LBB7_938:
	s_and_not1_b32 s8, s22, exec_lo
	s_and_b32 s6, s6, exec_lo
	s_and_b32 s42, s2, exec_lo
	;; [unrolled: 1-line block ×4, first 2 shown]
	s_or_b32 s43, s8, s6
.LBB7_939:
	s_or_b32 exec_lo, exec_lo, s31
	s_waitcnt lgkmcnt(0)
	s_and_not1_b32 s6, s22, exec_lo
	s_and_b32 s7, s43, exec_lo
	s_and_b32 s42, s42, exec_lo
	;; [unrolled: 1-line block ×4, first 2 shown]
	s_or_b32 s22, s6, s7
.LBB7_940:
	s_or_b32 exec_lo, exec_lo, s41
	s_waitcnt lgkmcnt(0)
	s_and_not1_b32 s6, s39, exec_lo
	s_and_b32 s7, s23, exec_lo
	s_and_b32 s41, s42, exec_lo
	s_or_b32 s39, s6, s7
	s_and_not1_b32 s6, s38, exec_lo
	s_and_b32 s7, s22, exec_lo
	s_and_b32 s23, s3, exec_lo
	;; [unrolled: 1-line block ×3, first 2 shown]
	s_or_b32 s38, s6, s7
.LBB7_941:
	s_or_b32 exec_lo, exec_lo, s40
	s_delay_alu instid0(SALU_CYCLE_1)
	s_and_not1_b32 s2, s35, exec_lo
	s_waitcnt lgkmcnt(0)
	s_and_b32 s6, s39, exec_lo
	s_and_b32 s7, s38, exec_lo
	s_or_b32 s35, s2, s6
	s_and_not1_b32 s6, s36, exec_lo
	s_and_b32 s2, s41, exec_lo
	s_and_b32 s22, s23, exec_lo
	;; [unrolled: 1-line block ×3, first 2 shown]
	s_or_b32 s36, s6, s7
.LBB7_942:
	s_or_b32 exec_lo, exec_lo, s37
	s_waitcnt lgkmcnt(0)
	s_mov_b32 s6, 0
	s_and_saveexec_b32 s3, s36
	s_cbranch_execnz .LBB7_954
; %bb.943:
	s_or_b32 exec_lo, exec_lo, s3
	s_and_saveexec_b32 s3, s38
	s_delay_alu instid0(SALU_CYCLE_1)
	s_xor_b32 s3, exec_lo, s3
	s_cbranch_execz .LBB7_945
.LBB7_944:
	global_load_u8 v3, v[0:1], off
	v_mov_b32_e32 v8, 0
	s_or_b32 s2, s2, exec_lo
	s_waitcnt vmcnt(0)
	v_cmp_ne_u16_e32 vcc_lo, 0, v3
	v_cndmask_b32_e64 v9, 0, 0x3ff00000, vcc_lo
.LBB7_945:
	s_or_b32 exec_lo, exec_lo, s3
	s_and_saveexec_b32 s3, s22
	s_cbranch_execz .LBB7_993
; %bb.946:
	v_cmp_gt_i16_e32 vcc_lo, 5, v10
	s_cbranch_vccnz .LBB7_951
; %bb.947:
	v_cmp_gt_i16_e32 vcc_lo, 8, v10
	s_cbranch_vccnz .LBB7_952
	;; [unrolled: 3-line block ×3, first 2 shown]
; %bb.949:
	v_cmp_lt_i16_e32 vcc_lo, 9, v10
	s_cbranch_vccz .LBB7_956
; %bb.950:
	global_load_b64 v[8:9], v[0:1], off
	s_mov_b32 s7, 0
	s_branch .LBB7_957
.LBB7_951:
                                        ; implicit-def: $vgpr8_vgpr9
	s_branch .LBB7_974
.LBB7_952:
                                        ; implicit-def: $vgpr8_vgpr9
	s_branch .LBB7_963
.LBB7_953:
	s_mov_b32 s7, -1
                                        ; implicit-def: $vgpr8_vgpr9
	s_branch .LBB7_960
.LBB7_954:
	s_cbranch_execnz .LBB7_1236
; %bb.955:
	s_mov_b32 s6, exec_lo
	s_and_not1_b32 s38, s38, exec_lo
                                        ; implicit-def: $vgpr8_vgpr9
	s_or_b32 exec_lo, exec_lo, s3
	s_and_saveexec_b32 s3, s38
	s_delay_alu instid0(SALU_CYCLE_1)
	s_xor_b32 s3, exec_lo, s3
	s_cbranch_execnz .LBB7_944
	s_branch .LBB7_945
.LBB7_956:
	s_mov_b32 s7, -1
                                        ; implicit-def: $vgpr8_vgpr9
.LBB7_957:
	s_delay_alu instid0(SALU_CYCLE_1)
	s_and_not1_b32 vcc_lo, exec_lo, s7
	s_cbranch_vccnz .LBB7_959
; %bb.958:
	global_load_b32 v3, v[0:1], off
	s_waitcnt vmcnt(0)
	v_cvt_f64_f32_e32 v[8:9], v3
.LBB7_959:
	s_mov_b32 s7, 0
.LBB7_960:
	s_delay_alu instid0(SALU_CYCLE_1)
	s_and_not1_b32 vcc_lo, exec_lo, s7
	s_cbranch_vccnz .LBB7_962
; %bb.961:
	global_load_b32 v3, v[0:1], off
	s_waitcnt vmcnt(0)
	v_cvt_f32_f16_e32 v3, v3
	s_delay_alu instid0(VALU_DEP_1)
	v_cvt_f64_f32_e32 v[8:9], v3
.LBB7_962:
	s_cbranch_execnz .LBB7_973
.LBB7_963:
	v_cmp_gt_i16_e32 vcc_lo, 6, v10
	s_cbranch_vccnz .LBB7_966
; %bb.964:
	v_cmp_lt_i16_e32 vcc_lo, 6, v10
	s_cbranch_vccz .LBB7_967
; %bb.965:
	global_load_b64 v[8:9], v[0:1], off
	s_mov_b32 s7, 0
	s_branch .LBB7_968
.LBB7_966:
	s_mov_b32 s7, -1
                                        ; implicit-def: $vgpr8_vgpr9
	s_branch .LBB7_971
.LBB7_967:
	s_mov_b32 s7, -1
                                        ; implicit-def: $vgpr8_vgpr9
.LBB7_968:
	s_delay_alu instid0(SALU_CYCLE_1)
	s_and_not1_b32 vcc_lo, exec_lo, s7
	s_cbranch_vccnz .LBB7_970
; %bb.969:
	global_load_b32 v3, v[0:1], off
	s_waitcnt vmcnt(0)
	v_cvt_f64_f32_e32 v[8:9], v3
.LBB7_970:
	s_mov_b32 s7, 0
.LBB7_971:
	s_delay_alu instid0(SALU_CYCLE_1)
	s_and_not1_b32 vcc_lo, exec_lo, s7
	s_cbranch_vccnz .LBB7_973
; %bb.972:
	global_load_u16 v3, v[0:1], off
	s_waitcnt vmcnt(0)
	v_cvt_f32_f16_e32 v3, v3
	s_delay_alu instid0(VALU_DEP_1)
	v_cvt_f64_f32_e32 v[8:9], v3
.LBB7_973:
	s_cbranch_execnz .LBB7_992
.LBB7_974:
	v_cmp_gt_i16_e32 vcc_lo, 2, v10
	s_cbranch_vccnz .LBB7_978
; %bb.975:
	v_cmp_gt_i16_e32 vcc_lo, 3, v10
	s_cbranch_vccnz .LBB7_979
; %bb.976:
	v_cmp_lt_i16_e32 vcc_lo, 3, v10
	s_cbranch_vccz .LBB7_980
; %bb.977:
	global_load_b64 v[6:7], v[0:1], off
	s_mov_b32 s7, 0
	s_waitcnt vmcnt(0)
	v_cvt_f64_i32_e32 v[7:8], v7
	v_cvt_f64_u32_e32 v[11:12], v6
	s_delay_alu instid0(VALU_DEP_2) | instskip(NEXT) | instid1(VALU_DEP_1)
	v_ldexp_f64 v[7:8], v[7:8], 32
	v_add_f64 v[8:9], v[7:8], v[11:12]
	s_branch .LBB7_981
.LBB7_978:
                                        ; implicit-def: $vgpr8_vgpr9
	s_branch .LBB7_987
.LBB7_979:
	s_mov_b32 s7, -1
                                        ; implicit-def: $vgpr8_vgpr9
	s_branch .LBB7_984
.LBB7_980:
	s_mov_b32 s7, -1
                                        ; implicit-def: $vgpr8_vgpr9
.LBB7_981:
	s_delay_alu instid0(SALU_CYCLE_1)
	s_and_not1_b32 vcc_lo, exec_lo, s7
	s_cbranch_vccnz .LBB7_983
; %bb.982:
	global_load_b32 v3, v[0:1], off
	s_waitcnt vmcnt(0)
	v_cvt_f64_i32_e32 v[8:9], v3
.LBB7_983:
	s_mov_b32 s7, 0
.LBB7_984:
	s_delay_alu instid0(SALU_CYCLE_1)
	s_and_not1_b32 vcc_lo, exec_lo, s7
	s_cbranch_vccnz .LBB7_986
; %bb.985:
	global_load_i16 v3, v[0:1], off
	s_waitcnt vmcnt(0)
	v_cvt_f64_i32_e32 v[8:9], v3
.LBB7_986:
	s_cbranch_execnz .LBB7_992
.LBB7_987:
	v_cmp_lt_i16_e32 vcc_lo, 0, v10
	s_mov_b32 s7, 0
	s_cbranch_vccz .LBB7_989
; %bb.988:
	global_load_i8 v3, v[0:1], off
	s_waitcnt vmcnt(0)
	v_cvt_f64_i32_e32 v[8:9], v3
	s_branch .LBB7_990
.LBB7_989:
	s_mov_b32 s7, -1
                                        ; implicit-def: $vgpr8_vgpr9
.LBB7_990:
	s_delay_alu instid0(SALU_CYCLE_1)
	s_and_not1_b32 vcc_lo, exec_lo, s7
	s_cbranch_vccnz .LBB7_992
; %bb.991:
	global_load_u8 v0, v[0:1], off
	s_waitcnt vmcnt(0)
	v_cvt_f64_u32_e32 v[8:9], v0
.LBB7_992:
	s_or_b32 s2, s2, exec_lo
.LBB7_993:
	s_or_b32 exec_lo, exec_lo, s3
	s_mov_b32 s8, 0
	s_mov_b32 s3, 0
                                        ; implicit-def: $vgpr10
                                        ; implicit-def: $vgpr6_vgpr7
                                        ; implicit-def: $vgpr0_vgpr1
	s_and_saveexec_b32 s7, s2
	s_cbranch_execz .LBB7_1082
; %bb.994:
	s_waitcnt vmcnt(0)
	s_delay_alu instid0(VALU_DEP_1) | instskip(SKIP_2) | instid1(VALU_DEP_2)
	v_trunc_f64_e32 v[0:1], v[8:9]
	v_cmp_class_f64_e64 vcc_lo, v[8:9], 0x1f8
	s_mov_b32 s8, exec_lo
	v_ldexp_f64 v[6:7], v[0:1], 0xffffffe0
	s_delay_alu instid0(VALU_DEP_1) | instskip(NEXT) | instid1(VALU_DEP_1)
	v_floor_f64_e32 v[6:7], v[6:7]
	v_fma_f64 v[0:1], 0xc1f00000, v[6:7], v[0:1]
	v_cvt_i32_f64_e32 v3, v[6:7]
	s_delay_alu instid0(VALU_DEP_2) | instskip(NEXT) | instid1(VALU_DEP_1)
	v_cvt_u32_f64_e32 v0, v[0:1]
	v_dual_cndmask_b32 v7, -1, v3 :: v_dual_cndmask_b32 v6, -1, v0
	v_mov_b32_e32 v0, 0
	v_mov_b32_e32 v1, 0
	s_delay_alu instid0(VALU_DEP_3)
	v_cmpx_lt_i64_e32 -1, v[6:7]
	s_cbranch_execz .LBB7_1006
; %bb.995:
	v_mov_b32_e32 v0, 0
	v_mov_b32_e32 v1, 0x3ff00000
	s_mov_b32 s9, exec_lo
	v_cmpx_lt_i64_e32 0, v[6:7]
	s_cbranch_execz .LBB7_1005
; %bb.996:
                                        ; implicit-def: $vgpr0_vgpr1
	s_mov_b32 s2, exec_lo
	v_cmpx_ne_u64_e32 1, v[6:7]
	s_xor_b32 s10, exec_lo, s2
	s_cbranch_execz .LBB7_1002
; %bb.997:
	v_mov_b32_e32 v0, 0
	v_mov_b32_e32 v1, 0x7ff80000
	s_mov_b32 s11, exec_lo
	v_cmpx_gt_u64_e32 0x201, v[6:7]
	s_cbranch_execz .LBB7_1001
; %bb.998:
	v_mov_b32_e32 v8, 0
	v_lshlrev_b64 v[6:7], 1, v[6:7]
	v_dual_mov_b32 v9, 0x3ff00000 :: v_dual_mov_b32 v0, v4
	v_mov_b32_e32 v1, v5
	s_mov_b64 s[2:3], 2
	s_mov_b32 s12, 0
	.p2align	6
.LBB7_999:                              ; =>This Inner Loop Header: Depth=1
	v_cvt_f64_u32_e32 v[10:11], s3
	v_cvt_f64_u32_e32 v[12:13], s2
	s_add_u32 s2, s2, 2
	s_addc_u32 s3, s3, 0
	s_delay_alu instid0(SALU_CYCLE_1) | instskip(SKIP_1) | instid1(VALU_DEP_3)
	v_cmp_ge_u64_e32 vcc_lo, s[2:3], v[6:7]
	s_or_b32 s12, vcc_lo, s12
	v_ldexp_f64 v[10:11], v[10:11], 32
	s_delay_alu instid0(VALU_DEP_1) | instskip(NEXT) | instid1(VALU_DEP_1)
	v_add_f64 v[10:11], v[10:11], v[12:13]
	v_mul_f64 v[8:9], v[8:9], v[10:11]
	v_dual_mov_b32 v11, v1 :: v_dual_mov_b32 v10, v0
	s_delay_alu instid0(VALU_DEP_1)
	v_fma_f64 v[0:1], v[4:5], v[10:11], -v[8:9]
	v_dual_mov_b32 v8, v10 :: v_dual_mov_b32 v9, v11
	s_and_not1_b32 exec_lo, exec_lo, s12
	s_cbranch_execnz .LBB7_999
; %bb.1000:
	s_or_b32 exec_lo, exec_lo, s12
.LBB7_1001:
	s_delay_alu instid0(SALU_CYCLE_1)
	s_or_b32 exec_lo, exec_lo, s11
                                        ; implicit-def: $vgpr4_vgpr5
.LBB7_1002:
	s_and_not1_saveexec_b32 s2, s10
; %bb.1003:
	v_dual_mov_b32 v0, v4 :: v_dual_mov_b32 v1, v5
; %bb.1004:
	s_or_b32 exec_lo, exec_lo, s2
.LBB7_1005:
	s_delay_alu instid0(SALU_CYCLE_1)
	s_or_b32 exec_lo, exec_lo, s9
.LBB7_1006:
	s_delay_alu instid0(SALU_CYCLE_1) | instskip(SKIP_2) | instid1(VALU_DEP_1)
	s_or_b32 exec_lo, exec_lo, s8
	v_and_b32_e64 v10, 0xff, s29
	v_add_co_u32 v6, s2, s4, v2
	v_add_co_ci_u32_e64 v7, null, s5, 0, s2
	s_delay_alu instid0(VALU_DEP_3)
	v_cmp_gt_i16_e32 vcc_lo, 11, v10
	s_mov_b32 s8, 0
	s_mov_b32 s3, -1
	s_mov_b32 s2, s35
	s_cbranch_vccnz .LBB7_1081
; %bb.1007:
	v_cmp_lt_i16_e32 vcc_lo, 25, v10
	s_mov_b32 s2, s35
	s_cbranch_vccz .LBB7_1040
; %bb.1008:
	v_cmp_lt_i16_e32 vcc_lo, 28, v10
	s_mov_b32 s2, s35
	s_cbranch_vccz .LBB7_1024
	;; [unrolled: 4-line block ×4, first 2 shown]
; %bb.1011:
	v_cmp_eq_u16_e32 vcc_lo, 46, v10
	s_mov_b32 s2, -1
	s_cbranch_vccz .LBB7_1013
; %bb.1012:
	v_cvt_f32_f64_e32 v2, v[0:1]
	s_mov_b32 s2, 0
	s_delay_alu instid0(VALU_DEP_1) | instskip(SKIP_1) | instid1(VALU_DEP_2)
	v_bfe_u32 v3, v2, 16, 1
	v_cmp_o_f32_e32 vcc_lo, v2, v2
	v_add3_u32 v3, v2, v3, 0x7fff
	s_delay_alu instid0(VALU_DEP_1) | instskip(NEXT) | instid1(VALU_DEP_1)
	v_lshrrev_b32_e32 v3, 16, v3
	v_cndmask_b32_e32 v2, 0x7fc0, v3, vcc_lo
	global_store_b32 v[6:7], v2, off
.LBB7_1013:
	s_mov_b32 s3, 0
.LBB7_1014:
	s_delay_alu instid0(SALU_CYCLE_1)
	s_and_b32 vcc_lo, exec_lo, s3
	s_cbranch_vccz .LBB7_1019
; %bb.1015:
	v_cmp_eq_u16_e32 vcc_lo, 44, v10
	s_mov_b32 s2, -1
	s_cbranch_vccz .LBB7_1019
; %bb.1016:
	v_cvt_f32_f64_e32 v2, v[0:1]
	v_mov_b32_e32 v3, 0xff
	s_mov_b32 s3, exec_lo
	s_delay_alu instid0(VALU_DEP_2) | instskip(NEXT) | instid1(VALU_DEP_1)
	v_bfe_u32 v4, v2, 23, 8
	v_cmpx_ne_u32_e32 0xff, v4
; %bb.1017:
	v_and_b32_e32 v3, 0x400000, v2
	v_and_or_b32 v4, 0x3fffff, v2, v4
	v_lshrrev_b32_e32 v2, 23, v2
	s_delay_alu instid0(VALU_DEP_3) | instskip(NEXT) | instid1(VALU_DEP_3)
	v_cmp_ne_u32_e32 vcc_lo, 0, v3
	v_cmp_ne_u32_e64 s2, 0, v4
	s_delay_alu instid0(VALU_DEP_1) | instskip(NEXT) | instid1(SALU_CYCLE_1)
	s_and_b32 s2, vcc_lo, s2
	v_cndmask_b32_e64 v3, 0, 1, s2
	s_delay_alu instid0(VALU_DEP_1)
	v_add_nc_u32_e32 v3, v2, v3
; %bb.1018:
	s_or_b32 exec_lo, exec_lo, s3
	s_mov_b32 s2, 0
	global_store_b8 v[6:7], v3, off
.LBB7_1019:
	s_mov_b32 s3, 0
.LBB7_1020:
	s_delay_alu instid0(SALU_CYCLE_1)
	s_and_b32 vcc_lo, exec_lo, s3
	s_cbranch_vccz .LBB7_1023
; %bb.1021:
	v_cmp_eq_u16_e32 vcc_lo, 29, v10
	s_mov_b32 s2, -1
	s_cbranch_vccz .LBB7_1023
; %bb.1022:
	v_trunc_f64_e32 v[2:3], v[0:1]
	s_mov_b32 s2, 0
	s_delay_alu instid0(VALU_DEP_1) | instskip(NEXT) | instid1(VALU_DEP_1)
	v_ldexp_f64 v[4:5], v[2:3], 0xffffffe0
	v_floor_f64_e32 v[4:5], v[4:5]
	s_delay_alu instid0(VALU_DEP_1) | instskip(SKIP_1) | instid1(VALU_DEP_2)
	v_fma_f64 v[2:3], 0xc1f00000, v[4:5], v[2:3]
	v_cvt_u32_f64_e32 v4, v[4:5]
	v_cvt_u32_f64_e32 v3, v[2:3]
	global_store_b64 v[6:7], v[3:4], off
.LBB7_1023:
	s_mov_b32 s3, 0
.LBB7_1024:
	s_delay_alu instid0(SALU_CYCLE_1)
	s_and_b32 vcc_lo, exec_lo, s3
	s_cbranch_vccz .LBB7_1039
; %bb.1025:
	v_cmp_gt_i16_e32 vcc_lo, 27, v10
	s_mov_b32 s3, -1
	s_cbranch_vccnz .LBB7_1031
; %bb.1026:
	v_cvt_u32_f64_e32 v2, v[0:1]
	v_cmp_lt_i16_e32 vcc_lo, 27, v10
	s_cbranch_vccz .LBB7_1028
; %bb.1027:
	s_mov_b32 s3, 0
	global_store_b32 v[6:7], v2, off
.LBB7_1028:
	s_and_not1_b32 vcc_lo, exec_lo, s3
	s_cbranch_vccnz .LBB7_1030
; %bb.1029:
	global_store_b16 v[6:7], v2, off
.LBB7_1030:
	s_mov_b32 s3, 0
.LBB7_1031:
	s_delay_alu instid0(SALU_CYCLE_1)
	s_and_not1_b32 vcc_lo, exec_lo, s3
	s_cbranch_vccnz .LBB7_1039
; %bb.1032:
	v_cvt_f32_f64_e32 v2, v[0:1]
	v_mov_b32_e32 v4, 0x80
	s_mov_b32 s3, exec_lo
	s_delay_alu instid0(VALU_DEP_2) | instskip(NEXT) | instid1(VALU_DEP_1)
	v_and_b32_e32 v3, 0x7fffffff, v2
	v_cmpx_gt_u32_e32 0x43800000, v3
	s_cbranch_execz .LBB7_1038
; %bb.1033:
	v_cmp_lt_u32_e32 vcc_lo, 0x3bffffff, v3
	s_mov_b32 s4, 0
                                        ; implicit-def: $vgpr3
	s_and_saveexec_b32 s5, vcc_lo
	s_delay_alu instid0(SALU_CYCLE_1)
	s_xor_b32 s5, exec_lo, s5
	s_cbranch_execz .LBB7_1339
; %bb.1034:
	v_bfe_u32 v3, v2, 20, 1
	s_mov_b32 s4, exec_lo
	s_delay_alu instid0(VALU_DEP_1) | instskip(NEXT) | instid1(VALU_DEP_1)
	v_add3_u32 v3, v2, v3, 0x487ffff
	v_lshrrev_b32_e32 v3, 20, v3
	s_or_saveexec_b32 s5, s5
                                        ; implicit-def: $sgpr8
	s_delay_alu instid0(SALU_CYCLE_1)
	s_xor_b32 exec_lo, exec_lo, s5
	s_cbranch_execnz .LBB7_1340
.LBB7_1035:
	s_or_b32 exec_lo, exec_lo, s5
	v_mov_b32_e32 v4, s8
	s_and_saveexec_b32 s5, s4
.LBB7_1036:
	v_lshrrev_b32_e32 v2, 24, v2
	s_delay_alu instid0(VALU_DEP_1)
	v_and_or_b32 v4, 0x80, v2, v3
.LBB7_1037:
	s_or_b32 exec_lo, exec_lo, s5
.LBB7_1038:
	s_delay_alu instid0(SALU_CYCLE_1)
	s_or_b32 exec_lo, exec_lo, s3
	global_store_b8 v[6:7], v4, off
.LBB7_1039:
	s_mov_b32 s3, 0
.LBB7_1040:
	s_delay_alu instid0(SALU_CYCLE_1)
	s_and_b32 vcc_lo, exec_lo, s3
	s_mov_b32 s3, 0
	s_cbranch_vccz .LBB7_1080
; %bb.1041:
	v_cmp_lt_i16_e32 vcc_lo, 22, v10
	s_mov_b32 s4, -1
	s_cbranch_vccz .LBB7_1073
; %bb.1042:
	v_cmp_gt_i16_e32 vcc_lo, 24, v10
	s_cbranch_vccnz .LBB7_1062
; %bb.1043:
	v_cmp_lt_i16_e32 vcc_lo, 24, v10
	s_cbranch_vccz .LBB7_1051
; %bb.1044:
	v_cvt_f32_f64_e32 v2, v[0:1]
	v_mov_b32_e32 v4, 0x80
	s_mov_b32 s4, exec_lo
	s_delay_alu instid0(VALU_DEP_2) | instskip(NEXT) | instid1(VALU_DEP_1)
	v_and_b32_e32 v3, 0x7fffffff, v2
	v_cmpx_gt_u32_e32 0x47800000, v3
	s_cbranch_execz .LBB7_1050
; %bb.1045:
	v_cmp_lt_u32_e32 vcc_lo, 0x37ffffff, v3
	s_mov_b32 s5, 0
                                        ; implicit-def: $vgpr3
	s_and_saveexec_b32 s8, vcc_lo
	s_delay_alu instid0(SALU_CYCLE_1)
	s_xor_b32 s8, exec_lo, s8
	s_cbranch_execz .LBB7_1383
; %bb.1046:
	v_bfe_u32 v3, v2, 21, 1
	s_mov_b32 s5, exec_lo
	s_delay_alu instid0(VALU_DEP_1) | instskip(NEXT) | instid1(VALU_DEP_1)
	v_add3_u32 v3, v2, v3, 0x88fffff
	v_lshrrev_b32_e32 v3, 21, v3
	s_or_saveexec_b32 s8, s8
                                        ; implicit-def: $sgpr9
	s_delay_alu instid0(SALU_CYCLE_1)
	s_xor_b32 exec_lo, exec_lo, s8
	s_cbranch_execnz .LBB7_1384
.LBB7_1047:
	s_or_b32 exec_lo, exec_lo, s8
	v_mov_b32_e32 v4, s9
	s_and_saveexec_b32 s8, s5
.LBB7_1048:
	v_lshrrev_b32_e32 v2, 24, v2
	s_delay_alu instid0(VALU_DEP_1)
	v_and_or_b32 v4, 0x80, v2, v3
.LBB7_1049:
	s_or_b32 exec_lo, exec_lo, s8
.LBB7_1050:
	s_delay_alu instid0(SALU_CYCLE_1)
	s_or_b32 exec_lo, exec_lo, s4
	s_mov_b32 s4, 0
	global_store_b8 v[6:7], v4, off
.LBB7_1051:
	s_and_b32 vcc_lo, exec_lo, s4
	s_cbranch_vccz .LBB7_1061
; %bb.1052:
	v_cvt_f32_f64_e32 v2, v[0:1]
	s_mov_b32 s4, exec_lo
                                        ; implicit-def: $vgpr3
	s_delay_alu instid0(VALU_DEP_1) | instskip(NEXT) | instid1(VALU_DEP_1)
	v_and_b32_e32 v4, 0x7fffffff, v2
	v_cmpx_gt_u32_e32 0x43f00000, v4
	s_xor_b32 s4, exec_lo, s4
	s_cbranch_execz .LBB7_1058
; %bb.1053:
	s_mov_b32 s5, exec_lo
                                        ; implicit-def: $vgpr3
	v_cmpx_lt_u32_e32 0x3c7fffff, v4
	s_xor_b32 s5, exec_lo, s5
; %bb.1054:
	v_bfe_u32 v3, v2, 20, 1
	s_delay_alu instid0(VALU_DEP_1) | instskip(NEXT) | instid1(VALU_DEP_1)
	v_add3_u32 v3, v2, v3, 0x407ffff
	v_and_b32_e32 v4, 0xff00000, v3
	v_lshrrev_b32_e32 v3, 20, v3
	s_delay_alu instid0(VALU_DEP_2) | instskip(NEXT) | instid1(VALU_DEP_2)
	v_cmp_ne_u32_e32 vcc_lo, 0x7f00000, v4
	v_cndmask_b32_e32 v3, 0x7e, v3, vcc_lo
; %bb.1055:
	s_and_not1_saveexec_b32 s5, s5
; %bb.1056:
	v_add_f32_e64 v3, 0x46800000, |v2|
; %bb.1057:
	s_or_b32 exec_lo, exec_lo, s5
                                        ; implicit-def: $vgpr4
.LBB7_1058:
	s_and_not1_saveexec_b32 s4, s4
; %bb.1059:
	v_mov_b32_e32 v3, 0x7f
	v_cmp_lt_u32_e32 vcc_lo, 0x7f800000, v4
	s_delay_alu instid0(VALU_DEP_2)
	v_cndmask_b32_e32 v3, 0x7e, v3, vcc_lo
; %bb.1060:
	s_or_b32 exec_lo, exec_lo, s4
	v_lshrrev_b32_e32 v2, 24, v2
	s_delay_alu instid0(VALU_DEP_1)
	v_and_or_b32 v2, 0x80, v2, v3
	global_store_b8 v[6:7], v2, off
.LBB7_1061:
	s_mov_b32 s4, 0
.LBB7_1062:
	s_delay_alu instid0(SALU_CYCLE_1)
	s_and_not1_b32 vcc_lo, exec_lo, s4
	s_cbranch_vccnz .LBB7_1072
; %bb.1063:
	v_cvt_f32_f64_e32 v2, v[0:1]
	s_mov_b32 s4, exec_lo
                                        ; implicit-def: $vgpr3
	s_delay_alu instid0(VALU_DEP_1) | instskip(NEXT) | instid1(VALU_DEP_1)
	v_and_b32_e32 v4, 0x7fffffff, v2
	v_cmpx_gt_u32_e32 0x47800000, v4
	s_xor_b32 s4, exec_lo, s4
	s_cbranch_execz .LBB7_1069
; %bb.1064:
	s_mov_b32 s5, exec_lo
                                        ; implicit-def: $vgpr3
	v_cmpx_lt_u32_e32 0x387fffff, v4
	s_xor_b32 s5, exec_lo, s5
; %bb.1065:
	v_bfe_u32 v3, v2, 21, 1
	s_delay_alu instid0(VALU_DEP_1) | instskip(NEXT) | instid1(VALU_DEP_1)
	v_add3_u32 v3, v2, v3, 0x80fffff
	v_lshrrev_b32_e32 v3, 21, v3
; %bb.1066:
	s_and_not1_saveexec_b32 s5, s5
; %bb.1067:
	v_add_f32_e64 v3, 0x43000000, |v2|
; %bb.1068:
	s_or_b32 exec_lo, exec_lo, s5
                                        ; implicit-def: $vgpr4
.LBB7_1069:
	s_and_not1_saveexec_b32 s4, s4
; %bb.1070:
	v_mov_b32_e32 v3, 0x7f
	v_cmp_lt_u32_e32 vcc_lo, 0x7f800000, v4
	s_delay_alu instid0(VALU_DEP_2)
	v_cndmask_b32_e32 v3, 0x7c, v3, vcc_lo
; %bb.1071:
	s_or_b32 exec_lo, exec_lo, s4
	v_lshrrev_b32_e32 v2, 24, v2
	s_delay_alu instid0(VALU_DEP_1)
	v_and_or_b32 v2, 0x80, v2, v3
	global_store_b8 v[6:7], v2, off
.LBB7_1072:
	s_mov_b32 s4, 0
.LBB7_1073:
	s_delay_alu instid0(SALU_CYCLE_1)
	s_and_not1_b32 vcc_lo, exec_lo, s4
	s_mov_b32 s8, 0
	s_cbranch_vccnz .LBB7_1081
; %bb.1074:
	v_cmp_lt_i16_e32 vcc_lo, 14, v10
	s_mov_b32 s4, -1
	s_cbranch_vccz .LBB7_1078
; %bb.1075:
	v_cmp_eq_u16_e32 vcc_lo, 15, v10
	s_mov_b32 s2, -1
	s_cbranch_vccz .LBB7_1077
; %bb.1076:
	v_cvt_f32_f64_e32 v2, v[0:1]
	s_mov_b32 s2, 0
	s_delay_alu instid0(VALU_DEP_1) | instskip(SKIP_1) | instid1(VALU_DEP_2)
	v_bfe_u32 v3, v2, 16, 1
	v_cmp_o_f32_e32 vcc_lo, v2, v2
	v_add3_u32 v3, v2, v3, 0x7fff
	s_delay_alu instid0(VALU_DEP_1) | instskip(NEXT) | instid1(VALU_DEP_1)
	v_lshrrev_b32_e32 v3, 16, v3
	v_cndmask_b32_e32 v2, 0x7fc0, v3, vcc_lo
	global_store_b16 v[6:7], v2, off
.LBB7_1077:
	s_mov_b32 s4, 0
.LBB7_1078:
	s_delay_alu instid0(SALU_CYCLE_1)
	s_and_b32 vcc_lo, exec_lo, s4
	s_cbranch_vccz .LBB7_1081
; %bb.1079:
	v_cmp_ne_u16_e32 vcc_lo, 11, v10
	s_and_not1_b32 s2, s2, exec_lo
	s_mov_b32 s8, -1
	s_and_b32 s4, vcc_lo, exec_lo
	s_delay_alu instid0(SALU_CYCLE_1)
	s_or_b32 s2, s2, s4
	s_branch .LBB7_1081
.LBB7_1080:
	s_mov_b32 s8, 0
.LBB7_1081:
	s_and_not1_b32 s4, s35, exec_lo
	s_and_b32 s2, s2, exec_lo
	s_and_b32 s3, s3, exec_lo
	;; [unrolled: 1-line block ×3, first 2 shown]
	s_or_b32 s35, s4, s2
.LBB7_1082:
	s_or_b32 exec_lo, exec_lo, s7
	s_and_saveexec_b32 s2, s35
	s_cbranch_execnz .LBB7_1196
; %bb.1083:
	s_or_b32 exec_lo, exec_lo, s2
	s_and_saveexec_b32 s2, s8
	s_delay_alu instid0(SALU_CYCLE_1)
	s_xor_b32 s2, exec_lo, s2
	s_cbranch_execz .LBB7_1085
.LBB7_1084:
	v_cmp_neq_f64_e32 vcc_lo, 0, v[0:1]
	v_cndmask_b32_e64 v2, 0, 1, vcc_lo
	s_waitcnt vmcnt(0)
	global_store_b8 v[6:7], v2, off
.LBB7_1085:
	s_or_b32 exec_lo, exec_lo, s2
	s_and_saveexec_b32 s2, s3
	s_delay_alu instid0(SALU_CYCLE_1)
	s_xor_b32 s2, exec_lo, s2
	s_cbranch_execz .LBB7_1123
; %bb.1086:
	v_cmp_gt_i16_e32 vcc_lo, 5, v10
	s_mov_b32 s3, -1
	s_cbranch_vccnz .LBB7_1107
; %bb.1087:
	v_cmp_gt_i16_e32 vcc_lo, 8, v10
	s_cbranch_vccnz .LBB7_1097
; %bb.1088:
	v_cmp_gt_i16_e32 vcc_lo, 9, v10
	s_cbranch_vccnz .LBB7_1094
; %bb.1089:
	v_cmp_lt_i16_e32 vcc_lo, 9, v10
	s_cbranch_vccz .LBB7_1091
; %bb.1090:
	v_mov_b32_e32 v2, 0
	s_mov_b32 s3, 0
	s_delay_alu instid0(VALU_DEP_1)
	v_mov_b32_e32 v3, v2
	s_waitcnt vmcnt(0)
	global_store_b128 v[6:7], v[0:3], off
.LBB7_1091:
	s_and_not1_b32 vcc_lo, exec_lo, s3
	s_cbranch_vccnz .LBB7_1093
; %bb.1092:
	v_cvt_f32_f64_e32 v2, v[0:1]
	v_mov_b32_e32 v3, 0
	s_waitcnt vmcnt(0)
	global_store_b64 v[6:7], v[2:3], off
.LBB7_1093:
	s_mov_b32 s3, 0
.LBB7_1094:
	s_delay_alu instid0(SALU_CYCLE_1)
	s_and_not1_b32 vcc_lo, exec_lo, s3
	s_cbranch_vccnz .LBB7_1096
; %bb.1095:
	v_cvt_f32_f64_e32 v2, v[0:1]
	s_delay_alu instid0(VALU_DEP_1) | instskip(NEXT) | instid1(VALU_DEP_1)
	v_cvt_f16_f32_e32 v2, v2
	v_and_b32_e32 v2, 0xffff, v2
	s_waitcnt vmcnt(0)
	global_store_b32 v[6:7], v2, off
.LBB7_1096:
	s_mov_b32 s3, 0
.LBB7_1097:
	s_delay_alu instid0(SALU_CYCLE_1)
	s_and_not1_b32 vcc_lo, exec_lo, s3
	s_cbranch_vccnz .LBB7_1106
; %bb.1098:
	v_cmp_gt_i16_e32 vcc_lo, 6, v10
	s_mov_b32 s3, -1
	s_cbranch_vccnz .LBB7_1104
; %bb.1099:
	v_cmp_lt_i16_e32 vcc_lo, 6, v10
	s_cbranch_vccz .LBB7_1101
; %bb.1100:
	s_mov_b32 s3, 0
	s_waitcnt vmcnt(0)
	global_store_b64 v[6:7], v[0:1], off
.LBB7_1101:
	s_and_not1_b32 vcc_lo, exec_lo, s3
	s_cbranch_vccnz .LBB7_1103
; %bb.1102:
	v_cvt_f32_f64_e32 v2, v[0:1]
	s_waitcnt vmcnt(0)
	global_store_b32 v[6:7], v2, off
.LBB7_1103:
	s_mov_b32 s3, 0
.LBB7_1104:
	s_delay_alu instid0(SALU_CYCLE_1)
	s_and_not1_b32 vcc_lo, exec_lo, s3
	s_cbranch_vccnz .LBB7_1106
; %bb.1105:
	v_cvt_f32_f64_e32 v2, v[0:1]
	s_delay_alu instid0(VALU_DEP_1)
	v_cvt_f16_f32_e32 v2, v2
	s_waitcnt vmcnt(0)
	global_store_b16 v[6:7], v2, off
.LBB7_1106:
	s_mov_b32 s3, 0
.LBB7_1107:
	s_delay_alu instid0(SALU_CYCLE_1)
	s_and_not1_b32 vcc_lo, exec_lo, s3
	s_cbranch_vccnz .LBB7_1123
; %bb.1108:
	v_cmp_gt_i16_e32 vcc_lo, 2, v10
	s_mov_b32 s3, -1
	s_cbranch_vccnz .LBB7_1118
; %bb.1109:
	v_cmp_gt_i16_e32 vcc_lo, 3, v10
	s_cbranch_vccnz .LBB7_1115
; %bb.1110:
	v_cmp_lt_i16_e32 vcc_lo, 3, v10
	s_cbranch_vccz .LBB7_1112
; %bb.1111:
	v_trunc_f64_e32 v[2:3], v[0:1]
	s_mov_b32 s3, 0
	s_delay_alu instid0(VALU_DEP_1) | instskip(NEXT) | instid1(VALU_DEP_1)
	v_ldexp_f64 v[4:5], v[2:3], 0xffffffe0
	v_floor_f64_e32 v[4:5], v[4:5]
	s_delay_alu instid0(VALU_DEP_1) | instskip(SKIP_1) | instid1(VALU_DEP_2)
	v_fma_f64 v[2:3], 0xc1f00000, v[4:5], v[2:3]
	v_cvt_i32_f64_e32 v4, v[4:5]
	v_cvt_u32_f64_e32 v3, v[2:3]
	s_waitcnt vmcnt(0)
	global_store_b64 v[6:7], v[3:4], off
.LBB7_1112:
	s_and_not1_b32 vcc_lo, exec_lo, s3
	s_cbranch_vccnz .LBB7_1114
; %bb.1113:
	v_cvt_i32_f64_e32 v2, v[0:1]
	s_waitcnt vmcnt(0)
	global_store_b32 v[6:7], v2, off
.LBB7_1114:
	s_mov_b32 s3, 0
.LBB7_1115:
	s_delay_alu instid0(SALU_CYCLE_1)
	s_and_not1_b32 vcc_lo, exec_lo, s3
	s_cbranch_vccnz .LBB7_1117
; %bb.1116:
	v_cvt_i32_f64_e32 v2, v[0:1]
	s_waitcnt vmcnt(0)
	global_store_b16 v[6:7], v2, off
.LBB7_1117:
	s_mov_b32 s3, 0
.LBB7_1118:
	s_delay_alu instid0(SALU_CYCLE_1)
	s_and_not1_b32 vcc_lo, exec_lo, s3
	s_cbranch_vccnz .LBB7_1123
; %bb.1119:
	v_cmp_lt_i16_e32 vcc_lo, 0, v10
	s_mov_b32 s3, -1
	s_cbranch_vccz .LBB7_1121
; %bb.1120:
	v_cvt_i32_f64_e32 v2, v[0:1]
	s_mov_b32 s3, 0
	s_waitcnt vmcnt(0)
	global_store_b8 v[6:7], v2, off
.LBB7_1121:
	s_and_not1_b32 vcc_lo, exec_lo, s3
	s_cbranch_vccnz .LBB7_1123
; %bb.1122:
	v_trunc_f64_e32 v[0:1], v[0:1]
	s_delay_alu instid0(VALU_DEP_1) | instskip(NEXT) | instid1(VALU_DEP_1)
	v_ldexp_f64 v[2:3], v[0:1], 0xffffffe0
	v_floor_f64_e32 v[2:3], v[2:3]
	s_delay_alu instid0(VALU_DEP_1) | instskip(NEXT) | instid1(VALU_DEP_1)
	v_fma_f64 v[0:1], 0xc1f00000, v[2:3], v[0:1]
	v_cvt_u32_f64_e32 v0, v[0:1]
	s_waitcnt vmcnt(0)
	global_store_b8 v[6:7], v0, off
.LBB7_1123:
	s_or_b32 exec_lo, exec_lo, s2
	s_delay_alu instid0(SALU_CYCLE_1)
	s_and_b32 s8, s6, exec_lo
                                        ; implicit-def: $vgpr5
                                        ; implicit-def: $vgpr11
.LBB7_1124:
	s_or_saveexec_b32 s9, s28
	s_mov_b32 s3, 0
                                        ; implicit-def: $vgpr0_vgpr1
                                        ; implicit-def: $sgpr2
                                        ; implicit-def: $vgpr8_vgpr9
	s_xor_b32 exec_lo, exec_lo, s9
	s_cbranch_execz .LBB7_1765
; %bb.1125:
	v_cndmask_b32_e64 v1, 0, 1, s27
	s_and_not1_b32 vcc_lo, exec_lo, s27
	s_cbranch_vccnz .LBB7_1131
; %bb.1126:
	v_mov_b32_e32 v2, 0
	v_mov_b32_e32 v0, 0
	s_cmp_lg_u32 s24, 0
	s_mov_b32 s6, 0
	s_cbranch_scc0 .LBB7_1135
; %bb.1127:
	s_min_u32 s7, s25, 15
	v_mov_b32_e32 v2, 0
	s_add_i32 s7, s7, 1
	s_cmp_eq_u32 s25, 2
	s_mov_b32 s10, 0
	s_cbranch_scc1 .LBB7_1132
; %bb.1128:
	v_dual_mov_b32 v0, 0 :: v_dual_mov_b32 v3, v11
	v_mov_b32_e32 v2, 0
	s_add_u32 s2, s16, 0xc4
	s_addc_u32 s3, s17, 0
	s_and_b32 s10, s7, 28
	s_mov_b32 s11, 0
	s_mov_b64 s[4:5], s[16:17]
.LBB7_1129:                             ; =>This Inner Loop Header: Depth=1
	s_clause 0x1
	s_load_b256 s[36:43], s[4:5], 0x4
	s_load_b128 s[12:15], s[4:5], 0x24
	s_load_b256 s[44:51], s[2:3], 0x0
	s_add_u32 s4, s4, 48
	s_addc_u32 s5, s5, 0
	s_add_i32 s11, s11, 4
	s_add_u32 s2, s2, 32
	s_addc_u32 s3, s3, 0
	s_cmp_lg_u32 s10, s11
	s_waitcnt lgkmcnt(0)
	v_mul_hi_u32 v4, s37, v3
	s_delay_alu instid0(VALU_DEP_1) | instskip(NEXT) | instid1(VALU_DEP_1)
	v_add_nc_u32_e32 v4, v3, v4
	v_lshrrev_b32_e32 v4, s38, v4
	s_waitcnt vmcnt(0)
	s_delay_alu instid0(VALU_DEP_1) | instskip(SKIP_1) | instid1(VALU_DEP_2)
	v_mul_hi_u32 v6, s40, v4
	v_mul_lo_u32 v8, v4, s36
	v_add_nc_u32_e32 v6, v4, v6
	s_delay_alu instid0(VALU_DEP_2) | instskip(NEXT) | instid1(VALU_DEP_2)
	v_sub_nc_u32_e32 v3, v3, v8
	v_lshrrev_b32_e32 v6, s41, v6
	s_delay_alu instid0(VALU_DEP_2) | instskip(SKIP_1) | instid1(VALU_DEP_3)
	v_mul_lo_u32 v8, v3, s44
	v_mul_lo_u32 v10, v3, s45
	v_mul_hi_u32 v7, s43, v6
	s_delay_alu instid0(VALU_DEP_1) | instskip(NEXT) | instid1(VALU_DEP_1)
	v_add_nc_u32_e32 v7, v6, v7
	v_lshrrev_b32_e32 v7, s12, v7
	s_delay_alu instid0(VALU_DEP_1) | instskip(SKIP_1) | instid1(VALU_DEP_2)
	v_mul_hi_u32 v9, s14, v7
	v_mul_lo_u32 v12, v7, s42
	v_add_nc_u32_e32 v3, v7, v9
	v_mul_lo_u32 v9, v6, s39
	s_delay_alu instid0(VALU_DEP_3) | instskip(NEXT) | instid1(VALU_DEP_3)
	v_sub_nc_u32_e32 v6, v6, v12
	v_lshrrev_b32_e32 v3, s15, v3
	s_delay_alu instid0(VALU_DEP_2) | instskip(SKIP_2) | instid1(VALU_DEP_4)
	v_mul_lo_u32 v12, v6, s48
	v_mul_lo_u32 v6, v6, s49
	v_sub_nc_u32_e32 v4, v4, v9
	v_mul_lo_u32 v13, v3, s13
	s_delay_alu instid0(VALU_DEP_2) | instskip(SKIP_1) | instid1(VALU_DEP_3)
	v_mul_lo_u32 v9, v4, s46
	v_mul_lo_u32 v4, v4, s47
	v_sub_nc_u32_e32 v7, v7, v13
	s_delay_alu instid0(VALU_DEP_3) | instskip(NEXT) | instid1(VALU_DEP_2)
	v_add3_u32 v2, v8, v2, v9
	v_mul_lo_u32 v13, v7, s50
	v_mul_lo_u32 v7, v7, s51
	v_add3_u32 v0, v10, v0, v4
	s_delay_alu instid0(VALU_DEP_3) | instskip(NEXT) | instid1(VALU_DEP_2)
	v_add3_u32 v2, v12, v2, v13
	v_add3_u32 v0, v6, v0, v7
	s_cbranch_scc1 .LBB7_1129
; %bb.1130:
	s_and_b32 s7, s7, 3
	s_delay_alu instid0(SALU_CYCLE_1)
	s_cmp_eq_u32 s7, 0
	s_cbranch_scc0 .LBB7_1133
	s_branch .LBB7_1135
.LBB7_1131:
	s_mov_b32 s6, -1
                                        ; implicit-def: $vgpr2
                                        ; implicit-def: $vgpr0
	s_branch .LBB7_1135
.LBB7_1132:
	v_dual_mov_b32 v3, v11 :: v_dual_mov_b32 v0, 0
	s_and_b32 s7, s7, 3
	s_delay_alu instid0(SALU_CYCLE_1)
	s_cmp_eq_u32 s7, 0
	s_cbranch_scc1 .LBB7_1135
.LBB7_1133:
	s_lshl_b32 s2, s10, 3
	s_mul_i32 s4, s10, 12
	s_add_u32 s2, s2, s16
	s_addc_u32 s3, 0, s17
	s_add_u32 s2, s2, 0xc4
	s_addc_u32 s3, s3, 0
	;; [unrolled: 2-line block ×3, first 2 shown]
	.p2align	6
.LBB7_1134:                             ; =>This Inner Loop Header: Depth=1
	s_clause 0x1
	s_load_b64 s[10:11], s[4:5], 0x4
	s_load_b32 s14, s[4:5], 0xc
	s_load_b64 s[12:13], s[2:3], 0x0
	s_add_u32 s4, s4, 12
	s_addc_u32 s5, s5, 0
	s_add_u32 s2, s2, 8
	s_addc_u32 s3, s3, 0
	s_add_i32 s7, s7, -1
	s_delay_alu instid0(SALU_CYCLE_1) | instskip(SKIP_2) | instid1(VALU_DEP_1)
	s_cmp_lg_u32 s7, 0
	s_waitcnt lgkmcnt(0)
	v_mul_hi_u32 v4, s11, v3
	v_add_nc_u32_e32 v4, v3, v4
	s_delay_alu instid0(VALU_DEP_1) | instskip(SKIP_1) | instid1(VALU_DEP_1)
	v_lshrrev_b32_e32 v4, s14, v4
	s_waitcnt vmcnt(0)
	v_mul_lo_u32 v6, v4, s10
	s_delay_alu instid0(VALU_DEP_1) | instskip(NEXT) | instid1(VALU_DEP_1)
	v_sub_nc_u32_e32 v3, v3, v6
	v_mad_u64_u32 v[6:7], null, v3, s12, v[2:3]
	v_mad_u64_u32 v[7:8], null, v3, s13, v[0:1]
	s_delay_alu instid0(VALU_DEP_2) | instskip(NEXT) | instid1(VALU_DEP_2)
	v_dual_mov_b32 v3, v4 :: v_dual_mov_b32 v2, v6
	v_mov_b32_e32 v0, v7
	s_cbranch_scc1 .LBB7_1134
.LBB7_1135:
	s_and_not1_b32 vcc_lo, exec_lo, s6
	s_cbranch_vccnz .LBB7_1138
; %bb.1136:
	s_clause 0x1
	s_load_b128 s[4:7], s[16:17], 0x4
	s_load_b64 s[2:3], s[16:17], 0xc4
	s_cmp_lt_u32 s24, 2
	s_waitcnt lgkmcnt(0)
	v_mul_hi_u32 v0, s5, v11
	s_delay_alu instid0(VALU_DEP_1) | instskip(NEXT) | instid1(VALU_DEP_1)
	v_add_nc_u32_e32 v0, v11, v0
	v_lshrrev_b32_e32 v3, s6, v0
	s_delay_alu instid0(VALU_DEP_1) | instskip(NEXT) | instid1(VALU_DEP_1)
	v_mul_lo_u32 v0, v3, s4
	v_sub_nc_u32_e32 v0, v11, v0
	s_delay_alu instid0(VALU_DEP_1)
	v_mul_lo_u32 v2, v0, s2
	v_mul_lo_u32 v0, v0, s3
	s_cbranch_scc1 .LBB7_1138
; %bb.1137:
	s_clause 0x1
	s_load_b128 s[4:7], s[16:17], 0x10
	s_load_b64 s[2:3], s[16:17], 0xcc
	s_waitcnt lgkmcnt(0)
	v_mul_hi_u32 v4, s5, v3
	s_delay_alu instid0(VALU_DEP_1) | instskip(NEXT) | instid1(VALU_DEP_1)
	v_add_nc_u32_e32 v4, v3, v4
	v_lshrrev_b32_e32 v4, s6, v4
	s_delay_alu instid0(VALU_DEP_1) | instskip(SKIP_1) | instid1(VALU_DEP_1)
	v_mul_lo_u32 v4, v4, s4
	s_waitcnt vmcnt(0)
	v_sub_nc_u32_e32 v8, v3, v4
	s_delay_alu instid0(VALU_DEP_1) | instskip(SKIP_1) | instid1(VALU_DEP_2)
	v_mad_u64_u32 v[3:4], null, v8, s2, v[2:3]
	v_mad_u64_u32 v[6:7], null, v8, s3, v[0:1]
	v_mov_b32_e32 v2, v3
	s_delay_alu instid0(VALU_DEP_2)
	v_mov_b32_e32 v0, v6
.LBB7_1138:
	v_cmp_ne_u32_e32 vcc_lo, 1, v1
	v_add_nc_u32_e32 v3, 0x80, v11
	s_cbranch_vccnz .LBB7_1144
; %bb.1139:
	s_waitcnt vmcnt(0)
	v_mov_b32_e32 v6, 0
	v_mov_b32_e32 v4, 0
	s_cmp_lg_u32 s24, 0
	s_mov_b32 s6, 0
	s_cbranch_scc0 .LBB7_1148
; %bb.1140:
	s_min_u32 s7, s25, 15
	v_mov_b32_e32 v6, 0
	s_add_i32 s7, s7, 1
	s_cmp_eq_u32 s25, 2
	s_mov_b32 s10, 0
	s_cbranch_scc1 .LBB7_1145
; %bb.1141:
	v_dual_mov_b32 v4, 0 :: v_dual_mov_b32 v7, v3
	v_mov_b32_e32 v6, 0
	s_add_u32 s2, s16, 0xc4
	s_addc_u32 s3, s17, 0
	s_and_b32 s10, s7, 28
	s_mov_b32 s11, 0
	s_mov_b64 s[4:5], s[16:17]
.LBB7_1142:                             ; =>This Inner Loop Header: Depth=1
	s_clause 0x1
	s_load_b256 s[36:43], s[4:5], 0x4
	s_load_b128 s[12:15], s[4:5], 0x24
	s_load_b256 s[44:51], s[2:3], 0x0
	s_add_u32 s4, s4, 48
	s_addc_u32 s5, s5, 0
	s_add_i32 s11, s11, 4
	s_add_u32 s2, s2, 32
	s_addc_u32 s3, s3, 0
	s_cmp_lg_u32 s10, s11
	s_waitcnt lgkmcnt(0)
	v_mul_hi_u32 v8, s37, v7
	s_delay_alu instid0(VALU_DEP_1) | instskip(NEXT) | instid1(VALU_DEP_1)
	v_add_nc_u32_e32 v8, v7, v8
	v_lshrrev_b32_e32 v8, s38, v8
	s_delay_alu instid0(VALU_DEP_1) | instskip(SKIP_1) | instid1(VALU_DEP_2)
	v_mul_hi_u32 v9, s40, v8
	v_mul_lo_u32 v12, v8, s36
	v_add_nc_u32_e32 v9, v8, v9
	s_delay_alu instid0(VALU_DEP_2) | instskip(NEXT) | instid1(VALU_DEP_2)
	v_sub_nc_u32_e32 v7, v7, v12
	v_lshrrev_b32_e32 v9, s41, v9
	s_delay_alu instid0(VALU_DEP_2) | instskip(SKIP_1) | instid1(VALU_DEP_3)
	v_mul_lo_u32 v12, v7, s44
	v_mul_lo_u32 v14, v7, s45
	v_mul_hi_u32 v10, s43, v9
	s_delay_alu instid0(VALU_DEP_1) | instskip(NEXT) | instid1(VALU_DEP_1)
	v_add_nc_u32_e32 v10, v9, v10
	v_lshrrev_b32_e32 v10, s12, v10
	s_delay_alu instid0(VALU_DEP_1) | instskip(SKIP_1) | instid1(VALU_DEP_2)
	v_mul_hi_u32 v13, s14, v10
	v_mul_lo_u32 v15, v10, s42
	v_add_nc_u32_e32 v7, v10, v13
	v_mul_lo_u32 v13, v9, s39
	s_delay_alu instid0(VALU_DEP_3) | instskip(NEXT) | instid1(VALU_DEP_3)
	v_sub_nc_u32_e32 v9, v9, v15
	v_lshrrev_b32_e32 v7, s15, v7
	s_delay_alu instid0(VALU_DEP_2) | instskip(SKIP_2) | instid1(VALU_DEP_4)
	v_mul_lo_u32 v15, v9, s48
	v_mul_lo_u32 v9, v9, s49
	v_sub_nc_u32_e32 v8, v8, v13
	v_mul_lo_u32 v16, v7, s13
	s_delay_alu instid0(VALU_DEP_2) | instskip(SKIP_1) | instid1(VALU_DEP_3)
	v_mul_lo_u32 v13, v8, s46
	v_mul_lo_u32 v8, v8, s47
	v_sub_nc_u32_e32 v10, v10, v16
	s_delay_alu instid0(VALU_DEP_3) | instskip(NEXT) | instid1(VALU_DEP_2)
	v_add3_u32 v6, v12, v6, v13
	v_mul_lo_u32 v16, v10, s50
	v_mul_lo_u32 v10, v10, s51
	v_add3_u32 v4, v14, v4, v8
	s_delay_alu instid0(VALU_DEP_3) | instskip(NEXT) | instid1(VALU_DEP_2)
	v_add3_u32 v6, v15, v6, v16
	v_add3_u32 v4, v9, v4, v10
	s_cbranch_scc1 .LBB7_1142
; %bb.1143:
	s_and_b32 s7, s7, 3
	s_delay_alu instid0(SALU_CYCLE_1)
	s_cmp_eq_u32 s7, 0
	s_cbranch_scc0 .LBB7_1146
	s_branch .LBB7_1148
.LBB7_1144:
	s_mov_b32 s6, -1
                                        ; implicit-def: $vgpr6
                                        ; implicit-def: $vgpr4
	s_branch .LBB7_1148
.LBB7_1145:
	v_dual_mov_b32 v7, v3 :: v_dual_mov_b32 v4, 0
	s_and_b32 s7, s7, 3
	s_delay_alu instid0(SALU_CYCLE_1)
	s_cmp_eq_u32 s7, 0
	s_cbranch_scc1 .LBB7_1148
.LBB7_1146:
	s_lshl_b32 s2, s10, 3
	s_mul_i32 s4, s10, 12
	s_add_u32 s2, s2, s16
	s_addc_u32 s3, 0, s17
	s_add_u32 s2, s2, 0xc4
	s_addc_u32 s3, s3, 0
	;; [unrolled: 2-line block ×3, first 2 shown]
	.p2align	6
.LBB7_1147:                             ; =>This Inner Loop Header: Depth=1
	s_clause 0x1
	s_load_b64 s[10:11], s[4:5], 0x4
	s_load_b32 s14, s[4:5], 0xc
	s_load_b64 s[12:13], s[2:3], 0x0
	s_add_u32 s4, s4, 12
	s_addc_u32 s5, s5, 0
	s_add_u32 s2, s2, 8
	s_addc_u32 s3, s3, 0
	s_add_i32 s7, s7, -1
	s_delay_alu instid0(SALU_CYCLE_1) | instskip(SKIP_2) | instid1(VALU_DEP_1)
	s_cmp_lg_u32 s7, 0
	s_waitcnt lgkmcnt(0)
	v_mul_hi_u32 v8, s11, v7
	v_add_nc_u32_e32 v8, v7, v8
	s_delay_alu instid0(VALU_DEP_1) | instskip(NEXT) | instid1(VALU_DEP_1)
	v_lshrrev_b32_e32 v12, s14, v8
	v_mul_lo_u32 v8, v12, s10
	s_delay_alu instid0(VALU_DEP_1) | instskip(NEXT) | instid1(VALU_DEP_1)
	v_sub_nc_u32_e32 v7, v7, v8
	v_mad_u64_u32 v[8:9], null, v7, s12, v[6:7]
	v_mad_u64_u32 v[9:10], null, v7, s13, v[4:5]
	v_mov_b32_e32 v7, v12
	s_delay_alu instid0(VALU_DEP_3) | instskip(NEXT) | instid1(VALU_DEP_3)
	v_mov_b32_e32 v6, v8
	v_mov_b32_e32 v4, v9
	s_cbranch_scc1 .LBB7_1147
.LBB7_1148:
	s_and_not1_b32 vcc_lo, exec_lo, s6
	s_cbranch_vccnz .LBB7_1151
; %bb.1149:
	s_clause 0x1
	s_load_b128 s[4:7], s[16:17], 0x4
	s_load_b64 s[2:3], s[16:17], 0xc4
	s_cmp_lt_u32 s24, 2
	s_waitcnt lgkmcnt(0)
	v_mul_hi_u32 v4, s5, v3
	s_delay_alu instid0(VALU_DEP_1) | instskip(SKIP_1) | instid1(VALU_DEP_1)
	v_add_nc_u32_e32 v4, v3, v4
	s_waitcnt vmcnt(0)
	v_lshrrev_b32_e32 v7, s6, v4
	s_delay_alu instid0(VALU_DEP_1) | instskip(NEXT) | instid1(VALU_DEP_1)
	v_mul_lo_u32 v4, v7, s4
	v_sub_nc_u32_e32 v3, v3, v4
	s_delay_alu instid0(VALU_DEP_1)
	v_mul_lo_u32 v6, v3, s2
	v_mul_lo_u32 v4, v3, s3
	s_cbranch_scc1 .LBB7_1151
; %bb.1150:
	s_clause 0x1
	s_load_b128 s[4:7], s[16:17], 0x10
	s_load_b64 s[2:3], s[16:17], 0xcc
	s_waitcnt lgkmcnt(0)
	v_mul_hi_u32 v3, s5, v7
	s_delay_alu instid0(VALU_DEP_1) | instskip(NEXT) | instid1(VALU_DEP_1)
	v_add_nc_u32_e32 v3, v7, v3
	v_lshrrev_b32_e32 v3, s6, v3
	s_delay_alu instid0(VALU_DEP_1) | instskip(NEXT) | instid1(VALU_DEP_1)
	v_mul_lo_u32 v3, v3, s4
	v_sub_nc_u32_e32 v3, v7, v3
	s_delay_alu instid0(VALU_DEP_1) | instskip(SKIP_1) | instid1(VALU_DEP_2)
	v_mad_u64_u32 v[7:8], null, v3, s2, v[6:7]
	v_mad_u64_u32 v[8:9], null, v3, s3, v[4:5]
	v_mov_b32_e32 v6, v7
	s_delay_alu instid0(VALU_DEP_2)
	v_mov_b32_e32 v4, v8
.LBB7_1151:
	v_cmp_ne_u32_e32 vcc_lo, 1, v1
	v_add_nc_u32_e32 v3, 0x100, v11
	s_cbranch_vccnz .LBB7_1157
; %bb.1152:
	s_waitcnt vmcnt(0)
	v_dual_mov_b32 v12, 0 :: v_dual_mov_b32 v7, 0
	s_cmp_lg_u32 s24, 0
	s_mov_b32 s6, 0
	s_cbranch_scc0 .LBB7_1161
; %bb.1153:
	s_min_u32 s7, s25, 15
	v_mov_b32_e32 v12, 0
	s_add_i32 s7, s7, 1
	s_cmp_eq_u32 s25, 2
	s_mov_b32 s10, 0
	s_cbranch_scc1 .LBB7_1158
; %bb.1154:
	v_dual_mov_b32 v7, 0 :: v_dual_mov_b32 v12, 0
	v_mov_b32_e32 v8, v3
	s_add_u32 s2, s16, 0xc4
	s_addc_u32 s3, s17, 0
	s_and_b32 s10, s7, 28
	s_mov_b32 s11, 0
	s_mov_b64 s[4:5], s[16:17]
.LBB7_1155:                             ; =>This Inner Loop Header: Depth=1
	s_clause 0x1
	s_load_b256 s[36:43], s[4:5], 0x4
	s_load_b128 s[12:15], s[4:5], 0x24
	s_load_b256 s[44:51], s[2:3], 0x0
	s_add_u32 s4, s4, 48
	s_addc_u32 s5, s5, 0
	s_add_i32 s11, s11, 4
	s_add_u32 s2, s2, 32
	s_addc_u32 s3, s3, 0
	s_cmp_lg_u32 s10, s11
	s_waitcnt lgkmcnt(0)
	v_mul_hi_u32 v9, s37, v8
	s_delay_alu instid0(VALU_DEP_1) | instskip(NEXT) | instid1(VALU_DEP_1)
	v_add_nc_u32_e32 v9, v8, v9
	v_lshrrev_b32_e32 v9, s38, v9
	s_delay_alu instid0(VALU_DEP_1) | instskip(SKIP_1) | instid1(VALU_DEP_2)
	v_mul_hi_u32 v10, s40, v9
	v_mul_lo_u32 v13, v9, s36
	v_add_nc_u32_e32 v10, v9, v10
	s_delay_alu instid0(VALU_DEP_2) | instskip(NEXT) | instid1(VALU_DEP_2)
	v_sub_nc_u32_e32 v8, v8, v13
	v_lshrrev_b32_e32 v10, s41, v10
	s_delay_alu instid0(VALU_DEP_2) | instskip(SKIP_1) | instid1(VALU_DEP_3)
	v_mul_lo_u32 v13, v8, s44
	v_mul_lo_u32 v15, v8, s45
	v_mul_hi_u32 v11, s43, v10
	s_delay_alu instid0(VALU_DEP_1) | instskip(NEXT) | instid1(VALU_DEP_1)
	v_add_nc_u32_e32 v11, v10, v11
	v_lshrrev_b32_e32 v11, s12, v11
	s_delay_alu instid0(VALU_DEP_1) | instskip(SKIP_1) | instid1(VALU_DEP_2)
	v_mul_hi_u32 v14, s14, v11
	v_mul_lo_u32 v16, v11, s42
	v_add_nc_u32_e32 v8, v11, v14
	v_mul_lo_u32 v14, v10, s39
	s_delay_alu instid0(VALU_DEP_3) | instskip(NEXT) | instid1(VALU_DEP_3)
	v_sub_nc_u32_e32 v10, v10, v16
	v_lshrrev_b32_e32 v8, s15, v8
	s_delay_alu instid0(VALU_DEP_2) | instskip(SKIP_2) | instid1(VALU_DEP_4)
	v_mul_lo_u32 v16, v10, s48
	v_mul_lo_u32 v10, v10, s49
	v_sub_nc_u32_e32 v9, v9, v14
	v_mul_lo_u32 v17, v8, s13
	s_delay_alu instid0(VALU_DEP_2) | instskip(SKIP_1) | instid1(VALU_DEP_3)
	v_mul_lo_u32 v14, v9, s46
	v_mul_lo_u32 v9, v9, s47
	v_sub_nc_u32_e32 v11, v11, v17
	s_delay_alu instid0(VALU_DEP_3) | instskip(NEXT) | instid1(VALU_DEP_2)
	v_add3_u32 v12, v13, v12, v14
	v_mul_lo_u32 v17, v11, s50
	v_mul_lo_u32 v11, v11, s51
	v_add3_u32 v7, v15, v7, v9
	s_delay_alu instid0(VALU_DEP_3) | instskip(NEXT) | instid1(VALU_DEP_2)
	v_add3_u32 v12, v16, v12, v17
	v_add3_u32 v7, v10, v7, v11
	s_cbranch_scc1 .LBB7_1155
; %bb.1156:
	s_and_b32 s7, s7, 3
	s_delay_alu instid0(SALU_CYCLE_1)
	s_cmp_eq_u32 s7, 0
	s_cbranch_scc0 .LBB7_1159
	s_branch .LBB7_1161
.LBB7_1157:
	s_mov_b32 s6, -1
                                        ; implicit-def: $vgpr12
                                        ; implicit-def: $vgpr7
	s_branch .LBB7_1161
.LBB7_1158:
	v_dual_mov_b32 v8, v3 :: v_dual_mov_b32 v7, 0
	s_and_b32 s7, s7, 3
	s_delay_alu instid0(SALU_CYCLE_1)
	s_cmp_eq_u32 s7, 0
	s_cbranch_scc1 .LBB7_1161
.LBB7_1159:
	s_lshl_b32 s2, s10, 3
	s_mul_i32 s4, s10, 12
	s_add_u32 s2, s2, s16
	s_addc_u32 s3, 0, s17
	s_add_u32 s2, s2, 0xc4
	s_addc_u32 s3, s3, 0
	s_add_u32 s4, s16, s4
	s_addc_u32 s5, 0, s17
	.p2align	6
.LBB7_1160:                             ; =>This Inner Loop Header: Depth=1
	s_clause 0x1
	s_load_b64 s[10:11], s[4:5], 0x4
	s_load_b32 s14, s[4:5], 0xc
	s_load_b64 s[12:13], s[2:3], 0x0
	s_add_u32 s4, s4, 12
	s_addc_u32 s5, s5, 0
	s_add_u32 s2, s2, 8
	s_addc_u32 s3, s3, 0
	s_add_i32 s7, s7, -1
	s_delay_alu instid0(SALU_CYCLE_1) | instskip(SKIP_2) | instid1(VALU_DEP_1)
	s_cmp_lg_u32 s7, 0
	s_waitcnt lgkmcnt(0)
	v_mul_hi_u32 v9, s11, v8
	v_add_nc_u32_e32 v9, v8, v9
	s_delay_alu instid0(VALU_DEP_1) | instskip(NEXT) | instid1(VALU_DEP_1)
	v_lshrrev_b32_e32 v13, s14, v9
	v_mul_lo_u32 v9, v13, s10
	s_delay_alu instid0(VALU_DEP_1) | instskip(NEXT) | instid1(VALU_DEP_1)
	v_sub_nc_u32_e32 v8, v8, v9
	v_mad_u64_u32 v[9:10], null, v8, s12, v[12:13]
	v_mad_u64_u32 v[10:11], null, v8, s13, v[7:8]
	v_mov_b32_e32 v8, v13
	s_delay_alu instid0(VALU_DEP_2)
	v_dual_mov_b32 v12, v9 :: v_dual_mov_b32 v7, v10
	s_cbranch_scc1 .LBB7_1160
.LBB7_1161:
	s_and_not1_b32 vcc_lo, exec_lo, s6
	s_cbranch_vccnz .LBB7_1164
; %bb.1162:
	s_clause 0x1
	s_load_b128 s[4:7], s[16:17], 0x4
	s_load_b64 s[2:3], s[16:17], 0xc4
	s_cmp_lt_u32 s24, 2
	s_waitcnt vmcnt(0) lgkmcnt(0)
	v_mul_hi_u32 v7, s5, v3
	s_delay_alu instid0(VALU_DEP_1) | instskip(NEXT) | instid1(VALU_DEP_1)
	v_add_nc_u32_e32 v7, v3, v7
	v_lshrrev_b32_e32 v8, s6, v7
	s_delay_alu instid0(VALU_DEP_1) | instskip(NEXT) | instid1(VALU_DEP_1)
	v_mul_lo_u32 v7, v8, s4
	v_sub_nc_u32_e32 v3, v3, v7
	s_delay_alu instid0(VALU_DEP_1)
	v_mul_lo_u32 v12, v3, s2
	v_mul_lo_u32 v7, v3, s3
	s_cbranch_scc1 .LBB7_1164
; %bb.1163:
	s_clause 0x1
	s_load_b128 s[4:7], s[16:17], 0x10
	s_load_b64 s[2:3], s[16:17], 0xcc
	s_waitcnt lgkmcnt(0)
	v_mul_hi_u32 v3, s5, v8
	s_delay_alu instid0(VALU_DEP_1) | instskip(NEXT) | instid1(VALU_DEP_1)
	v_add_nc_u32_e32 v3, v8, v3
	v_lshrrev_b32_e32 v3, s6, v3
	s_delay_alu instid0(VALU_DEP_1) | instskip(NEXT) | instid1(VALU_DEP_1)
	v_mul_lo_u32 v3, v3, s4
	v_sub_nc_u32_e32 v3, v8, v3
	s_delay_alu instid0(VALU_DEP_1) | instskip(NEXT) | instid1(VALU_DEP_1)
	v_mad_u64_u32 v[8:9], null, v3, s2, v[12:13]
	v_mad_u64_u32 v[9:10], null, v3, s3, v[7:8]
	s_delay_alu instid0(VALU_DEP_1)
	v_dual_mov_b32 v12, v8 :: v_dual_mov_b32 v7, v9
.LBB7_1164:
	v_cmp_ne_u32_e32 vcc_lo, 1, v1
	s_cbranch_vccnz .LBB7_1170
; %bb.1165:
	v_dual_mov_b32 v14, 0 :: v_dual_mov_b32 v3, 0
	s_cmp_lg_u32 s24, 0
	s_mov_b32 s6, 0
	s_cbranch_scc0 .LBB7_1174
; %bb.1166:
	s_min_u32 s7, s25, 15
	v_mov_b32_e32 v14, 0
	s_add_i32 s7, s7, 1
	s_cmp_eq_u32 s25, 2
	s_mov_b32 s10, 0
	s_cbranch_scc1 .LBB7_1171
; %bb.1167:
	v_dual_mov_b32 v3, 0 :: v_dual_mov_b32 v14, 0
	v_mov_b32_e32 v1, v5
	s_add_u32 s2, s16, 0xc4
	s_addc_u32 s3, s17, 0
	s_and_b32 s10, s7, 28
	s_mov_b32 s11, 0
	s_mov_b64 s[4:5], s[16:17]
.LBB7_1168:                             ; =>This Inner Loop Header: Depth=1
	s_clause 0x1
	s_load_b256 s[36:43], s[4:5], 0x4
	s_load_b128 s[12:15], s[4:5], 0x24
	s_load_b256 s[44:51], s[2:3], 0x0
	s_add_u32 s4, s4, 48
	s_addc_u32 s5, s5, 0
	s_add_i32 s11, s11, 4
	s_add_u32 s2, s2, 32
	s_addc_u32 s3, s3, 0
	s_cmp_lg_u32 s10, s11
	s_waitcnt vmcnt(0) lgkmcnt(0)
	v_mul_hi_u32 v8, s37, v1
	s_delay_alu instid0(VALU_DEP_1) | instskip(NEXT) | instid1(VALU_DEP_1)
	v_add_nc_u32_e32 v8, v1, v8
	v_lshrrev_b32_e32 v8, s38, v8
	s_delay_alu instid0(VALU_DEP_1) | instskip(SKIP_1) | instid1(VALU_DEP_2)
	v_mul_hi_u32 v9, s40, v8
	v_mul_lo_u32 v11, v8, s36
	v_add_nc_u32_e32 v9, v8, v9
	s_delay_alu instid0(VALU_DEP_2) | instskip(NEXT) | instid1(VALU_DEP_2)
	v_sub_nc_u32_e32 v1, v1, v11
	v_lshrrev_b32_e32 v9, s41, v9
	s_delay_alu instid0(VALU_DEP_2) | instskip(SKIP_1) | instid1(VALU_DEP_3)
	v_mul_lo_u32 v11, v1, s44
	v_mul_lo_u32 v15, v1, s45
	v_mul_hi_u32 v10, s43, v9
	s_delay_alu instid0(VALU_DEP_1) | instskip(NEXT) | instid1(VALU_DEP_1)
	v_add_nc_u32_e32 v10, v9, v10
	v_lshrrev_b32_e32 v10, s12, v10
	s_delay_alu instid0(VALU_DEP_1) | instskip(SKIP_1) | instid1(VALU_DEP_2)
	v_mul_hi_u32 v13, s14, v10
	v_mul_lo_u32 v16, v10, s42
	v_add_nc_u32_e32 v1, v10, v13
	v_mul_lo_u32 v13, v9, s39
	s_delay_alu instid0(VALU_DEP_3) | instskip(NEXT) | instid1(VALU_DEP_3)
	v_sub_nc_u32_e32 v9, v9, v16
	v_lshrrev_b32_e32 v1, s15, v1
	s_delay_alu instid0(VALU_DEP_2) | instskip(SKIP_2) | instid1(VALU_DEP_4)
	v_mul_lo_u32 v16, v9, s48
	v_mul_lo_u32 v9, v9, s49
	v_sub_nc_u32_e32 v8, v8, v13
	v_mul_lo_u32 v17, v1, s13
	s_delay_alu instid0(VALU_DEP_2) | instskip(SKIP_1) | instid1(VALU_DEP_3)
	v_mul_lo_u32 v13, v8, s46
	v_mul_lo_u32 v8, v8, s47
	v_sub_nc_u32_e32 v10, v10, v17
	s_delay_alu instid0(VALU_DEP_3) | instskip(NEXT) | instid1(VALU_DEP_2)
	v_add3_u32 v11, v11, v14, v13
	v_mul_lo_u32 v17, v10, s50
	v_mul_lo_u32 v10, v10, s51
	v_add3_u32 v3, v15, v3, v8
	s_delay_alu instid0(VALU_DEP_3) | instskip(NEXT) | instid1(VALU_DEP_2)
	v_add3_u32 v14, v16, v11, v17
	v_add3_u32 v3, v9, v3, v10
	s_cbranch_scc1 .LBB7_1168
; %bb.1169:
	s_and_b32 s7, s7, 3
	s_delay_alu instid0(SALU_CYCLE_1)
	s_cmp_eq_u32 s7, 0
	s_cbranch_scc0 .LBB7_1172
	s_branch .LBB7_1174
.LBB7_1170:
	s_mov_b32 s6, -1
                                        ; implicit-def: $vgpr14
                                        ; implicit-def: $vgpr3
	s_branch .LBB7_1174
.LBB7_1171:
	v_mov_b32_e32 v1, v5
	v_mov_b32_e32 v3, 0
	s_and_b32 s7, s7, 3
	s_delay_alu instid0(SALU_CYCLE_1)
	s_cmp_eq_u32 s7, 0
	s_cbranch_scc1 .LBB7_1174
.LBB7_1172:
	s_lshl_b32 s2, s10, 3
	s_mul_i32 s4, s10, 12
	s_add_u32 s2, s2, s16
	s_addc_u32 s3, 0, s17
	s_add_u32 s2, s2, 0xc4
	s_addc_u32 s3, s3, 0
	;; [unrolled: 2-line block ×3, first 2 shown]
	.p2align	6
.LBB7_1173:                             ; =>This Inner Loop Header: Depth=1
	s_clause 0x1
	s_load_b64 s[10:11], s[4:5], 0x4
	s_load_b32 s14, s[4:5], 0xc
	s_load_b64 s[12:13], s[2:3], 0x0
	s_add_u32 s4, s4, 12
	s_addc_u32 s5, s5, 0
	s_add_u32 s2, s2, 8
	s_addc_u32 s3, s3, 0
	s_add_i32 s7, s7, -1
	s_delay_alu instid0(SALU_CYCLE_1) | instskip(SKIP_2) | instid1(VALU_DEP_1)
	s_cmp_lg_u32 s7, 0
	s_waitcnt vmcnt(0) lgkmcnt(0)
	v_mul_hi_u32 v8, s11, v1
	v_add_nc_u32_e32 v8, v1, v8
	s_delay_alu instid0(VALU_DEP_1) | instskip(NEXT) | instid1(VALU_DEP_1)
	v_lshrrev_b32_e32 v11, s14, v8
	v_mul_lo_u32 v8, v11, s10
	s_delay_alu instid0(VALU_DEP_1) | instskip(NEXT) | instid1(VALU_DEP_1)
	v_sub_nc_u32_e32 v1, v1, v8
	v_mad_u64_u32 v[8:9], null, v1, s12, v[14:15]
	v_mad_u64_u32 v[9:10], null, v1, s13, v[3:4]
	s_delay_alu instid0(VALU_DEP_2) | instskip(NEXT) | instid1(VALU_DEP_2)
	v_dual_mov_b32 v1, v11 :: v_dual_mov_b32 v14, v8
	v_mov_b32_e32 v3, v9
	s_cbranch_scc1 .LBB7_1173
.LBB7_1174:
	s_and_not1_b32 vcc_lo, exec_lo, s6
	s_cbranch_vccnz .LBB7_1177
; %bb.1175:
	s_clause 0x1
	s_load_b128 s[4:7], s[16:17], 0x4
	s_load_b64 s[2:3], s[16:17], 0xc4
	s_cmp_lt_u32 s24, 2
	s_waitcnt lgkmcnt(0)
	v_mul_hi_u32 v1, s5, v5
	s_delay_alu instid0(VALU_DEP_1) | instskip(NEXT) | instid1(VALU_DEP_1)
	v_add_nc_u32_e32 v1, v5, v1
	v_lshrrev_b32_e32 v1, s6, v1
	s_delay_alu instid0(VALU_DEP_1) | instskip(NEXT) | instid1(VALU_DEP_1)
	v_mul_lo_u32 v3, v1, s4
	v_sub_nc_u32_e32 v3, v5, v3
	s_delay_alu instid0(VALU_DEP_1)
	v_mul_lo_u32 v14, v3, s2
	v_mul_lo_u32 v3, v3, s3
	s_cbranch_scc1 .LBB7_1177
; %bb.1176:
	s_clause 0x1
	s_load_b128 s[4:7], s[16:17], 0x10
	s_load_b64 s[2:3], s[16:17], 0xcc
	s_waitcnt lgkmcnt(0)
	v_mul_hi_u32 v5, s5, v1
	s_delay_alu instid0(VALU_DEP_1) | instskip(NEXT) | instid1(VALU_DEP_1)
	v_add_nc_u32_e32 v5, v1, v5
	v_lshrrev_b32_e32 v5, s6, v5
	s_delay_alu instid0(VALU_DEP_1) | instskip(NEXT) | instid1(VALU_DEP_1)
	v_mul_lo_u32 v5, v5, s4
	v_sub_nc_u32_e32 v1, v1, v5
	s_waitcnt vmcnt(0)
	s_delay_alu instid0(VALU_DEP_1) | instskip(SKIP_1) | instid1(VALU_DEP_1)
	v_mad_u64_u32 v[8:9], null, v1, s2, v[14:15]
	v_mad_u64_u32 v[9:10], null, v1, s3, v[3:4]
	v_dual_mov_b32 v14, v8 :: v_dual_mov_b32 v3, v9
.LBB7_1177:
	s_clause 0x1
	s_load_b32 s0, s[0:1], 0x170
	s_load_b128 s[4:7], s[16:17], 0x148
	s_waitcnt lgkmcnt(0)
	s_lshr_b32 s0, s0, 8
	s_delay_alu instid0(SALU_CYCLE_1) | instskip(SKIP_1) | instid1(VALU_DEP_1)
	v_and_b32_e64 v13, 0xff, s0
	v_add_co_u32 v0, s0, s6, v0
	v_add_co_ci_u32_e64 v1, null, s7, 0, s0
	s_delay_alu instid0(VALU_DEP_3)
	v_cmp_gt_i16_e32 vcc_lo, 11, v13
	s_mov_b32 s0, 0
	s_cbranch_vccnz .LBB7_1184
; %bb.1178:
	v_cmp_lt_i16_e32 vcc_lo, 25, v13
	s_mov_b32 s3, 0
	s_cbranch_vccz .LBB7_1190
; %bb.1179:
	v_cmp_lt_i16_e32 vcc_lo, 28, v13
	s_cbranch_vccz .LBB7_1192
; %bb.1180:
	v_cmp_lt_i16_e32 vcc_lo, 43, v13
	;; [unrolled: 3-line block ×3, first 2 shown]
	s_cbranch_vccz .LBB7_1198
; %bb.1182:
	v_cmp_eq_u16_e32 vcc_lo, 46, v13
	s_mov_b32 s1, 0
	s_cbranch_vccz .LBB7_1240
; %bb.1183:
	global_load_b32 v5, v[0:1], off
	s_mov_b32 s2, 0
	s_mov_b32 s0, -1
	s_waitcnt vmcnt(0)
	v_lshlrev_b32_e32 v5, 16, v5
	s_delay_alu instid0(VALU_DEP_1)
	v_cvt_f64_f32_e32 v[8:9], v5
	s_branch .LBB7_1242
.LBB7_1184:
	s_mov_b32 s10, s8
                                        ; implicit-def: $vgpr8_vgpr9
	s_cbranch_execz .LBB7_1305
; %bb.1185:
	v_cmp_gt_i16_e32 vcc_lo, 5, v13
	s_cbranch_vccnz .LBB7_1191
; %bb.1186:
	v_cmp_gt_i16_e32 vcc_lo, 8, v13
	s_cbranch_vccnz .LBB7_1193
	;; [unrolled: 3-line block ×3, first 2 shown]
; %bb.1188:
	v_cmp_lt_i16_e32 vcc_lo, 9, v13
	s_cbranch_vccz .LBB7_1199
; %bb.1189:
	global_load_b64 v[8:9], v[0:1], off
	s_mov_b32 s0, 0
	s_branch .LBB7_1200
.LBB7_1190:
	s_mov_b32 s2, 0
                                        ; implicit-def: $vgpr8_vgpr9
	s_cbranch_execnz .LBB7_1272
	s_branch .LBB7_1301
.LBB7_1191:
                                        ; implicit-def: $vgpr8_vgpr9
	s_branch .LBB7_1217
.LBB7_1192:
	s_mov_b32 s1, -1
	s_mov_b32 s2, 0
                                        ; implicit-def: $vgpr8_vgpr9
	s_branch .LBB7_1251
.LBB7_1193:
                                        ; implicit-def: $vgpr8_vgpr9
	s_branch .LBB7_1206
.LBB7_1194:
	s_mov_b32 s2, 0
                                        ; implicit-def: $vgpr8_vgpr9
	s_cbranch_execnz .LBB7_1247
	s_branch .LBB7_1250
.LBB7_1195:
	s_mov_b32 s0, -1
                                        ; implicit-def: $vgpr8_vgpr9
	s_branch .LBB7_1203
.LBB7_1196:
	s_cbranch_execnz .LBB7_1238
; %bb.1197:
	s_or_b32 s6, s6, exec_lo
	s_and_not1_b32 s8, s8, exec_lo
	s_or_b32 exec_lo, exec_lo, s2
	s_and_saveexec_b32 s2, s8
	s_delay_alu instid0(SALU_CYCLE_1)
	s_xor_b32 s2, exec_lo, s2
	s_cbranch_execnz .LBB7_1084
	s_branch .LBB7_1085
.LBB7_1198:
	s_mov_b32 s1, -1
	s_mov_b32 s2, 0
	s_branch .LBB7_1241
.LBB7_1199:
	s_mov_b32 s0, -1
                                        ; implicit-def: $vgpr8_vgpr9
.LBB7_1200:
	s_delay_alu instid0(SALU_CYCLE_1)
	s_and_not1_b32 vcc_lo, exec_lo, s0
	s_cbranch_vccnz .LBB7_1202
; %bb.1201:
	global_load_b32 v5, v[0:1], off
	s_waitcnt vmcnt(0)
	v_cvt_f64_f32_e32 v[8:9], v5
.LBB7_1202:
	s_mov_b32 s0, 0
.LBB7_1203:
	s_delay_alu instid0(SALU_CYCLE_1)
	s_and_not1_b32 vcc_lo, exec_lo, s0
	s_cbranch_vccnz .LBB7_1205
; %bb.1204:
	global_load_b32 v5, v[0:1], off
	s_waitcnt vmcnt(0)
	v_cvt_f32_f16_e32 v5, v5
	s_delay_alu instid0(VALU_DEP_1)
	v_cvt_f64_f32_e32 v[8:9], v5
.LBB7_1205:
	s_cbranch_execnz .LBB7_1216
.LBB7_1206:
	v_cmp_gt_i16_e32 vcc_lo, 6, v13
	s_cbranch_vccnz .LBB7_1209
; %bb.1207:
	v_cmp_lt_i16_e32 vcc_lo, 6, v13
	s_cbranch_vccz .LBB7_1210
; %bb.1208:
	global_load_b64 v[8:9], v[0:1], off
	s_mov_b32 s0, 0
	s_branch .LBB7_1211
.LBB7_1209:
	s_mov_b32 s0, -1
                                        ; implicit-def: $vgpr8_vgpr9
	s_branch .LBB7_1214
.LBB7_1210:
	s_mov_b32 s0, -1
                                        ; implicit-def: $vgpr8_vgpr9
.LBB7_1211:
	s_delay_alu instid0(SALU_CYCLE_1)
	s_and_not1_b32 vcc_lo, exec_lo, s0
	s_cbranch_vccnz .LBB7_1213
; %bb.1212:
	global_load_b32 v5, v[0:1], off
	s_waitcnt vmcnt(0)
	v_cvt_f64_f32_e32 v[8:9], v5
.LBB7_1213:
	s_mov_b32 s0, 0
.LBB7_1214:
	s_delay_alu instid0(SALU_CYCLE_1)
	s_and_not1_b32 vcc_lo, exec_lo, s0
	s_cbranch_vccnz .LBB7_1216
; %bb.1215:
	global_load_u16 v5, v[0:1], off
	s_waitcnt vmcnt(0)
	v_cvt_f32_f16_e32 v5, v5
	s_delay_alu instid0(VALU_DEP_1)
	v_cvt_f64_f32_e32 v[8:9], v5
.LBB7_1216:
	s_cbranch_execnz .LBB7_1235
.LBB7_1217:
	v_cmp_gt_i16_e32 vcc_lo, 2, v13
	s_cbranch_vccnz .LBB7_1221
; %bb.1218:
	v_cmp_gt_i16_e32 vcc_lo, 3, v13
	s_cbranch_vccnz .LBB7_1222
; %bb.1219:
	v_cmp_lt_i16_e32 vcc_lo, 3, v13
	s_cbranch_vccz .LBB7_1223
; %bb.1220:
	global_load_b64 v[8:9], v[0:1], off
	s_mov_b32 s0, 0
	s_waitcnt vmcnt(0)
	v_cvt_f64_i32_e32 v[9:10], v9
	v_cvt_f64_u32_e32 v[15:16], v8
	s_delay_alu instid0(VALU_DEP_2) | instskip(NEXT) | instid1(VALU_DEP_1)
	v_ldexp_f64 v[9:10], v[9:10], 32
	v_add_f64 v[8:9], v[9:10], v[15:16]
	s_branch .LBB7_1224
.LBB7_1221:
                                        ; implicit-def: $vgpr8_vgpr9
	s_branch .LBB7_1230
.LBB7_1222:
	s_mov_b32 s0, -1
                                        ; implicit-def: $vgpr8_vgpr9
	s_branch .LBB7_1227
.LBB7_1223:
	s_mov_b32 s0, -1
                                        ; implicit-def: $vgpr8_vgpr9
.LBB7_1224:
	s_delay_alu instid0(SALU_CYCLE_1)
	s_and_not1_b32 vcc_lo, exec_lo, s0
	s_cbranch_vccnz .LBB7_1226
; %bb.1225:
	global_load_b32 v5, v[0:1], off
	s_waitcnt vmcnt(0)
	v_cvt_f64_i32_e32 v[8:9], v5
.LBB7_1226:
	s_mov_b32 s0, 0
.LBB7_1227:
	s_delay_alu instid0(SALU_CYCLE_1)
	s_and_not1_b32 vcc_lo, exec_lo, s0
	s_cbranch_vccnz .LBB7_1229
; %bb.1228:
	global_load_i16 v5, v[0:1], off
	s_waitcnt vmcnt(0)
	v_cvt_f64_i32_e32 v[8:9], v5
.LBB7_1229:
	s_cbranch_execnz .LBB7_1235
.LBB7_1230:
	v_cmp_lt_i16_e32 vcc_lo, 0, v13
	s_mov_b32 s0, 0
	s_cbranch_vccz .LBB7_1232
; %bb.1231:
	global_load_i8 v5, v[0:1], off
	s_waitcnt vmcnt(0)
	v_cvt_f64_i32_e32 v[8:9], v5
	s_branch .LBB7_1233
.LBB7_1232:
	s_mov_b32 s0, -1
                                        ; implicit-def: $vgpr8_vgpr9
.LBB7_1233:
	s_delay_alu instid0(SALU_CYCLE_1)
	s_and_not1_b32 vcc_lo, exec_lo, s0
	s_cbranch_vccnz .LBB7_1235
; %bb.1234:
	global_load_u8 v0, v[0:1], off
	s_waitcnt vmcnt(0)
	v_cvt_f64_u32_e32 v[8:9], v0
.LBB7_1235:
                                        ; implicit-def: $vgpr10_vgpr11
	s_branch .LBB7_1306
.LBB7_1236:
	s_trap 2
	s_sendmsg_rtn_b32 s0, sendmsg(MSG_RTN_GET_DOORBELL)
	s_mov_b32 ttmp2, m0
	s_waitcnt lgkmcnt(0)
	s_and_b32 s0, s0, 0x3ff
	s_delay_alu instid0(SALU_CYCLE_1) | instskip(NEXT) | instid1(SALU_CYCLE_1)
	s_bitset1_b32 s0, 10
	s_mov_b32 m0, s0
	s_sendmsg sendmsg(MSG_INTERRUPT)
	s_mov_b32 m0, ttmp2
.LBB7_1237:                             ; =>This Inner Loop Header: Depth=1
	s_sethalt 5
	s_branch .LBB7_1237
.LBB7_1238:
	s_trap 2
	s_sendmsg_rtn_b32 s0, sendmsg(MSG_RTN_GET_DOORBELL)
	s_mov_b32 ttmp2, m0
	s_waitcnt lgkmcnt(0)
	s_and_b32 s0, s0, 0x3ff
	s_delay_alu instid0(SALU_CYCLE_1) | instskip(NEXT) | instid1(SALU_CYCLE_1)
	s_bitset1_b32 s0, 10
	s_mov_b32 m0, s0
	s_sendmsg sendmsg(MSG_INTERRUPT)
	s_mov_b32 m0, ttmp2
.LBB7_1239:                             ; =>This Inner Loop Header: Depth=1
	s_sethalt 5
	s_branch .LBB7_1239
.LBB7_1240:
	s_mov_b32 s2, -1
.LBB7_1241:
                                        ; implicit-def: $vgpr8_vgpr9
.LBB7_1242:
	s_and_b32 vcc_lo, exec_lo, s1
	s_cbranch_vccz .LBB7_1245
; %bb.1243:
	v_cmp_eq_u16_e32 vcc_lo, 44, v13
	s_cbranch_vccz .LBB7_1246
; %bb.1244:
	global_load_u8 v5, v[0:1], off
	s_mov_b32 s2, 0
	s_mov_b32 s0, -1
	s_waitcnt vmcnt(0)
	v_lshlrev_b32_e32 v8, 23, v5
	v_cmp_ne_u32_e32 vcc_lo, 0xff, v5
	s_delay_alu instid0(VALU_DEP_2) | instskip(NEXT) | instid1(VALU_DEP_1)
	v_cvt_f64_f32_e32 v[8:9], v8
	v_cndmask_b32_e32 v8, 0x20000000, v8, vcc_lo
	s_delay_alu instid0(VALU_DEP_2) | instskip(SKIP_1) | instid1(VALU_DEP_2)
	v_cndmask_b32_e32 v9, 0x7ff80000, v9, vcc_lo
	v_cmp_ne_u32_e32 vcc_lo, 0, v5
	v_cndmask_b32_e32 v9, 0x38000000, v9, vcc_lo
	s_delay_alu instid0(VALU_DEP_4)
	v_cndmask_b32_e32 v8, 0, v8, vcc_lo
.LBB7_1245:
	s_branch .LBB7_1250
.LBB7_1246:
	s_mov_b32 s2, -1
                                        ; implicit-def: $vgpr8_vgpr9
	s_branch .LBB7_1250
.LBB7_1247:
	v_cmp_eq_u16_e32 vcc_lo, 29, v13
	s_cbranch_vccz .LBB7_1249
; %bb.1248:
	global_load_b64 v[8:9], v[0:1], off
	s_mov_b32 s2, 0
	s_mov_b32 s0, -1
	s_mov_b32 s1, 0
	s_waitcnt vmcnt(0)
	v_cvt_f64_u32_e32 v[9:10], v9
	v_cvt_f64_u32_e32 v[15:16], v8
	s_delay_alu instid0(VALU_DEP_2) | instskip(NEXT) | instid1(VALU_DEP_1)
	v_ldexp_f64 v[9:10], v[9:10], 32
	v_add_f64 v[8:9], v[9:10], v[15:16]
	s_branch .LBB7_1251
.LBB7_1249:
	s_mov_b32 s2, -1
                                        ; implicit-def: $vgpr8_vgpr9
.LBB7_1250:
	s_mov_b32 s1, 0
.LBB7_1251:
	s_delay_alu instid0(SALU_CYCLE_1)
	s_and_b32 vcc_lo, exec_lo, s1
	s_cbranch_vccz .LBB7_1271
; %bb.1252:
	v_cmp_gt_i16_e32 vcc_lo, 27, v13
	s_cbranch_vccnz .LBB7_1255
; %bb.1253:
	v_cmp_lt_i16_e32 vcc_lo, 27, v13
	s_cbranch_vccz .LBB7_1256
; %bb.1254:
	global_load_b32 v5, v[0:1], off
	s_mov_b32 s0, 0
	s_waitcnt vmcnt(0)
	v_cvt_f64_u32_e32 v[8:9], v5
	s_branch .LBB7_1257
.LBB7_1255:
	s_mov_b32 s0, -1
                                        ; implicit-def: $vgpr8_vgpr9
	s_branch .LBB7_1260
.LBB7_1256:
	s_mov_b32 s0, -1
                                        ; implicit-def: $vgpr8_vgpr9
.LBB7_1257:
	s_delay_alu instid0(SALU_CYCLE_1)
	s_and_not1_b32 vcc_lo, exec_lo, s0
	s_cbranch_vccnz .LBB7_1259
; %bb.1258:
	global_load_u16 v5, v[0:1], off
	s_waitcnt vmcnt(0)
	v_cvt_f64_u32_e32 v[8:9], v5
.LBB7_1259:
	s_mov_b32 s0, 0
.LBB7_1260:
	s_delay_alu instid0(SALU_CYCLE_1)
	s_and_not1_b32 vcc_lo, exec_lo, s0
	s_cbranch_vccnz .LBB7_1270
; %bb.1261:
	global_load_u8 v5, v[0:1], off
	s_mov_b32 s10, 0
	s_mov_b32 s11, exec_lo
                                        ; implicit-def: $sgpr0_sgpr1
	s_waitcnt vmcnt(0)
	v_cmpx_lt_i16_e32 0x7f, v5
	s_xor_b32 s11, exec_lo, s11
	s_cbranch_execz .LBB7_1265
; %bb.1262:
	s_mov_b32 s12, -1
	s_mov_b32 s10, exec_lo
                                        ; implicit-def: $sgpr0_sgpr1
	v_cmpx_eq_u16_e32 0x80, v5
; %bb.1263:
	s_mov_b32 s1, 0x7ff80000
	s_brev_b32 s0, 4
	s_xor_b32 s12, exec_lo, -1
; %bb.1264:
	s_or_b32 exec_lo, exec_lo, s10
	s_delay_alu instid0(SALU_CYCLE_1)
	s_and_b32 s10, s12, exec_lo
.LBB7_1265:
	s_or_saveexec_b32 s11, s11
	v_dual_mov_b32 v9, s1 :: v_dual_mov_b32 v8, s0
	s_xor_b32 exec_lo, exec_lo, s11
; %bb.1266:
	v_cmp_ne_u16_e32 vcc_lo, 0, v5
	v_mov_b32_e32 v8, 0
	v_mov_b32_e32 v9, 0
	s_and_not1_b32 s0, s10, exec_lo
	s_and_b32 s1, vcc_lo, exec_lo
	s_delay_alu instid0(SALU_CYCLE_1)
	s_or_b32 s10, s0, s1
; %bb.1267:
	s_or_b32 exec_lo, exec_lo, s11
	s_and_saveexec_b32 s0, s10
	s_cbranch_execz .LBB7_1269
; %bb.1268:
	v_and_b32_e32 v8, 0xffff, v5
	v_lshlrev_b32_e32 v5, 24, v5
	s_delay_alu instid0(VALU_DEP_2) | instskip(NEXT) | instid1(VALU_DEP_2)
	v_and_b32_e32 v9, 7, v8
	v_and_b32_e32 v5, 0x80000000, v5
	s_delay_alu instid0(VALU_DEP_2) | instskip(NEXT) | instid1(VALU_DEP_1)
	v_clz_i32_u32_e32 v10, v9
	v_min_u32_e32 v10, 32, v10
	s_delay_alu instid0(VALU_DEP_1) | instskip(SKIP_1) | instid1(VALU_DEP_2)
	v_subrev_nc_u32_e32 v11, 28, v10
	v_sub_nc_u32_e32 v10, 29, v10
	v_lshlrev_b32_e32 v11, v11, v8
	v_bfe_u32 v8, v8, 3, 4
	s_delay_alu instid0(VALU_DEP_2) | instskip(NEXT) | instid1(VALU_DEP_2)
	v_and_b32_e32 v11, 7, v11
	v_cmp_eq_u32_e32 vcc_lo, 0, v8
	s_delay_alu instid0(VALU_DEP_2) | instskip(NEXT) | instid1(VALU_DEP_1)
	v_dual_cndmask_b32 v8, v8, v10 :: v_dual_cndmask_b32 v9, v9, v11
	v_lshl_add_u32 v8, v8, 23, 0x3b800000
	s_delay_alu instid0(VALU_DEP_2) | instskip(NEXT) | instid1(VALU_DEP_1)
	v_lshlrev_b32_e32 v9, 20, v9
	v_or3_b32 v5, v5, v8, v9
	s_delay_alu instid0(VALU_DEP_1)
	v_cvt_f64_f32_e32 v[8:9], v5
.LBB7_1269:
	s_or_b32 exec_lo, exec_lo, s0
.LBB7_1270:
	s_mov_b32 s0, -1
.LBB7_1271:
	s_branch .LBB7_1301
.LBB7_1272:
	v_cmp_lt_i16_e32 vcc_lo, 22, v13
	s_cbranch_vccz .LBB7_1284
; %bb.1273:
	v_cmp_gt_i16_e32 vcc_lo, 24, v13
	s_cbranch_vccnz .LBB7_1285
; %bb.1274:
	v_cmp_lt_i16_e32 vcc_lo, 24, v13
	s_cbranch_vccz .LBB7_1286
; %bb.1275:
	global_load_u8 v5, v[0:1], off
	s_mov_b32 s10, exec_lo
                                        ; implicit-def: $sgpr0_sgpr1
	s_waitcnt vmcnt(0)
	v_cmpx_lt_i16_e32 0x7f, v5
	s_xor_b32 s10, exec_lo, s10
	s_cbranch_execz .LBB7_1279
; %bb.1276:
	s_mov_b32 s11, -1
	s_mov_b32 s3, exec_lo
                                        ; implicit-def: $sgpr0_sgpr1
	v_cmpx_eq_u16_e32 0x80, v5
; %bb.1277:
	s_mov_b32 s1, 0x7ff80000
	s_brev_b32 s0, 4
	s_xor_b32 s11, exec_lo, -1
; %bb.1278:
	s_or_b32 exec_lo, exec_lo, s3
	s_delay_alu instid0(SALU_CYCLE_1)
	s_and_b32 s3, s11, exec_lo
.LBB7_1279:
	s_or_saveexec_b32 s10, s10
	v_dual_mov_b32 v9, s1 :: v_dual_mov_b32 v8, s0
	s_xor_b32 exec_lo, exec_lo, s10
; %bb.1280:
	v_cmp_ne_u16_e32 vcc_lo, 0, v5
	v_mov_b32_e32 v8, 0
	v_mov_b32_e32 v9, 0
	s_and_not1_b32 s0, s3, exec_lo
	s_and_b32 s1, vcc_lo, exec_lo
	s_delay_alu instid0(SALU_CYCLE_1)
	s_or_b32 s3, s0, s1
; %bb.1281:
	s_or_b32 exec_lo, exec_lo, s10
	s_and_saveexec_b32 s0, s3
	s_cbranch_execz .LBB7_1283
; %bb.1282:
	v_and_b32_e32 v8, 0xffff, v5
	v_lshlrev_b32_e32 v5, 24, v5
	s_delay_alu instid0(VALU_DEP_2) | instskip(NEXT) | instid1(VALU_DEP_2)
	v_and_b32_e32 v9, 3, v8
	v_and_b32_e32 v5, 0x80000000, v5
	s_delay_alu instid0(VALU_DEP_2) | instskip(NEXT) | instid1(VALU_DEP_1)
	v_clz_i32_u32_e32 v10, v9
	v_min_u32_e32 v10, 32, v10
	s_delay_alu instid0(VALU_DEP_1) | instskip(SKIP_1) | instid1(VALU_DEP_2)
	v_subrev_nc_u32_e32 v11, 29, v10
	v_sub_nc_u32_e32 v10, 30, v10
	v_lshlrev_b32_e32 v11, v11, v8
	v_bfe_u32 v8, v8, 2, 5
	s_delay_alu instid0(VALU_DEP_2) | instskip(NEXT) | instid1(VALU_DEP_2)
	v_and_b32_e32 v11, 3, v11
	v_cmp_eq_u32_e32 vcc_lo, 0, v8
	s_delay_alu instid0(VALU_DEP_2) | instskip(NEXT) | instid1(VALU_DEP_1)
	v_dual_cndmask_b32 v8, v8, v10 :: v_dual_cndmask_b32 v9, v9, v11
	v_lshl_add_u32 v8, v8, 23, 0x37800000
	s_delay_alu instid0(VALU_DEP_2) | instskip(NEXT) | instid1(VALU_DEP_1)
	v_lshlrev_b32_e32 v9, 21, v9
	v_or3_b32 v5, v5, v8, v9
	s_delay_alu instid0(VALU_DEP_1)
	v_cvt_f64_f32_e32 v[8:9], v5
.LBB7_1283:
	s_or_b32 exec_lo, exec_lo, s0
	s_mov_b32 s0, 0
	s_branch .LBB7_1287
.LBB7_1284:
                                        ; implicit-def: $vgpr8_vgpr9
	s_mov_b32 s3, 0
	s_branch .LBB7_1293
.LBB7_1285:
	s_mov_b32 s0, -1
                                        ; implicit-def: $vgpr8_vgpr9
	s_branch .LBB7_1290
.LBB7_1286:
	s_mov_b32 s0, -1
                                        ; implicit-def: $vgpr8_vgpr9
.LBB7_1287:
	s_delay_alu instid0(SALU_CYCLE_1)
	s_and_b32 vcc_lo, exec_lo, s0
	s_cbranch_vccz .LBB7_1289
; %bb.1288:
	global_load_u8 v5, v[0:1], off
	s_waitcnt vmcnt(0)
	v_lshlrev_b32_e32 v5, 24, v5
	s_delay_alu instid0(VALU_DEP_1) | instskip(NEXT) | instid1(VALU_DEP_1)
	v_and_b32_e32 v8, 0x7f000000, v5
	v_clz_i32_u32_e32 v9, v8
	v_cmp_ne_u32_e32 vcc_lo, 0, v8
	v_add_nc_u32_e32 v11, 0x1000000, v8
	s_delay_alu instid0(VALU_DEP_3) | instskip(NEXT) | instid1(VALU_DEP_1)
	v_min_u32_e32 v9, 32, v9
	v_sub_nc_u32_e64 v9, v9, 4 clamp
	s_delay_alu instid0(VALU_DEP_1) | instskip(SKIP_1) | instid1(VALU_DEP_2)
	v_lshlrev_b32_e32 v10, v9, v8
	v_lshlrev_b32_e32 v9, 23, v9
	v_lshrrev_b32_e32 v10, 4, v10
	s_delay_alu instid0(VALU_DEP_1) | instskip(SKIP_1) | instid1(VALU_DEP_2)
	v_sub_nc_u32_e32 v9, v10, v9
	v_ashrrev_i32_e32 v10, 8, v11
	v_add_nc_u32_e32 v9, 0x3c000000, v9
	s_delay_alu instid0(VALU_DEP_1) | instskip(NEXT) | instid1(VALU_DEP_1)
	v_and_or_b32 v9, 0x7f800000, v10, v9
	v_cndmask_b32_e32 v8, 0, v9, vcc_lo
	s_delay_alu instid0(VALU_DEP_1) | instskip(NEXT) | instid1(VALU_DEP_1)
	v_and_or_b32 v5, 0x80000000, v5, v8
	v_cvt_f64_f32_e32 v[8:9], v5
.LBB7_1289:
	s_mov_b32 s0, 0
.LBB7_1290:
	s_delay_alu instid0(SALU_CYCLE_1)
	s_and_not1_b32 vcc_lo, exec_lo, s0
	s_cbranch_vccnz .LBB7_1292
; %bb.1291:
	global_load_u8 v5, v[0:1], off
	s_waitcnt vmcnt(0)
	v_lshlrev_b32_e32 v8, 25, v5
	v_lshlrev_b16 v5, 8, v5
	s_delay_alu instid0(VALU_DEP_2) | instskip(NEXT) | instid1(VALU_DEP_2)
	v_lshrrev_b32_e32 v9, 4, v8
	v_and_or_b32 v10, 0x7f00, v5, 0.5
	v_cmp_gt_u32_e32 vcc_lo, 0x8000000, v8
	v_bfe_i32 v5, v5, 0, 16
	s_delay_alu instid0(VALU_DEP_4) | instskip(NEXT) | instid1(VALU_DEP_1)
	v_or_b32_e32 v9, 0x70000000, v9
	v_dual_add_f32 v10, -0.5, v10 :: v_dual_mul_f32 v9, 0x7800000, v9
	s_delay_alu instid0(VALU_DEP_1) | instskip(NEXT) | instid1(VALU_DEP_1)
	v_cndmask_b32_e32 v8, v9, v10, vcc_lo
	v_and_or_b32 v5, 0x80000000, v5, v8
	s_delay_alu instid0(VALU_DEP_1)
	v_cvt_f64_f32_e32 v[8:9], v5
.LBB7_1292:
	s_mov_b32 s0, -1
	s_mov_b32 s3, 0
	s_cbranch_execnz .LBB7_1301
.LBB7_1293:
	v_cmp_lt_i16_e32 vcc_lo, 14, v13
	s_cbranch_vccz .LBB7_1296
; %bb.1294:
	v_cmp_eq_u16_e32 vcc_lo, 15, v13
	s_cbranch_vccz .LBB7_1297
; %bb.1295:
	global_load_u16 v5, v[0:1], off
	s_mov_b32 s2, 0
	s_mov_b32 s0, -1
	s_waitcnt vmcnt(0)
	v_lshlrev_b32_e32 v5, 16, v5
	s_delay_alu instid0(VALU_DEP_1)
	v_cvt_f64_f32_e32 v[8:9], v5
	s_branch .LBB7_1298
.LBB7_1296:
	s_mov_b32 s1, -1
                                        ; implicit-def: $vgpr8_vgpr9
	s_branch .LBB7_1299
.LBB7_1297:
	s_mov_b32 s2, -1
                                        ; implicit-def: $vgpr8_vgpr9
.LBB7_1298:
	s_mov_b32 s1, 0
.LBB7_1299:
	s_delay_alu instid0(SALU_CYCLE_1)
	s_and_b32 vcc_lo, exec_lo, s1
	s_cbranch_vccz .LBB7_1301
; %bb.1300:
	v_cmp_ne_u16_e64 s2, 11, v13
	s_mov_b32 s3, -1
                                        ; implicit-def: $vgpr8_vgpr9
.LBB7_1301:
	s_delay_alu instid0(VALU_DEP_1)
	s_and_b32 vcc_lo, exec_lo, s2
	s_mov_b32 s10, s8
	s_cbranch_vccnz .LBB7_1337
; %bb.1302:
	s_and_not1_b32 vcc_lo, exec_lo, s3
	s_cbranch_vccnz .LBB7_1304
.LBB7_1303:
	global_load_u8 v5, v[0:1], off
	s_waitcnt vmcnt(1)
	v_mov_b32_e32 v8, 0
	s_mov_b32 s0, -1
	s_waitcnt vmcnt(0)
	v_cmp_ne_u16_e32 vcc_lo, 0, v5
	v_cndmask_b32_e64 v9, 0, 0x3ff00000, vcc_lo
.LBB7_1304:
.LBB7_1305:
	s_and_not1_b32 vcc_lo, exec_lo, s0
                                        ; implicit-def: $vgpr10_vgpr11
	s_cbranch_vccnz .LBB7_1763
.LBB7_1306:
	s_waitcnt vmcnt(0)
	s_delay_alu instid0(VALU_DEP_1) | instskip(SKIP_3) | instid1(VALU_DEP_2)
	v_trunc_f64_e32 v[0:1], v[8:9]
	v_cmp_class_f64_e64 vcc_lo, v[8:9], 0x1f8
	s_load_b64 s[0:1], s[16:17], 0x160
	s_mov_b32 s11, exec_lo
	v_ldexp_f64 v[10:11], v[0:1], 0xffffffe0
	s_delay_alu instid0(VALU_DEP_1) | instskip(NEXT) | instid1(VALU_DEP_1)
	v_floor_f64_e32 v[10:11], v[10:11]
	v_fma_f64 v[0:1], 0xc1f00000, v[10:11], v[0:1]
	v_cvt_i32_f64_e32 v5, v[10:11]
	s_delay_alu instid0(VALU_DEP_2) | instskip(NEXT) | instid1(VALU_DEP_1)
	v_cvt_u32_f64_e32 v0, v[0:1]
	v_dual_cndmask_b32 v9, -1, v5 :: v_dual_cndmask_b32 v8, -1, v0
	v_mov_b32_e32 v0, 0
	v_mov_b32_e32 v1, 0
	s_delay_alu instid0(VALU_DEP_3)
	v_cmpx_lt_i64_e32 -1, v[8:9]
	s_cbranch_execz .LBB7_1318
; %bb.1307:
	v_mov_b32_e32 v0, 0
	v_mov_b32_e32 v1, 0x3ff00000
	s_mov_b32 s12, exec_lo
	v_cmpx_lt_i64_e32 0, v[8:9]
	s_cbranch_execz .LBB7_1317
; %bb.1308:
                                        ; implicit-def: $vgpr0_vgpr1
	s_mov_b32 s2, exec_lo
	v_cmpx_ne_u64_e32 1, v[8:9]
	s_xor_b32 s13, exec_lo, s2
	s_cbranch_execz .LBB7_1314
; %bb.1309:
	v_mov_b32_e32 v0, 0
	v_mov_b32_e32 v1, 0x7ff80000
	s_mov_b32 s14, exec_lo
	v_cmpx_gt_u64_e32 0x201, v[8:9]
	s_cbranch_execz .LBB7_1313
; %bb.1310:
	s_waitcnt lgkmcnt(0)
	v_add_f64 v[10:11], s[0:1], s[0:1]
	v_lshlrev_b64 v[8:9], 1, v[8:9]
	v_mov_b32_e32 v15, 0
	v_mov_b32_e32 v16, 0x3ff00000
	s_mov_b64 s[2:3], 2
	s_mov_b32 s15, 0
	s_delay_alu instid0(VALU_DEP_4)
	v_dual_mov_b32 v0, v10 :: v_dual_mov_b32 v1, v11
	.p2align	6
.LBB7_1311:                             ; =>This Inner Loop Header: Depth=1
	v_cvt_f64_u32_e32 v[17:18], s3
	v_cvt_f64_u32_e32 v[19:20], s2
	s_add_u32 s2, s2, 2
	s_addc_u32 s3, s3, 0
	s_delay_alu instid0(SALU_CYCLE_1) | instskip(SKIP_1) | instid1(VALU_DEP_3)
	v_cmp_ge_u64_e32 vcc_lo, s[2:3], v[8:9]
	s_or_b32 s15, vcc_lo, s15
	v_ldexp_f64 v[17:18], v[17:18], 32
	s_delay_alu instid0(VALU_DEP_1) | instskip(NEXT) | instid1(VALU_DEP_1)
	v_add_f64 v[17:18], v[17:18], v[19:20]
	v_mul_f64 v[15:16], v[15:16], v[17:18]
	v_dual_mov_b32 v18, v1 :: v_dual_mov_b32 v17, v0
	s_delay_alu instid0(VALU_DEP_1)
	v_fma_f64 v[0:1], v[10:11], v[17:18], -v[15:16]
	v_dual_mov_b32 v15, v17 :: v_dual_mov_b32 v16, v18
	s_and_not1_b32 exec_lo, exec_lo, s15
	s_cbranch_execnz .LBB7_1311
; %bb.1312:
	s_or_b32 exec_lo, exec_lo, s15
.LBB7_1313:
	s_delay_alu instid0(SALU_CYCLE_1)
	s_or_b32 exec_lo, exec_lo, s14
.LBB7_1314:
	s_and_not1_saveexec_b32 s2, s13
	s_cbranch_execz .LBB7_1316
; %bb.1315:
	s_waitcnt lgkmcnt(0)
	v_add_f64 v[0:1], s[0:1], s[0:1]
.LBB7_1316:
	s_or_b32 exec_lo, exec_lo, s2
.LBB7_1317:
	s_delay_alu instid0(SALU_CYCLE_1)
	s_or_b32 exec_lo, exec_lo, s12
.LBB7_1318:
	s_delay_alu instid0(SALU_CYCLE_1) | instskip(SKIP_2) | instid1(VALU_DEP_1)
	s_or_b32 exec_lo, exec_lo, s11
	v_cmp_gt_i16_e32 vcc_lo, 11, v13
	v_add_co_u32 v4, s2, s6, v4
	v_add_co_ci_u32_e64 v5, null, s7, 0, s2
	s_mov_b32 s2, 0
	s_cbranch_vccnz .LBB7_1325
; %bb.1319:
	v_cmp_lt_i16_e32 vcc_lo, 25, v13
	s_mov_b32 s12, 0
	s_cbranch_vccz .LBB7_1331
; %bb.1320:
	v_cmp_lt_i16_e32 vcc_lo, 28, v13
	s_cbranch_vccz .LBB7_1333
; %bb.1321:
	v_cmp_lt_i16_e32 vcc_lo, 43, v13
	;; [unrolled: 3-line block ×3, first 2 shown]
	s_cbranch_vccz .LBB7_1341
; %bb.1323:
	v_cmp_eq_u16_e32 vcc_lo, 46, v13
	s_mov_b32 s3, 0
	s_cbranch_vccz .LBB7_1385
; %bb.1324:
	global_load_b32 v8, v[4:5], off
	s_mov_b32 s11, 0
	s_mov_b32 s2, -1
	s_waitcnt vmcnt(0)
	v_lshlrev_b32_e32 v8, 16, v8
	s_delay_alu instid0(VALU_DEP_1)
	v_cvt_f64_f32_e32 v[8:9], v8
	s_branch .LBB7_1387
.LBB7_1325:
                                        ; implicit-def: $vgpr8_vgpr9
	s_cbranch_execz .LBB7_1452
; %bb.1326:
	v_cmp_gt_i16_e32 vcc_lo, 5, v13
	s_cbranch_vccnz .LBB7_1332
; %bb.1327:
	v_cmp_gt_i16_e32 vcc_lo, 8, v13
	s_cbranch_vccnz .LBB7_1334
	;; [unrolled: 3-line block ×3, first 2 shown]
; %bb.1329:
	v_cmp_lt_i16_e32 vcc_lo, 9, v13
	s_cbranch_vccz .LBB7_1342
; %bb.1330:
	global_load_b64 v[8:9], v[4:5], off
	s_mov_b32 s2, 0
	s_branch .LBB7_1343
.LBB7_1331:
	s_mov_b32 s11, 0
                                        ; implicit-def: $vgpr8_vgpr9
	s_cbranch_execnz .LBB7_1418
	s_branch .LBB7_1448
.LBB7_1332:
                                        ; implicit-def: $vgpr8_vgpr9
	s_branch .LBB7_1361
.LBB7_1333:
	s_mov_b32 s3, -1
	s_mov_b32 s11, 0
                                        ; implicit-def: $vgpr8_vgpr9
	s_branch .LBB7_1397
.LBB7_1334:
	s_mov_b32 s2, -1
                                        ; implicit-def: $vgpr8_vgpr9
	s_branch .LBB7_1349
.LBB7_1335:
	s_mov_b32 s3, -1
	s_mov_b32 s11, 0
                                        ; implicit-def: $vgpr8_vgpr9
	s_branch .LBB7_1392
.LBB7_1336:
	s_mov_b32 s2, -1
                                        ; implicit-def: $vgpr8_vgpr9
	s_branch .LBB7_1346
.LBB7_1337:
	s_cbranch_execnz .LBB7_1381
; %bb.1338:
	s_or_b32 s10, s8, exec_lo
                                        ; implicit-def: $vgpr8_vgpr9
	s_cbranch_execz .LBB7_1303
	s_branch .LBB7_1304
.LBB7_1339:
	s_or_saveexec_b32 s5, s5
                                        ; implicit-def: $sgpr8
	s_delay_alu instid0(SALU_CYCLE_1)
	s_xor_b32 exec_lo, exec_lo, s5
	s_cbranch_execz .LBB7_1035
.LBB7_1340:
	v_add_f32_e64 v3, 0x46000000, |v2|
	s_and_not1_b32 s4, s4, exec_lo
	s_mov_b32 s8, 0
	s_delay_alu instid0(VALU_DEP_1) | instskip(NEXT) | instid1(VALU_DEP_1)
	v_and_b32_e32 v3, 0xff, v3
	v_cmp_ne_u32_e32 vcc_lo, 0, v3
	s_and_b32 s9, vcc_lo, exec_lo
	s_delay_alu instid0(SALU_CYCLE_1)
	s_or_b32 s4, s4, s9
	s_or_b32 exec_lo, exec_lo, s5
	v_mov_b32_e32 v4, s8
	s_and_saveexec_b32 s5, s4
	s_cbranch_execnz .LBB7_1036
	s_branch .LBB7_1037
.LBB7_1341:
	s_mov_b32 s3, -1
	s_mov_b32 s11, 0
	s_branch .LBB7_1386
.LBB7_1342:
	s_mov_b32 s2, -1
                                        ; implicit-def: $vgpr8_vgpr9
.LBB7_1343:
	s_delay_alu instid0(SALU_CYCLE_1)
	s_and_not1_b32 vcc_lo, exec_lo, s2
	s_cbranch_vccnz .LBB7_1345
; %bb.1344:
	global_load_b32 v8, v[4:5], off
	s_waitcnt vmcnt(0)
	v_cvt_f64_f32_e32 v[8:9], v8
.LBB7_1345:
	s_mov_b32 s2, 0
.LBB7_1346:
	s_delay_alu instid0(SALU_CYCLE_1)
	s_and_not1_b32 vcc_lo, exec_lo, s2
	s_cbranch_vccnz .LBB7_1348
; %bb.1347:
	global_load_b32 v8, v[4:5], off
	s_waitcnt vmcnt(0)
	v_cvt_f32_f16_e32 v8, v8
	s_delay_alu instid0(VALU_DEP_1)
	v_cvt_f64_f32_e32 v[8:9], v8
.LBB7_1348:
	s_mov_b32 s2, 0
.LBB7_1349:
	s_delay_alu instid0(SALU_CYCLE_1)
	s_and_not1_b32 vcc_lo, exec_lo, s2
	s_cbranch_vccnz .LBB7_1360
; %bb.1350:
	v_cmp_gt_i16_e32 vcc_lo, 6, v13
	s_cbranch_vccnz .LBB7_1353
; %bb.1351:
	v_cmp_lt_i16_e32 vcc_lo, 6, v13
	s_cbranch_vccz .LBB7_1354
; %bb.1352:
	global_load_b64 v[8:9], v[4:5], off
	s_mov_b32 s2, 0
	s_branch .LBB7_1355
.LBB7_1353:
	s_mov_b32 s2, -1
                                        ; implicit-def: $vgpr8_vgpr9
	s_branch .LBB7_1358
.LBB7_1354:
	s_mov_b32 s2, -1
                                        ; implicit-def: $vgpr8_vgpr9
.LBB7_1355:
	s_delay_alu instid0(SALU_CYCLE_1)
	s_and_not1_b32 vcc_lo, exec_lo, s2
	s_cbranch_vccnz .LBB7_1357
; %bb.1356:
	global_load_b32 v8, v[4:5], off
	s_waitcnt vmcnt(0)
	v_cvt_f64_f32_e32 v[8:9], v8
.LBB7_1357:
	s_mov_b32 s2, 0
.LBB7_1358:
	s_delay_alu instid0(SALU_CYCLE_1)
	s_and_not1_b32 vcc_lo, exec_lo, s2
	s_cbranch_vccnz .LBB7_1360
; %bb.1359:
	global_load_u16 v8, v[4:5], off
	s_waitcnt vmcnt(0)
	v_cvt_f32_f16_e32 v8, v8
	s_delay_alu instid0(VALU_DEP_1)
	v_cvt_f64_f32_e32 v[8:9], v8
.LBB7_1360:
	s_cbranch_execnz .LBB7_1380
.LBB7_1361:
	v_cmp_gt_i16_e32 vcc_lo, 2, v13
	s_cbranch_vccnz .LBB7_1365
; %bb.1362:
	v_cmp_gt_i16_e32 vcc_lo, 3, v13
	s_cbranch_vccnz .LBB7_1366
; %bb.1363:
	v_cmp_lt_i16_e32 vcc_lo, 3, v13
	s_cbranch_vccz .LBB7_1367
; %bb.1364:
	global_load_b64 v[8:9], v[4:5], off
	s_mov_b32 s2, 0
	s_waitcnt vmcnt(0)
	v_cvt_f64_i32_e32 v[9:10], v9
	v_cvt_f64_u32_e32 v[15:16], v8
	s_delay_alu instid0(VALU_DEP_2) | instskip(NEXT) | instid1(VALU_DEP_1)
	v_ldexp_f64 v[9:10], v[9:10], 32
	v_add_f64 v[8:9], v[9:10], v[15:16]
	s_branch .LBB7_1368
.LBB7_1365:
	s_mov_b32 s2, -1
                                        ; implicit-def: $vgpr8_vgpr9
	s_branch .LBB7_1374
.LBB7_1366:
	s_mov_b32 s2, -1
                                        ; implicit-def: $vgpr8_vgpr9
	s_branch .LBB7_1371
.LBB7_1367:
	s_mov_b32 s2, -1
                                        ; implicit-def: $vgpr8_vgpr9
.LBB7_1368:
	s_delay_alu instid0(SALU_CYCLE_1)
	s_and_not1_b32 vcc_lo, exec_lo, s2
	s_cbranch_vccnz .LBB7_1370
; %bb.1369:
	global_load_b32 v8, v[4:5], off
	s_waitcnt vmcnt(0)
	v_cvt_f64_i32_e32 v[8:9], v8
.LBB7_1370:
	s_mov_b32 s2, 0
.LBB7_1371:
	s_delay_alu instid0(SALU_CYCLE_1)
	s_and_not1_b32 vcc_lo, exec_lo, s2
	s_cbranch_vccnz .LBB7_1373
; %bb.1372:
	global_load_i16 v8, v[4:5], off
	s_waitcnt vmcnt(0)
	v_cvt_f64_i32_e32 v[8:9], v8
.LBB7_1373:
	s_mov_b32 s2, 0
.LBB7_1374:
	s_delay_alu instid0(SALU_CYCLE_1)
	s_and_not1_b32 vcc_lo, exec_lo, s2
	s_cbranch_vccnz .LBB7_1380
; %bb.1375:
	v_cmp_lt_i16_e32 vcc_lo, 0, v13
	s_mov_b32 s2, 0
	s_cbranch_vccz .LBB7_1377
; %bb.1376:
	global_load_i8 v8, v[4:5], off
	s_waitcnt vmcnt(0)
	v_cvt_f64_i32_e32 v[8:9], v8
	s_branch .LBB7_1378
.LBB7_1377:
	s_mov_b32 s2, -1
                                        ; implicit-def: $vgpr8_vgpr9
.LBB7_1378:
	s_delay_alu instid0(SALU_CYCLE_1)
	s_and_not1_b32 vcc_lo, exec_lo, s2
	s_cbranch_vccnz .LBB7_1380
; %bb.1379:
	global_load_u8 v4, v[4:5], off
	s_waitcnt vmcnt(0)
	v_cvt_f64_u32_e32 v[8:9], v4
.LBB7_1380:
	s_branch .LBB7_1453
.LBB7_1381:
	s_trap 2
	s_sendmsg_rtn_b32 s0, sendmsg(MSG_RTN_GET_DOORBELL)
	s_mov_b32 ttmp2, m0
	s_waitcnt lgkmcnt(0)
	s_and_b32 s0, s0, 0x3ff
	s_delay_alu instid0(SALU_CYCLE_1) | instskip(NEXT) | instid1(SALU_CYCLE_1)
	s_bitset1_b32 s0, 10
	s_mov_b32 m0, s0
	s_sendmsg sendmsg(MSG_INTERRUPT)
	s_mov_b32 m0, ttmp2
.LBB7_1382:                             ; =>This Inner Loop Header: Depth=1
	s_sethalt 5
	s_branch .LBB7_1382
.LBB7_1383:
	s_or_saveexec_b32 s8, s8
                                        ; implicit-def: $sgpr9
	s_delay_alu instid0(SALU_CYCLE_1)
	s_xor_b32 exec_lo, exec_lo, s8
	s_cbranch_execz .LBB7_1047
.LBB7_1384:
	v_add_f32_e64 v3, 0x42800000, |v2|
	s_and_not1_b32 s5, s5, exec_lo
	s_mov_b32 s9, 0
	s_delay_alu instid0(VALU_DEP_1) | instskip(NEXT) | instid1(VALU_DEP_1)
	v_and_b32_e32 v3, 0xff, v3
	v_cmp_ne_u32_e32 vcc_lo, 0, v3
	s_and_b32 s10, vcc_lo, exec_lo
	s_delay_alu instid0(SALU_CYCLE_1)
	s_or_b32 s5, s5, s10
	s_or_b32 exec_lo, exec_lo, s8
	v_mov_b32_e32 v4, s9
	s_and_saveexec_b32 s8, s5
	s_cbranch_execnz .LBB7_1048
	s_branch .LBB7_1049
.LBB7_1385:
	s_mov_b32 s11, -1
.LBB7_1386:
                                        ; implicit-def: $vgpr8_vgpr9
.LBB7_1387:
	s_and_b32 vcc_lo, exec_lo, s3
	s_cbranch_vccz .LBB7_1391
; %bb.1388:
	v_cmp_eq_u16_e32 vcc_lo, 44, v13
	s_cbranch_vccz .LBB7_1390
; %bb.1389:
	global_load_u8 v10, v[4:5], off
	s_mov_b32 s11, 0
	s_mov_b32 s2, -1
	s_waitcnt vmcnt(0)
	v_cmp_ne_u32_e32 vcc_lo, 0xff, v10
	v_lshlrev_b32_e32 v8, 23, v10
	s_delay_alu instid0(VALU_DEP_1) | instskip(NEXT) | instid1(VALU_DEP_1)
	v_cvt_f64_f32_e32 v[8:9], v8
	v_cndmask_b32_e32 v9, 0x7ff80000, v9, vcc_lo
	s_delay_alu instid0(VALU_DEP_2) | instskip(SKIP_1) | instid1(VALU_DEP_3)
	v_cndmask_b32_e32 v8, 0x20000000, v8, vcc_lo
	v_cmp_ne_u32_e32 vcc_lo, 0, v10
	v_cndmask_b32_e32 v9, 0x38000000, v9, vcc_lo
	s_delay_alu instid0(VALU_DEP_3)
	v_cndmask_b32_e32 v8, 0, v8, vcc_lo
	s_branch .LBB7_1391
.LBB7_1390:
	s_mov_b32 s11, -1
                                        ; implicit-def: $vgpr8_vgpr9
.LBB7_1391:
	s_mov_b32 s3, 0
.LBB7_1392:
	s_delay_alu instid0(SALU_CYCLE_1)
	s_and_b32 vcc_lo, exec_lo, s3
	s_cbranch_vccz .LBB7_1396
; %bb.1393:
	v_cmp_eq_u16_e32 vcc_lo, 29, v13
	s_cbranch_vccz .LBB7_1395
; %bb.1394:
	global_load_b64 v[8:9], v[4:5], off
	s_mov_b32 s11, 0
	s_mov_b32 s2, -1
	s_mov_b32 s3, 0
	s_waitcnt vmcnt(0)
	v_cvt_f64_u32_e32 v[9:10], v9
	v_cvt_f64_u32_e32 v[15:16], v8
	s_delay_alu instid0(VALU_DEP_2) | instskip(NEXT) | instid1(VALU_DEP_1)
	v_ldexp_f64 v[9:10], v[9:10], 32
	v_add_f64 v[8:9], v[9:10], v[15:16]
	s_branch .LBB7_1397
.LBB7_1395:
	s_mov_b32 s11, -1
                                        ; implicit-def: $vgpr8_vgpr9
.LBB7_1396:
	s_mov_b32 s3, 0
.LBB7_1397:
	s_delay_alu instid0(SALU_CYCLE_1)
	s_and_b32 vcc_lo, exec_lo, s3
	s_cbranch_vccz .LBB7_1417
; %bb.1398:
	v_cmp_gt_i16_e32 vcc_lo, 27, v13
	s_cbranch_vccnz .LBB7_1401
; %bb.1399:
	v_cmp_lt_i16_e32 vcc_lo, 27, v13
	s_cbranch_vccz .LBB7_1402
; %bb.1400:
	global_load_b32 v8, v[4:5], off
	s_mov_b32 s2, 0
	s_waitcnt vmcnt(0)
	v_cvt_f64_u32_e32 v[8:9], v8
	s_branch .LBB7_1403
.LBB7_1401:
	s_mov_b32 s2, -1
                                        ; implicit-def: $vgpr8_vgpr9
	s_branch .LBB7_1406
.LBB7_1402:
	s_mov_b32 s2, -1
                                        ; implicit-def: $vgpr8_vgpr9
.LBB7_1403:
	s_delay_alu instid0(SALU_CYCLE_1)
	s_and_not1_b32 vcc_lo, exec_lo, s2
	s_cbranch_vccnz .LBB7_1405
; %bb.1404:
	global_load_u16 v8, v[4:5], off
	s_waitcnt vmcnt(0)
	v_cvt_f64_u32_e32 v[8:9], v8
.LBB7_1405:
	s_mov_b32 s2, 0
.LBB7_1406:
	s_delay_alu instid0(SALU_CYCLE_1)
	s_and_not1_b32 vcc_lo, exec_lo, s2
	s_cbranch_vccnz .LBB7_1416
; %bb.1407:
	global_load_u8 v10, v[4:5], off
	s_mov_b32 s13, 0
	s_mov_b32 s14, exec_lo
                                        ; implicit-def: $sgpr2_sgpr3
	s_waitcnt vmcnt(0)
	v_cmpx_lt_i16_e32 0x7f, v10
	s_xor_b32 s14, exec_lo, s14
	s_cbranch_execz .LBB7_1411
; %bb.1408:
	s_mov_b32 s15, -1
	s_mov_b32 s13, exec_lo
                                        ; implicit-def: $sgpr2_sgpr3
	v_cmpx_eq_u16_e32 0x80, v10
; %bb.1409:
	s_mov_b32 s3, 0x7ff80000
	s_brev_b32 s2, 4
	s_xor_b32 s15, exec_lo, -1
; %bb.1410:
	s_or_b32 exec_lo, exec_lo, s13
	s_delay_alu instid0(SALU_CYCLE_1)
	s_and_b32 s13, s15, exec_lo
.LBB7_1411:
	s_or_saveexec_b32 s14, s14
	v_dual_mov_b32 v9, s3 :: v_dual_mov_b32 v8, s2
	s_xor_b32 exec_lo, exec_lo, s14
; %bb.1412:
	v_cmp_ne_u16_e32 vcc_lo, 0, v10
	v_mov_b32_e32 v8, 0
	v_mov_b32_e32 v9, 0
	s_and_not1_b32 s2, s13, exec_lo
	s_and_b32 s3, vcc_lo, exec_lo
	s_delay_alu instid0(SALU_CYCLE_1)
	s_or_b32 s13, s2, s3
; %bb.1413:
	s_or_b32 exec_lo, exec_lo, s14
	s_and_saveexec_b32 s2, s13
	s_cbranch_execz .LBB7_1415
; %bb.1414:
	v_and_b32_e32 v8, 0xffff, v10
	v_lshlrev_b32_e32 v10, 24, v10
	s_delay_alu instid0(VALU_DEP_2) | instskip(NEXT) | instid1(VALU_DEP_2)
	v_and_b32_e32 v9, 7, v8
	v_and_b32_e32 v10, 0x80000000, v10
	s_delay_alu instid0(VALU_DEP_2) | instskip(NEXT) | instid1(VALU_DEP_1)
	v_clz_i32_u32_e32 v11, v9
	v_min_u32_e32 v11, 32, v11
	s_delay_alu instid0(VALU_DEP_1) | instskip(SKIP_1) | instid1(VALU_DEP_2)
	v_subrev_nc_u32_e32 v15, 28, v11
	v_sub_nc_u32_e32 v11, 29, v11
	v_lshlrev_b32_e32 v15, v15, v8
	v_bfe_u32 v8, v8, 3, 4
	s_delay_alu instid0(VALU_DEP_2) | instskip(NEXT) | instid1(VALU_DEP_2)
	v_and_b32_e32 v15, 7, v15
	v_cmp_eq_u32_e32 vcc_lo, 0, v8
	v_cndmask_b32_e32 v8, v8, v11, vcc_lo
	s_delay_alu instid0(VALU_DEP_3) | instskip(NEXT) | instid1(VALU_DEP_2)
	v_cndmask_b32_e32 v9, v9, v15, vcc_lo
	v_lshl_add_u32 v8, v8, 23, 0x3b800000
	s_delay_alu instid0(VALU_DEP_2) | instskip(NEXT) | instid1(VALU_DEP_1)
	v_lshlrev_b32_e32 v9, 20, v9
	v_or3_b32 v8, v10, v8, v9
	s_delay_alu instid0(VALU_DEP_1)
	v_cvt_f64_f32_e32 v[8:9], v8
.LBB7_1415:
	s_or_b32 exec_lo, exec_lo, s2
.LBB7_1416:
	s_mov_b32 s2, -1
.LBB7_1417:
	s_branch .LBB7_1448
.LBB7_1418:
	v_cmp_lt_i16_e32 vcc_lo, 22, v13
	s_cbranch_vccz .LBB7_1430
; %bb.1419:
	v_cmp_gt_i16_e32 vcc_lo, 24, v13
	s_cbranch_vccnz .LBB7_1431
; %bb.1420:
	v_cmp_lt_i16_e32 vcc_lo, 24, v13
	s_cbranch_vccz .LBB7_1432
; %bb.1421:
	global_load_u8 v10, v[4:5], off
	s_mov_b32 s13, exec_lo
                                        ; implicit-def: $sgpr2_sgpr3
	s_waitcnt vmcnt(0)
	v_cmpx_lt_i16_e32 0x7f, v10
	s_xor_b32 s13, exec_lo, s13
	s_cbranch_execz .LBB7_1425
; %bb.1422:
	s_mov_b32 s14, -1
	s_mov_b32 s12, exec_lo
                                        ; implicit-def: $sgpr2_sgpr3
	v_cmpx_eq_u16_e32 0x80, v10
; %bb.1423:
	s_mov_b32 s3, 0x7ff80000
	s_brev_b32 s2, 4
	s_xor_b32 s14, exec_lo, -1
; %bb.1424:
	s_or_b32 exec_lo, exec_lo, s12
	s_delay_alu instid0(SALU_CYCLE_1)
	s_and_b32 s12, s14, exec_lo
.LBB7_1425:
	s_or_saveexec_b32 s13, s13
	v_dual_mov_b32 v9, s3 :: v_dual_mov_b32 v8, s2
	s_xor_b32 exec_lo, exec_lo, s13
; %bb.1426:
	v_cmp_ne_u16_e32 vcc_lo, 0, v10
	v_mov_b32_e32 v8, 0
	v_mov_b32_e32 v9, 0
	s_and_not1_b32 s2, s12, exec_lo
	s_and_b32 s3, vcc_lo, exec_lo
	s_delay_alu instid0(SALU_CYCLE_1)
	s_or_b32 s12, s2, s3
; %bb.1427:
	s_or_b32 exec_lo, exec_lo, s13
	s_and_saveexec_b32 s2, s12
	s_cbranch_execz .LBB7_1429
; %bb.1428:
	v_and_b32_e32 v8, 0xffff, v10
	v_lshlrev_b32_e32 v10, 24, v10
	s_delay_alu instid0(VALU_DEP_2) | instskip(NEXT) | instid1(VALU_DEP_2)
	v_and_b32_e32 v9, 3, v8
	v_and_b32_e32 v10, 0x80000000, v10
	s_delay_alu instid0(VALU_DEP_2) | instskip(NEXT) | instid1(VALU_DEP_1)
	v_clz_i32_u32_e32 v11, v9
	v_min_u32_e32 v11, 32, v11
	s_delay_alu instid0(VALU_DEP_1) | instskip(SKIP_1) | instid1(VALU_DEP_2)
	v_subrev_nc_u32_e32 v15, 29, v11
	v_sub_nc_u32_e32 v11, 30, v11
	v_lshlrev_b32_e32 v15, v15, v8
	v_bfe_u32 v8, v8, 2, 5
	s_delay_alu instid0(VALU_DEP_2) | instskip(NEXT) | instid1(VALU_DEP_2)
	v_and_b32_e32 v15, 3, v15
	v_cmp_eq_u32_e32 vcc_lo, 0, v8
	v_cndmask_b32_e32 v8, v8, v11, vcc_lo
	s_delay_alu instid0(VALU_DEP_3) | instskip(NEXT) | instid1(VALU_DEP_2)
	v_cndmask_b32_e32 v9, v9, v15, vcc_lo
	v_lshl_add_u32 v8, v8, 23, 0x37800000
	s_delay_alu instid0(VALU_DEP_2) | instskip(NEXT) | instid1(VALU_DEP_1)
	v_lshlrev_b32_e32 v9, 21, v9
	v_or3_b32 v8, v10, v8, v9
	s_delay_alu instid0(VALU_DEP_1)
	v_cvt_f64_f32_e32 v[8:9], v8
.LBB7_1429:
	s_or_b32 exec_lo, exec_lo, s2
	s_mov_b32 s2, 0
	s_branch .LBB7_1433
.LBB7_1430:
	s_mov_b32 s3, -1
                                        ; implicit-def: $vgpr8_vgpr9
	s_branch .LBB7_1439
.LBB7_1431:
	s_mov_b32 s2, -1
                                        ; implicit-def: $vgpr8_vgpr9
	s_branch .LBB7_1436
.LBB7_1432:
	s_mov_b32 s2, -1
                                        ; implicit-def: $vgpr8_vgpr9
.LBB7_1433:
	s_delay_alu instid0(SALU_CYCLE_1)
	s_and_b32 vcc_lo, exec_lo, s2
	s_cbranch_vccz .LBB7_1435
; %bb.1434:
	global_load_u8 v8, v[4:5], off
	s_waitcnt vmcnt(0)
	v_lshlrev_b32_e32 v8, 24, v8
	s_delay_alu instid0(VALU_DEP_1) | instskip(NEXT) | instid1(VALU_DEP_1)
	v_and_b32_e32 v9, 0x7f000000, v8
	v_clz_i32_u32_e32 v10, v9
	v_add_nc_u32_e32 v15, 0x1000000, v9
	v_cmp_ne_u32_e32 vcc_lo, 0, v9
	s_delay_alu instid0(VALU_DEP_3) | instskip(NEXT) | instid1(VALU_DEP_1)
	v_min_u32_e32 v10, 32, v10
	v_sub_nc_u32_e64 v10, v10, 4 clamp
	s_delay_alu instid0(VALU_DEP_1) | instskip(SKIP_1) | instid1(VALU_DEP_2)
	v_lshlrev_b32_e32 v11, v10, v9
	v_lshlrev_b32_e32 v10, 23, v10
	v_lshrrev_b32_e32 v11, 4, v11
	s_delay_alu instid0(VALU_DEP_1) | instskip(SKIP_1) | instid1(VALU_DEP_2)
	v_sub_nc_u32_e32 v10, v11, v10
	v_ashrrev_i32_e32 v11, 8, v15
	v_add_nc_u32_e32 v10, 0x3c000000, v10
	s_delay_alu instid0(VALU_DEP_1) | instskip(NEXT) | instid1(VALU_DEP_1)
	v_and_or_b32 v10, 0x7f800000, v11, v10
	v_cndmask_b32_e32 v9, 0, v10, vcc_lo
	s_delay_alu instid0(VALU_DEP_1) | instskip(NEXT) | instid1(VALU_DEP_1)
	v_and_or_b32 v8, 0x80000000, v8, v9
	v_cvt_f64_f32_e32 v[8:9], v8
.LBB7_1435:
	s_mov_b32 s2, 0
.LBB7_1436:
	s_delay_alu instid0(SALU_CYCLE_1)
	s_and_not1_b32 vcc_lo, exec_lo, s2
	s_cbranch_vccnz .LBB7_1438
; %bb.1437:
	global_load_u8 v8, v[4:5], off
	s_waitcnt vmcnt(0)
	v_lshlrev_b32_e32 v9, 25, v8
	v_lshlrev_b16 v8, 8, v8
	s_delay_alu instid0(VALU_DEP_2) | instskip(NEXT) | instid1(VALU_DEP_2)
	v_lshrrev_b32_e32 v10, 4, v9
	v_and_or_b32 v11, 0x7f00, v8, 0.5
	v_bfe_i32 v8, v8, 0, 16
	s_delay_alu instid0(VALU_DEP_3) | instskip(NEXT) | instid1(VALU_DEP_1)
	v_or_b32_e32 v10, 0x70000000, v10
	v_dual_add_f32 v11, -0.5, v11 :: v_dual_mul_f32 v10, 0x7800000, v10
	v_cmp_gt_u32_e32 vcc_lo, 0x8000000, v9
	s_delay_alu instid0(VALU_DEP_2) | instskip(NEXT) | instid1(VALU_DEP_1)
	v_cndmask_b32_e32 v9, v10, v11, vcc_lo
	v_and_or_b32 v8, 0x80000000, v8, v9
	s_delay_alu instid0(VALU_DEP_1)
	v_cvt_f64_f32_e32 v[8:9], v8
.LBB7_1438:
	s_mov_b32 s3, 0
	s_mov_b32 s2, -1
.LBB7_1439:
	s_and_not1_b32 vcc_lo, exec_lo, s3
	s_mov_b32 s12, 0
	s_cbranch_vccnz .LBB7_1448
; %bb.1440:
	v_cmp_lt_i16_e32 vcc_lo, 14, v13
	s_cbranch_vccz .LBB7_1443
; %bb.1441:
	v_cmp_eq_u16_e32 vcc_lo, 15, v13
	s_cbranch_vccz .LBB7_1444
; %bb.1442:
	global_load_u16 v8, v[4:5], off
	s_mov_b32 s11, 0
	s_mov_b32 s2, -1
	s_waitcnt vmcnt(0)
	v_lshlrev_b32_e32 v8, 16, v8
	s_delay_alu instid0(VALU_DEP_1)
	v_cvt_f64_f32_e32 v[8:9], v8
	s_branch .LBB7_1445
.LBB7_1443:
	s_mov_b32 s3, -1
                                        ; implicit-def: $vgpr8_vgpr9
	s_branch .LBB7_1446
.LBB7_1444:
	s_mov_b32 s11, -1
                                        ; implicit-def: $vgpr8_vgpr9
.LBB7_1445:
	s_mov_b32 s3, 0
.LBB7_1446:
	s_delay_alu instid0(SALU_CYCLE_1)
	s_and_b32 vcc_lo, exec_lo, s3
	s_cbranch_vccz .LBB7_1448
; %bb.1447:
	v_cmp_ne_u16_e64 s11, 11, v13
	s_mov_b32 s12, -1
                                        ; implicit-def: $vgpr8_vgpr9
.LBB7_1448:
	s_delay_alu instid0(VALU_DEP_1)
	s_and_b32 vcc_lo, exec_lo, s11
	s_cbranch_vccnz .LBB7_1484
; %bb.1449:
	s_and_not1_b32 vcc_lo, exec_lo, s12
	s_cbranch_vccnz .LBB7_1451
.LBB7_1450:
	global_load_u8 v8, v[4:5], off
	s_mov_b32 s2, -1
	s_waitcnt vmcnt(0)
	v_cmp_ne_u16_e32 vcc_lo, 0, v8
	v_mov_b32_e32 v8, 0
	v_cndmask_b32_e64 v9, 0, 0x3ff00000, vcc_lo
.LBB7_1451:
.LBB7_1452:
	s_and_not1_b32 vcc_lo, exec_lo, s2
	s_cbranch_vccnz .LBB7_1763
.LBB7_1453:
	s_waitcnt vmcnt(0)
	s_delay_alu instid0(VALU_DEP_1) | instskip(SKIP_2) | instid1(VALU_DEP_2)
	v_trunc_f64_e32 v[4:5], v[8:9]
	v_cmp_class_f64_e64 vcc_lo, v[8:9], 0x1f8
	s_mov_b32 s11, exec_lo
	v_ldexp_f64 v[10:11], v[4:5], 0xffffffe0
	s_delay_alu instid0(VALU_DEP_1) | instskip(NEXT) | instid1(VALU_DEP_1)
	v_floor_f64_e32 v[10:11], v[10:11]
	v_fma_f64 v[4:5], 0xc1f00000, v[10:11], v[4:5]
	v_cvt_i32_f64_e32 v10, v[10:11]
	s_delay_alu instid0(VALU_DEP_2) | instskip(NEXT) | instid1(VALU_DEP_1)
	v_cvt_u32_f64_e32 v4, v[4:5]
	v_dual_cndmask_b32 v9, -1, v10 :: v_dual_cndmask_b32 v8, -1, v4
	v_mov_b32_e32 v4, 0
	v_mov_b32_e32 v5, 0
	s_delay_alu instid0(VALU_DEP_3)
	v_cmpx_lt_i64_e32 -1, v[8:9]
	s_cbranch_execz .LBB7_1465
; %bb.1454:
	v_mov_b32_e32 v4, 0
	v_mov_b32_e32 v5, 0x3ff00000
	s_mov_b32 s12, exec_lo
	v_cmpx_lt_i64_e32 0, v[8:9]
	s_cbranch_execz .LBB7_1464
; %bb.1455:
                                        ; implicit-def: $vgpr4_vgpr5
	s_mov_b32 s2, exec_lo
	v_cmpx_ne_u64_e32 1, v[8:9]
	s_xor_b32 s13, exec_lo, s2
	s_cbranch_execz .LBB7_1461
; %bb.1456:
	v_mov_b32_e32 v4, 0
	v_mov_b32_e32 v5, 0x7ff80000
	s_mov_b32 s14, exec_lo
	v_cmpx_gt_u64_e32 0x201, v[8:9]
	s_cbranch_execz .LBB7_1460
; %bb.1457:
	s_waitcnt lgkmcnt(0)
	v_add_f64 v[10:11], s[0:1], s[0:1]
	v_lshlrev_b64 v[8:9], 1, v[8:9]
	v_mov_b32_e32 v15, 0
	v_mov_b32_e32 v16, 0x3ff00000
	s_mov_b64 s[2:3], 2
	s_mov_b32 s15, 0
	s_delay_alu instid0(VALU_DEP_4)
	v_dual_mov_b32 v4, v10 :: v_dual_mov_b32 v5, v11
	.p2align	6
.LBB7_1458:                             ; =>This Inner Loop Header: Depth=1
	v_cvt_f64_u32_e32 v[17:18], s3
	v_cvt_f64_u32_e32 v[19:20], s2
	s_add_u32 s2, s2, 2
	s_addc_u32 s3, s3, 0
	s_delay_alu instid0(SALU_CYCLE_1) | instskip(SKIP_1) | instid1(VALU_DEP_3)
	v_cmp_ge_u64_e32 vcc_lo, s[2:3], v[8:9]
	s_or_b32 s15, vcc_lo, s15
	v_ldexp_f64 v[17:18], v[17:18], 32
	s_delay_alu instid0(VALU_DEP_1) | instskip(NEXT) | instid1(VALU_DEP_1)
	v_add_f64 v[17:18], v[17:18], v[19:20]
	v_mul_f64 v[15:16], v[15:16], v[17:18]
	v_dual_mov_b32 v18, v5 :: v_dual_mov_b32 v17, v4
	s_delay_alu instid0(VALU_DEP_1)
	v_fma_f64 v[4:5], v[10:11], v[17:18], -v[15:16]
	v_dual_mov_b32 v15, v17 :: v_dual_mov_b32 v16, v18
	s_and_not1_b32 exec_lo, exec_lo, s15
	s_cbranch_execnz .LBB7_1458
; %bb.1459:
	s_or_b32 exec_lo, exec_lo, s15
.LBB7_1460:
	s_delay_alu instid0(SALU_CYCLE_1)
	s_or_b32 exec_lo, exec_lo, s14
.LBB7_1461:
	s_and_not1_saveexec_b32 s2, s13
	s_cbranch_execz .LBB7_1463
; %bb.1462:
	s_waitcnt lgkmcnt(0)
	v_add_f64 v[4:5], s[0:1], s[0:1]
.LBB7_1463:
	s_or_b32 exec_lo, exec_lo, s2
.LBB7_1464:
	s_delay_alu instid0(SALU_CYCLE_1)
	s_or_b32 exec_lo, exec_lo, s12
.LBB7_1465:
	s_delay_alu instid0(SALU_CYCLE_1) | instskip(SKIP_2) | instid1(VALU_DEP_1)
	s_or_b32 exec_lo, exec_lo, s11
	v_cmp_gt_i16_e32 vcc_lo, 11, v13
	v_add_co_u32 v7, s2, s6, v7
	v_add_co_ci_u32_e64 v8, null, s7, 0, s2
	s_mov_b32 s2, 0
	s_cbranch_vccnz .LBB7_1472
; %bb.1466:
	v_cmp_lt_i16_e32 vcc_lo, 25, v13
	s_mov_b32 s12, 0
	s_cbranch_vccz .LBB7_1478
; %bb.1467:
	v_cmp_lt_i16_e32 vcc_lo, 28, v13
	s_cbranch_vccz .LBB7_1480
; %bb.1468:
	v_cmp_lt_i16_e32 vcc_lo, 43, v13
	;; [unrolled: 3-line block ×3, first 2 shown]
	s_cbranch_vccz .LBB7_1486
; %bb.1470:
	v_cmp_eq_u16_e32 vcc_lo, 46, v13
	s_mov_b32 s3, 0
	s_cbranch_vccz .LBB7_1529
; %bb.1471:
	global_load_b32 v9, v[7:8], off
	s_mov_b32 s11, 0
	s_mov_b32 s2, -1
	s_waitcnt vmcnt(0)
	v_lshlrev_b32_e32 v9, 16, v9
	s_delay_alu instid0(VALU_DEP_1)
	v_cvt_f64_f32_e32 v[9:10], v9
	s_branch .LBB7_1531
.LBB7_1472:
                                        ; implicit-def: $vgpr9_vgpr10
	s_cbranch_execz .LBB7_1597
; %bb.1473:
	v_cmp_gt_i16_e32 vcc_lo, 5, v13
	s_cbranch_vccnz .LBB7_1479
; %bb.1474:
	v_cmp_gt_i16_e32 vcc_lo, 8, v13
	s_cbranch_vccnz .LBB7_1481
	;; [unrolled: 3-line block ×3, first 2 shown]
; %bb.1476:
	v_cmp_lt_i16_e32 vcc_lo, 9, v13
	s_cbranch_vccz .LBB7_1487
; %bb.1477:
	global_load_b64 v[9:10], v[7:8], off
	s_mov_b32 s2, 0
	s_branch .LBB7_1488
.LBB7_1478:
	s_mov_b32 s3, -1
	s_mov_b32 s11, 0
                                        ; implicit-def: $vgpr9_vgpr10
	s_branch .LBB7_1562
.LBB7_1479:
	s_mov_b32 s2, -1
                                        ; implicit-def: $vgpr9_vgpr10
	s_branch .LBB7_1506
.LBB7_1480:
	s_mov_b32 s3, -1
	s_mov_b32 s11, 0
                                        ; implicit-def: $vgpr9_vgpr10
	s_branch .LBB7_1541
.LBB7_1481:
	s_mov_b32 s2, -1
                                        ; implicit-def: $vgpr9_vgpr10
	s_branch .LBB7_1494
.LBB7_1482:
	s_mov_b32 s3, -1
	s_mov_b32 s11, 0
                                        ; implicit-def: $vgpr9_vgpr10
	s_branch .LBB7_1536
.LBB7_1483:
	s_mov_b32 s2, -1
                                        ; implicit-def: $vgpr9_vgpr10
	s_branch .LBB7_1491
.LBB7_1484:
	s_cbranch_execnz .LBB7_1527
; %bb.1485:
	s_or_b32 s10, s10, exec_lo
                                        ; implicit-def: $vgpr8_vgpr9
	s_cbranch_execz .LBB7_1450
	s_branch .LBB7_1451
.LBB7_1486:
	s_mov_b32 s3, -1
	s_mov_b32 s11, 0
	s_branch .LBB7_1530
.LBB7_1487:
	s_mov_b32 s2, -1
                                        ; implicit-def: $vgpr9_vgpr10
.LBB7_1488:
	s_delay_alu instid0(SALU_CYCLE_1)
	s_and_not1_b32 vcc_lo, exec_lo, s2
	s_cbranch_vccnz .LBB7_1490
; %bb.1489:
	global_load_b32 v9, v[7:8], off
	s_waitcnt vmcnt(0)
	v_cvt_f64_f32_e32 v[9:10], v9
.LBB7_1490:
	s_mov_b32 s2, 0
.LBB7_1491:
	s_delay_alu instid0(SALU_CYCLE_1)
	s_and_not1_b32 vcc_lo, exec_lo, s2
	s_cbranch_vccnz .LBB7_1493
; %bb.1492:
	global_load_b32 v9, v[7:8], off
	s_waitcnt vmcnt(0)
	v_cvt_f32_f16_e32 v9, v9
	s_delay_alu instid0(VALU_DEP_1)
	v_cvt_f64_f32_e32 v[9:10], v9
.LBB7_1493:
	s_mov_b32 s2, 0
.LBB7_1494:
	s_delay_alu instid0(SALU_CYCLE_1)
	s_and_not1_b32 vcc_lo, exec_lo, s2
	s_cbranch_vccnz .LBB7_1505
; %bb.1495:
	v_cmp_gt_i16_e32 vcc_lo, 6, v13
	s_cbranch_vccnz .LBB7_1498
; %bb.1496:
	v_cmp_lt_i16_e32 vcc_lo, 6, v13
	s_cbranch_vccz .LBB7_1499
; %bb.1497:
	global_load_b64 v[9:10], v[7:8], off
	s_mov_b32 s2, 0
	s_branch .LBB7_1500
.LBB7_1498:
	s_mov_b32 s2, -1
                                        ; implicit-def: $vgpr9_vgpr10
	s_branch .LBB7_1503
.LBB7_1499:
	s_mov_b32 s2, -1
                                        ; implicit-def: $vgpr9_vgpr10
.LBB7_1500:
	s_delay_alu instid0(SALU_CYCLE_1)
	s_and_not1_b32 vcc_lo, exec_lo, s2
	s_cbranch_vccnz .LBB7_1502
; %bb.1501:
	global_load_b32 v9, v[7:8], off
	s_waitcnt vmcnt(0)
	v_cvt_f64_f32_e32 v[9:10], v9
.LBB7_1502:
	s_mov_b32 s2, 0
.LBB7_1503:
	s_delay_alu instid0(SALU_CYCLE_1)
	s_and_not1_b32 vcc_lo, exec_lo, s2
	s_cbranch_vccnz .LBB7_1505
; %bb.1504:
	global_load_u16 v9, v[7:8], off
	s_waitcnt vmcnt(0)
	v_cvt_f32_f16_e32 v9, v9
	s_delay_alu instid0(VALU_DEP_1)
	v_cvt_f64_f32_e32 v[9:10], v9
.LBB7_1505:
	s_mov_b32 s2, 0
.LBB7_1506:
	s_delay_alu instid0(SALU_CYCLE_1)
	s_and_not1_b32 vcc_lo, exec_lo, s2
	s_cbranch_vccnz .LBB7_1526
; %bb.1507:
	v_cmp_gt_i16_e32 vcc_lo, 2, v13
	s_cbranch_vccnz .LBB7_1511
; %bb.1508:
	v_cmp_gt_i16_e32 vcc_lo, 3, v13
	s_cbranch_vccnz .LBB7_1512
; %bb.1509:
	v_cmp_lt_i16_e32 vcc_lo, 3, v13
	s_cbranch_vccz .LBB7_1513
; %bb.1510:
	global_load_b64 v[9:10], v[7:8], off
	s_mov_b32 s2, 0
	s_waitcnt vmcnt(0)
	v_cvt_f64_i32_e32 v[10:11], v10
	v_cvt_f64_u32_e32 v[15:16], v9
	s_delay_alu instid0(VALU_DEP_2) | instskip(NEXT) | instid1(VALU_DEP_1)
	v_ldexp_f64 v[10:11], v[10:11], 32
	v_add_f64 v[9:10], v[10:11], v[15:16]
	s_branch .LBB7_1514
.LBB7_1511:
	s_mov_b32 s2, -1
                                        ; implicit-def: $vgpr9_vgpr10
	s_branch .LBB7_1520
.LBB7_1512:
	s_mov_b32 s2, -1
                                        ; implicit-def: $vgpr9_vgpr10
	s_branch .LBB7_1517
.LBB7_1513:
	s_mov_b32 s2, -1
                                        ; implicit-def: $vgpr9_vgpr10
.LBB7_1514:
	s_delay_alu instid0(SALU_CYCLE_1)
	s_and_not1_b32 vcc_lo, exec_lo, s2
	s_cbranch_vccnz .LBB7_1516
; %bb.1515:
	global_load_b32 v9, v[7:8], off
	s_waitcnt vmcnt(0)
	v_cvt_f64_i32_e32 v[9:10], v9
.LBB7_1516:
	s_mov_b32 s2, 0
.LBB7_1517:
	s_delay_alu instid0(SALU_CYCLE_1)
	s_and_not1_b32 vcc_lo, exec_lo, s2
	s_cbranch_vccnz .LBB7_1519
; %bb.1518:
	global_load_i16 v9, v[7:8], off
	s_waitcnt vmcnt(0)
	v_cvt_f64_i32_e32 v[9:10], v9
.LBB7_1519:
	s_mov_b32 s2, 0
.LBB7_1520:
	s_delay_alu instid0(SALU_CYCLE_1)
	s_and_not1_b32 vcc_lo, exec_lo, s2
	s_cbranch_vccnz .LBB7_1526
; %bb.1521:
	v_cmp_lt_i16_e32 vcc_lo, 0, v13
	s_mov_b32 s2, 0
	s_cbranch_vccz .LBB7_1523
; %bb.1522:
	global_load_i8 v9, v[7:8], off
	s_waitcnt vmcnt(0)
	v_cvt_f64_i32_e32 v[9:10], v9
	s_branch .LBB7_1524
.LBB7_1523:
	s_mov_b32 s2, -1
                                        ; implicit-def: $vgpr9_vgpr10
.LBB7_1524:
	s_delay_alu instid0(SALU_CYCLE_1)
	s_and_not1_b32 vcc_lo, exec_lo, s2
	s_cbranch_vccnz .LBB7_1526
; %bb.1525:
	global_load_u8 v7, v[7:8], off
	s_waitcnt vmcnt(0)
	v_cvt_f64_u32_e32 v[9:10], v7
.LBB7_1526:
	s_branch .LBB7_1598
.LBB7_1527:
	s_trap 2
	s_waitcnt lgkmcnt(0)
	s_sendmsg_rtn_b32 s0, sendmsg(MSG_RTN_GET_DOORBELL)
	s_mov_b32 ttmp2, m0
	s_waitcnt lgkmcnt(0)
	s_and_b32 s0, s0, 0x3ff
	s_delay_alu instid0(SALU_CYCLE_1) | instskip(NEXT) | instid1(SALU_CYCLE_1)
	s_bitset1_b32 s0, 10
	s_mov_b32 m0, s0
	s_sendmsg sendmsg(MSG_INTERRUPT)
	s_mov_b32 m0, ttmp2
.LBB7_1528:                             ; =>This Inner Loop Header: Depth=1
	s_sethalt 5
	s_branch .LBB7_1528
.LBB7_1529:
	s_mov_b32 s11, -1
.LBB7_1530:
                                        ; implicit-def: $vgpr9_vgpr10
.LBB7_1531:
	s_and_b32 vcc_lo, exec_lo, s3
	s_cbranch_vccz .LBB7_1535
; %bb.1532:
	v_cmp_eq_u16_e32 vcc_lo, 44, v13
	s_cbranch_vccz .LBB7_1534
; %bb.1533:
	global_load_u8 v11, v[7:8], off
	s_mov_b32 s11, 0
	s_mov_b32 s2, -1
	s_waitcnt vmcnt(0)
	v_cmp_ne_u32_e32 vcc_lo, 0xff, v11
	v_lshlrev_b32_e32 v9, 23, v11
	s_delay_alu instid0(VALU_DEP_1) | instskip(NEXT) | instid1(VALU_DEP_1)
	v_cvt_f64_f32_e32 v[9:10], v9
	v_cndmask_b32_e32 v10, 0x7ff80000, v10, vcc_lo
	s_delay_alu instid0(VALU_DEP_2) | instskip(SKIP_1) | instid1(VALU_DEP_3)
	v_cndmask_b32_e32 v9, 0x20000000, v9, vcc_lo
	v_cmp_ne_u32_e32 vcc_lo, 0, v11
	v_cndmask_b32_e32 v10, 0x38000000, v10, vcc_lo
	s_delay_alu instid0(VALU_DEP_3)
	v_cndmask_b32_e32 v9, 0, v9, vcc_lo
	s_branch .LBB7_1535
.LBB7_1534:
	s_mov_b32 s11, -1
                                        ; implicit-def: $vgpr9_vgpr10
.LBB7_1535:
	s_mov_b32 s3, 0
.LBB7_1536:
	s_delay_alu instid0(SALU_CYCLE_1)
	s_and_b32 vcc_lo, exec_lo, s3
	s_cbranch_vccz .LBB7_1540
; %bb.1537:
	v_cmp_eq_u16_e32 vcc_lo, 29, v13
	s_cbranch_vccz .LBB7_1539
; %bb.1538:
	global_load_b64 v[9:10], v[7:8], off
	s_mov_b32 s11, 0
	s_mov_b32 s2, -1
	s_mov_b32 s3, 0
	s_waitcnt vmcnt(0)
	v_cvt_f64_u32_e32 v[10:11], v10
	v_cvt_f64_u32_e32 v[15:16], v9
	s_delay_alu instid0(VALU_DEP_2) | instskip(NEXT) | instid1(VALU_DEP_1)
	v_ldexp_f64 v[10:11], v[10:11], 32
	v_add_f64 v[9:10], v[10:11], v[15:16]
	s_branch .LBB7_1541
.LBB7_1539:
	s_mov_b32 s11, -1
                                        ; implicit-def: $vgpr9_vgpr10
.LBB7_1540:
	s_mov_b32 s3, 0
.LBB7_1541:
	s_delay_alu instid0(SALU_CYCLE_1)
	s_and_b32 vcc_lo, exec_lo, s3
	s_cbranch_vccz .LBB7_1561
; %bb.1542:
	v_cmp_gt_i16_e32 vcc_lo, 27, v13
	s_cbranch_vccnz .LBB7_1545
; %bb.1543:
	v_cmp_lt_i16_e32 vcc_lo, 27, v13
	s_cbranch_vccz .LBB7_1546
; %bb.1544:
	global_load_b32 v9, v[7:8], off
	s_mov_b32 s2, 0
	s_waitcnt vmcnt(0)
	v_cvt_f64_u32_e32 v[9:10], v9
	s_branch .LBB7_1547
.LBB7_1545:
	s_mov_b32 s2, -1
                                        ; implicit-def: $vgpr9_vgpr10
	s_branch .LBB7_1550
.LBB7_1546:
	s_mov_b32 s2, -1
                                        ; implicit-def: $vgpr9_vgpr10
.LBB7_1547:
	s_delay_alu instid0(SALU_CYCLE_1)
	s_and_not1_b32 vcc_lo, exec_lo, s2
	s_cbranch_vccnz .LBB7_1549
; %bb.1548:
	global_load_u16 v9, v[7:8], off
	s_waitcnt vmcnt(0)
	v_cvt_f64_u32_e32 v[9:10], v9
.LBB7_1549:
	s_mov_b32 s2, 0
.LBB7_1550:
	s_delay_alu instid0(SALU_CYCLE_1)
	s_and_not1_b32 vcc_lo, exec_lo, s2
	s_cbranch_vccnz .LBB7_1560
; %bb.1551:
	global_load_u8 v11, v[7:8], off
	s_mov_b32 s13, 0
	s_mov_b32 s14, exec_lo
                                        ; implicit-def: $sgpr2_sgpr3
	s_waitcnt vmcnt(0)
	v_cmpx_lt_i16_e32 0x7f, v11
	s_xor_b32 s14, exec_lo, s14
	s_cbranch_execz .LBB7_1555
; %bb.1552:
	s_mov_b32 s15, -1
	s_mov_b32 s13, exec_lo
                                        ; implicit-def: $sgpr2_sgpr3
	v_cmpx_eq_u16_e32 0x80, v11
; %bb.1553:
	s_mov_b32 s3, 0x7ff80000
	s_brev_b32 s2, 4
	s_xor_b32 s15, exec_lo, -1
; %bb.1554:
	s_or_b32 exec_lo, exec_lo, s13
	s_delay_alu instid0(SALU_CYCLE_1)
	s_and_b32 s13, s15, exec_lo
.LBB7_1555:
	s_or_saveexec_b32 s14, s14
	v_dual_mov_b32 v10, s3 :: v_dual_mov_b32 v9, s2
	s_xor_b32 exec_lo, exec_lo, s14
; %bb.1556:
	v_cmp_ne_u16_e32 vcc_lo, 0, v11
	v_mov_b32_e32 v9, 0
	v_mov_b32_e32 v10, 0
	s_and_not1_b32 s2, s13, exec_lo
	s_and_b32 s3, vcc_lo, exec_lo
	s_delay_alu instid0(SALU_CYCLE_1)
	s_or_b32 s13, s2, s3
; %bb.1557:
	s_or_b32 exec_lo, exec_lo, s14
	s_and_saveexec_b32 s2, s13
	s_cbranch_execz .LBB7_1559
; %bb.1558:
	v_and_b32_e32 v9, 0xffff, v11
	v_lshlrev_b32_e32 v11, 24, v11
	s_delay_alu instid0(VALU_DEP_2) | instskip(NEXT) | instid1(VALU_DEP_2)
	v_and_b32_e32 v10, 7, v9
	v_and_b32_e32 v11, 0x80000000, v11
	s_delay_alu instid0(VALU_DEP_2) | instskip(NEXT) | instid1(VALU_DEP_1)
	v_clz_i32_u32_e32 v15, v10
	v_min_u32_e32 v15, 32, v15
	s_delay_alu instid0(VALU_DEP_1) | instskip(SKIP_1) | instid1(VALU_DEP_2)
	v_subrev_nc_u32_e32 v16, 28, v15
	v_sub_nc_u32_e32 v15, 29, v15
	v_lshlrev_b32_e32 v16, v16, v9
	v_bfe_u32 v9, v9, 3, 4
	s_delay_alu instid0(VALU_DEP_2) | instskip(NEXT) | instid1(VALU_DEP_2)
	v_and_b32_e32 v16, 7, v16
	v_cmp_eq_u32_e32 vcc_lo, 0, v9
	s_delay_alu instid0(VALU_DEP_2) | instskip(NEXT) | instid1(VALU_DEP_1)
	v_dual_cndmask_b32 v9, v9, v15 :: v_dual_cndmask_b32 v10, v10, v16
	v_lshl_add_u32 v9, v9, 23, 0x3b800000
	s_delay_alu instid0(VALU_DEP_2) | instskip(NEXT) | instid1(VALU_DEP_1)
	v_lshlrev_b32_e32 v10, 20, v10
	v_or3_b32 v9, v11, v9, v10
	s_delay_alu instid0(VALU_DEP_1)
	v_cvt_f64_f32_e32 v[9:10], v9
.LBB7_1559:
	s_or_b32 exec_lo, exec_lo, s2
.LBB7_1560:
	s_mov_b32 s2, -1
.LBB7_1561:
	s_mov_b32 s3, 0
.LBB7_1562:
	s_delay_alu instid0(SALU_CYCLE_1)
	s_and_b32 vcc_lo, exec_lo, s3
	s_cbranch_vccz .LBB7_1593
; %bb.1563:
	v_cmp_lt_i16_e32 vcc_lo, 22, v13
	s_cbranch_vccz .LBB7_1575
; %bb.1564:
	v_cmp_gt_i16_e32 vcc_lo, 24, v13
	s_cbranch_vccnz .LBB7_1576
; %bb.1565:
	v_cmp_lt_i16_e32 vcc_lo, 24, v13
	s_cbranch_vccz .LBB7_1577
; %bb.1566:
	global_load_u8 v11, v[7:8], off
	s_mov_b32 s13, exec_lo
                                        ; implicit-def: $sgpr2_sgpr3
	s_waitcnt vmcnt(0)
	v_cmpx_lt_i16_e32 0x7f, v11
	s_xor_b32 s13, exec_lo, s13
	s_cbranch_execz .LBB7_1570
; %bb.1567:
	s_mov_b32 s14, -1
	s_mov_b32 s12, exec_lo
                                        ; implicit-def: $sgpr2_sgpr3
	v_cmpx_eq_u16_e32 0x80, v11
; %bb.1568:
	s_mov_b32 s3, 0x7ff80000
	s_brev_b32 s2, 4
	s_xor_b32 s14, exec_lo, -1
; %bb.1569:
	s_or_b32 exec_lo, exec_lo, s12
	s_delay_alu instid0(SALU_CYCLE_1)
	s_and_b32 s12, s14, exec_lo
.LBB7_1570:
	s_or_saveexec_b32 s13, s13
	v_dual_mov_b32 v10, s3 :: v_dual_mov_b32 v9, s2
	s_xor_b32 exec_lo, exec_lo, s13
; %bb.1571:
	v_cmp_ne_u16_e32 vcc_lo, 0, v11
	v_mov_b32_e32 v9, 0
	v_mov_b32_e32 v10, 0
	s_and_not1_b32 s2, s12, exec_lo
	s_and_b32 s3, vcc_lo, exec_lo
	s_delay_alu instid0(SALU_CYCLE_1)
	s_or_b32 s12, s2, s3
; %bb.1572:
	s_or_b32 exec_lo, exec_lo, s13
	s_and_saveexec_b32 s2, s12
	s_cbranch_execz .LBB7_1574
; %bb.1573:
	v_and_b32_e32 v9, 0xffff, v11
	v_lshlrev_b32_e32 v11, 24, v11
	s_delay_alu instid0(VALU_DEP_2) | instskip(NEXT) | instid1(VALU_DEP_2)
	v_and_b32_e32 v10, 3, v9
	v_and_b32_e32 v11, 0x80000000, v11
	s_delay_alu instid0(VALU_DEP_2) | instskip(NEXT) | instid1(VALU_DEP_1)
	v_clz_i32_u32_e32 v15, v10
	v_min_u32_e32 v15, 32, v15
	s_delay_alu instid0(VALU_DEP_1) | instskip(SKIP_1) | instid1(VALU_DEP_2)
	v_subrev_nc_u32_e32 v16, 29, v15
	v_sub_nc_u32_e32 v15, 30, v15
	v_lshlrev_b32_e32 v16, v16, v9
	v_bfe_u32 v9, v9, 2, 5
	s_delay_alu instid0(VALU_DEP_2) | instskip(NEXT) | instid1(VALU_DEP_2)
	v_and_b32_e32 v16, 3, v16
	v_cmp_eq_u32_e32 vcc_lo, 0, v9
	s_delay_alu instid0(VALU_DEP_2) | instskip(NEXT) | instid1(VALU_DEP_1)
	v_dual_cndmask_b32 v9, v9, v15 :: v_dual_cndmask_b32 v10, v10, v16
	v_lshl_add_u32 v9, v9, 23, 0x37800000
	s_delay_alu instid0(VALU_DEP_2) | instskip(NEXT) | instid1(VALU_DEP_1)
	v_lshlrev_b32_e32 v10, 21, v10
	v_or3_b32 v9, v11, v9, v10
	s_delay_alu instid0(VALU_DEP_1)
	v_cvt_f64_f32_e32 v[9:10], v9
.LBB7_1574:
	s_or_b32 exec_lo, exec_lo, s2
	s_mov_b32 s2, 0
	s_branch .LBB7_1578
.LBB7_1575:
	s_mov_b32 s3, -1
                                        ; implicit-def: $vgpr9_vgpr10
	s_branch .LBB7_1584
.LBB7_1576:
	s_mov_b32 s2, -1
                                        ; implicit-def: $vgpr9_vgpr10
	s_branch .LBB7_1581
.LBB7_1577:
	s_mov_b32 s2, -1
                                        ; implicit-def: $vgpr9_vgpr10
.LBB7_1578:
	s_delay_alu instid0(SALU_CYCLE_1)
	s_and_b32 vcc_lo, exec_lo, s2
	s_cbranch_vccz .LBB7_1580
; %bb.1579:
	global_load_u8 v9, v[7:8], off
	s_waitcnt vmcnt(0)
	v_lshlrev_b32_e32 v9, 24, v9
	s_delay_alu instid0(VALU_DEP_1) | instskip(NEXT) | instid1(VALU_DEP_1)
	v_and_b32_e32 v10, 0x7f000000, v9
	v_clz_i32_u32_e32 v11, v10
	v_add_nc_u32_e32 v16, 0x1000000, v10
	v_cmp_ne_u32_e32 vcc_lo, 0, v10
	s_delay_alu instid0(VALU_DEP_3) | instskip(NEXT) | instid1(VALU_DEP_1)
	v_min_u32_e32 v11, 32, v11
	v_sub_nc_u32_e64 v11, v11, 4 clamp
	s_delay_alu instid0(VALU_DEP_1) | instskip(SKIP_1) | instid1(VALU_DEP_2)
	v_lshlrev_b32_e32 v15, v11, v10
	v_lshlrev_b32_e32 v11, 23, v11
	v_lshrrev_b32_e32 v15, 4, v15
	s_delay_alu instid0(VALU_DEP_1) | instskip(SKIP_1) | instid1(VALU_DEP_2)
	v_sub_nc_u32_e32 v11, v15, v11
	v_ashrrev_i32_e32 v15, 8, v16
	v_add_nc_u32_e32 v11, 0x3c000000, v11
	s_delay_alu instid0(VALU_DEP_1) | instskip(NEXT) | instid1(VALU_DEP_1)
	v_and_or_b32 v11, 0x7f800000, v15, v11
	v_cndmask_b32_e32 v10, 0, v11, vcc_lo
	s_delay_alu instid0(VALU_DEP_1) | instskip(NEXT) | instid1(VALU_DEP_1)
	v_and_or_b32 v9, 0x80000000, v9, v10
	v_cvt_f64_f32_e32 v[9:10], v9
.LBB7_1580:
	s_mov_b32 s2, 0
.LBB7_1581:
	s_delay_alu instid0(SALU_CYCLE_1)
	s_and_not1_b32 vcc_lo, exec_lo, s2
	s_cbranch_vccnz .LBB7_1583
; %bb.1582:
	global_load_u8 v9, v[7:8], off
	s_waitcnt vmcnt(0)
	v_lshlrev_b32_e32 v10, 25, v9
	v_lshlrev_b16 v9, 8, v9
	s_delay_alu instid0(VALU_DEP_1) | instskip(SKIP_1) | instid1(VALU_DEP_2)
	v_and_or_b32 v15, 0x7f00, v9, 0.5
	v_bfe_i32 v9, v9, 0, 16
	v_add_f32_e32 v15, -0.5, v15
	v_lshrrev_b32_e32 v11, 4, v10
	v_cmp_gt_u32_e32 vcc_lo, 0x8000000, v10
	s_delay_alu instid0(VALU_DEP_2) | instskip(NEXT) | instid1(VALU_DEP_1)
	v_or_b32_e32 v11, 0x70000000, v11
	v_mul_f32_e32 v11, 0x7800000, v11
	s_delay_alu instid0(VALU_DEP_1) | instskip(NEXT) | instid1(VALU_DEP_1)
	v_cndmask_b32_e32 v10, v11, v15, vcc_lo
	v_and_or_b32 v9, 0x80000000, v9, v10
	s_delay_alu instid0(VALU_DEP_1)
	v_cvt_f64_f32_e32 v[9:10], v9
.LBB7_1583:
	s_mov_b32 s3, 0
	s_mov_b32 s2, -1
.LBB7_1584:
	s_and_not1_b32 vcc_lo, exec_lo, s3
	s_mov_b32 s12, 0
	s_cbranch_vccnz .LBB7_1593
; %bb.1585:
	v_cmp_lt_i16_e32 vcc_lo, 14, v13
	s_cbranch_vccz .LBB7_1588
; %bb.1586:
	v_cmp_eq_u16_e32 vcc_lo, 15, v13
	s_cbranch_vccz .LBB7_1589
; %bb.1587:
	global_load_u16 v9, v[7:8], off
	s_mov_b32 s11, 0
	s_mov_b32 s2, -1
	s_waitcnt vmcnt(0)
	v_lshlrev_b32_e32 v9, 16, v9
	s_delay_alu instid0(VALU_DEP_1)
	v_cvt_f64_f32_e32 v[9:10], v9
	s_branch .LBB7_1590
.LBB7_1588:
	s_mov_b32 s3, -1
                                        ; implicit-def: $vgpr9_vgpr10
	s_branch .LBB7_1591
.LBB7_1589:
	s_mov_b32 s11, -1
                                        ; implicit-def: $vgpr9_vgpr10
.LBB7_1590:
	s_mov_b32 s3, 0
.LBB7_1591:
	s_delay_alu instid0(SALU_CYCLE_1)
	s_and_b32 vcc_lo, exec_lo, s3
	s_cbranch_vccz .LBB7_1593
; %bb.1592:
	v_cmp_ne_u16_e64 s11, 11, v13
	s_mov_b32 s12, -1
                                        ; implicit-def: $vgpr9_vgpr10
.LBB7_1593:
	s_delay_alu instid0(VALU_DEP_1)
	s_and_b32 vcc_lo, exec_lo, s11
	s_cbranch_vccnz .LBB7_1621
; %bb.1594:
	s_and_not1_b32 vcc_lo, exec_lo, s12
	s_cbranch_vccnz .LBB7_1596
.LBB7_1595:
	global_load_u8 v9, v[7:8], off
	s_mov_b32 s2, -1
	s_waitcnt vmcnt(0)
	v_cmp_ne_u16_e32 vcc_lo, 0, v9
	v_mov_b32_e32 v9, 0
	v_cndmask_b32_e64 v10, 0, 0x3ff00000, vcc_lo
.LBB7_1596:
.LBB7_1597:
	s_and_not1_b32 vcc_lo, exec_lo, s2
	s_cbranch_vccnz .LBB7_1763
.LBB7_1598:
	s_waitcnt vmcnt(0)
	s_delay_alu instid0(VALU_DEP_1) | instskip(SKIP_2) | instid1(VALU_DEP_2)
	v_trunc_f64_e32 v[7:8], v[9:10]
	v_cmp_class_f64_e64 vcc_lo, v[9:10], 0x1f8
	s_mov_b32 s11, exec_lo
	v_ldexp_f64 v[15:16], v[7:8], 0xffffffe0
	s_delay_alu instid0(VALU_DEP_1) | instskip(NEXT) | instid1(VALU_DEP_1)
	v_floor_f64_e32 v[15:16], v[15:16]
	v_fma_f64 v[7:8], 0xc1f00000, v[15:16], v[7:8]
	v_cvt_i32_f64_e32 v11, v[15:16]
	s_delay_alu instid0(VALU_DEP_2) | instskip(NEXT) | instid1(VALU_DEP_2)
	v_cvt_u32_f64_e32 v7, v[7:8]
	v_cndmask_b32_e32 v8, -1, v11, vcc_lo
	v_mov_b32_e32 v10, 0
	v_mov_b32_e32 v11, 0
	s_delay_alu instid0(VALU_DEP_4) | instskip(NEXT) | instid1(VALU_DEP_1)
	v_cndmask_b32_e32 v7, -1, v7, vcc_lo
	v_cmpx_lt_i64_e32 -1, v[7:8]
	s_cbranch_execz .LBB7_1610
; %bb.1599:
	v_mov_b32_e32 v10, 0
	v_mov_b32_e32 v11, 0x3ff00000
	s_mov_b32 s12, exec_lo
	v_cmpx_lt_i64_e32 0, v[7:8]
	s_cbranch_execz .LBB7_1609
; %bb.1600:
                                        ; implicit-def: $vgpr10_vgpr11
	s_mov_b32 s2, exec_lo
	v_cmpx_ne_u64_e32 1, v[7:8]
	s_xor_b32 s13, exec_lo, s2
	s_cbranch_execz .LBB7_1606
; %bb.1601:
	v_mov_b32_e32 v10, 0
	v_mov_b32_e32 v11, 0x7ff80000
	s_mov_b32 s14, exec_lo
	v_cmpx_gt_u64_e32 0x201, v[7:8]
	s_cbranch_execz .LBB7_1605
; %bb.1602:
	s_waitcnt lgkmcnt(0)
	v_add_f64 v[15:16], s[0:1], s[0:1]
	v_lshlrev_b64 v[7:8], 1, v[7:8]
	v_mov_b32_e32 v17, 0
	v_mov_b32_e32 v18, 0x3ff00000
	s_mov_b64 s[2:3], 2
	s_mov_b32 s15, 0
	s_delay_alu instid0(VALU_DEP_4)
	v_dual_mov_b32 v10, v15 :: v_dual_mov_b32 v11, v16
.LBB7_1603:                             ; =>This Inner Loop Header: Depth=1
	v_cvt_f64_u32_e32 v[19:20], s3
	v_cvt_f64_u32_e32 v[21:22], s2
	s_add_u32 s2, s2, 2
	s_addc_u32 s3, s3, 0
	s_delay_alu instid0(SALU_CYCLE_1) | instskip(SKIP_1) | instid1(VALU_DEP_3)
	v_cmp_ge_u64_e32 vcc_lo, s[2:3], v[7:8]
	s_or_b32 s15, vcc_lo, s15
	v_ldexp_f64 v[19:20], v[19:20], 32
	s_delay_alu instid0(VALU_DEP_1) | instskip(NEXT) | instid1(VALU_DEP_1)
	v_add_f64 v[19:20], v[19:20], v[21:22]
	v_mul_f64 v[17:18], v[17:18], v[19:20]
	v_dual_mov_b32 v20, v11 :: v_dual_mov_b32 v19, v10
	s_delay_alu instid0(VALU_DEP_1)
	v_fma_f64 v[10:11], v[15:16], v[19:20], -v[17:18]
	v_dual_mov_b32 v17, v19 :: v_dual_mov_b32 v18, v20
	s_and_not1_b32 exec_lo, exec_lo, s15
	s_cbranch_execnz .LBB7_1603
; %bb.1604:
	s_or_b32 exec_lo, exec_lo, s15
.LBB7_1605:
	s_delay_alu instid0(SALU_CYCLE_1)
	s_or_b32 exec_lo, exec_lo, s14
.LBB7_1606:
	s_and_not1_saveexec_b32 s2, s13
	s_cbranch_execz .LBB7_1608
; %bb.1607:
	s_waitcnt lgkmcnt(0)
	v_add_f64 v[10:11], s[0:1], s[0:1]
.LBB7_1608:
	s_or_b32 exec_lo, exec_lo, s2
.LBB7_1609:
	s_delay_alu instid0(SALU_CYCLE_1)
	s_or_b32 exec_lo, exec_lo, s12
.LBB7_1610:
	s_delay_alu instid0(SALU_CYCLE_1) | instskip(SKIP_2) | instid1(VALU_DEP_1)
	s_or_b32 exec_lo, exec_lo, s11
	v_cmp_gt_i16_e32 vcc_lo, 11, v13
	v_add_co_u32 v7, s2, s6, v3
	v_add_co_ci_u32_e64 v8, null, s7, 0, s2
	s_mov_b32 s2, 0
	s_cbranch_vccnz .LBB7_1617
; %bb.1611:
	v_cmp_lt_i16_e32 vcc_lo, 25, v13
	s_mov_b32 s7, 0
	s_cbranch_vccz .LBB7_1618
; %bb.1612:
	v_cmp_lt_i16_e32 vcc_lo, 28, v13
	s_cbranch_vccz .LBB7_1619
; %bb.1613:
	v_cmp_lt_i16_e32 vcc_lo, 43, v13
	;; [unrolled: 3-line block ×3, first 2 shown]
	s_cbranch_vccz .LBB7_1623
; %bb.1615:
	v_cmp_eq_u16_e32 vcc_lo, 46, v13
	s_mov_b32 s3, 0
	s_cbranch_vccz .LBB7_1626
; %bb.1616:
	global_load_b32 v3, v[7:8], off
	s_mov_b32 s6, 0
	s_mov_b32 s2, -1
	s_waitcnt vmcnt(0)
	v_lshlrev_b32_e32 v3, 16, v3
	s_delay_alu instid0(VALU_DEP_1)
	v_cvt_f64_f32_e32 v[15:16], v3
	s_branch .LBB7_1628
.LBB7_1617:
	s_mov_b32 s3, -1
                                        ; implicit-def: $vgpr15_vgpr16
	s_branch .LBB7_1694
.LBB7_1618:
	s_mov_b32 s3, -1
	s_mov_b32 s6, 0
                                        ; implicit-def: $vgpr15_vgpr16
	s_branch .LBB7_1659
.LBB7_1619:
	s_mov_b32 s3, -1
	s_mov_b32 s6, 0
                                        ; implicit-def: $vgpr15_vgpr16
	s_branch .LBB7_1638
.LBB7_1620:
	s_mov_b32 s3, -1
	s_mov_b32 s6, 0
                                        ; implicit-def: $vgpr15_vgpr16
	s_branch .LBB7_1633
.LBB7_1621:
	s_cbranch_execnz .LBB7_1624
; %bb.1622:
	s_or_b32 s10, s10, exec_lo
                                        ; implicit-def: $vgpr9_vgpr10
	s_cbranch_execz .LBB7_1595
	s_branch .LBB7_1596
.LBB7_1623:
	s_mov_b32 s3, -1
	s_mov_b32 s6, 0
	s_branch .LBB7_1627
.LBB7_1624:
	s_trap 2
	s_waitcnt lgkmcnt(0)
	s_sendmsg_rtn_b32 s0, sendmsg(MSG_RTN_GET_DOORBELL)
	s_mov_b32 ttmp2, m0
	s_waitcnt lgkmcnt(0)
	s_and_b32 s0, s0, 0x3ff
	s_delay_alu instid0(SALU_CYCLE_1) | instskip(NEXT) | instid1(SALU_CYCLE_1)
	s_bitset1_b32 s0, 10
	s_mov_b32 m0, s0
	s_sendmsg sendmsg(MSG_INTERRUPT)
	s_mov_b32 m0, ttmp2
.LBB7_1625:                             ; =>This Inner Loop Header: Depth=1
	s_sethalt 5
	s_branch .LBB7_1625
.LBB7_1626:
	s_mov_b32 s6, -1
.LBB7_1627:
                                        ; implicit-def: $vgpr15_vgpr16
.LBB7_1628:
	s_and_b32 vcc_lo, exec_lo, s3
	s_cbranch_vccz .LBB7_1632
; %bb.1629:
	v_cmp_eq_u16_e32 vcc_lo, 44, v13
	s_cbranch_vccz .LBB7_1631
; %bb.1630:
	global_load_u8 v3, v[7:8], off
	s_mov_b32 s6, 0
	s_mov_b32 s2, -1
	s_waitcnt vmcnt(0)
	v_lshlrev_b32_e32 v9, 23, v3
	v_cmp_ne_u32_e32 vcc_lo, 0xff, v3
	s_delay_alu instid0(VALU_DEP_2) | instskip(NEXT) | instid1(VALU_DEP_1)
	v_cvt_f64_f32_e32 v[15:16], v9
	v_cndmask_b32_e32 v9, 0x20000000, v15, vcc_lo
	s_delay_alu instid0(VALU_DEP_2) | instskip(SKIP_1) | instid1(VALU_DEP_2)
	v_cndmask_b32_e32 v15, 0x7ff80000, v16, vcc_lo
	v_cmp_ne_u32_e32 vcc_lo, 0, v3
	v_cndmask_b32_e32 v16, 0x38000000, v15, vcc_lo
	s_delay_alu instid0(VALU_DEP_4)
	v_cndmask_b32_e32 v15, 0, v9, vcc_lo
	s_branch .LBB7_1632
.LBB7_1631:
	s_mov_b32 s6, -1
                                        ; implicit-def: $vgpr15_vgpr16
.LBB7_1632:
	s_mov_b32 s3, 0
.LBB7_1633:
	s_delay_alu instid0(SALU_CYCLE_1)
	s_and_b32 vcc_lo, exec_lo, s3
	s_cbranch_vccz .LBB7_1637
; %bb.1634:
	v_cmp_eq_u16_e32 vcc_lo, 29, v13
	s_cbranch_vccz .LBB7_1636
; %bb.1635:
	global_load_b64 v[15:16], v[7:8], off
	s_mov_b32 s6, 0
	s_mov_b32 s2, -1
	s_mov_b32 s3, 0
	s_waitcnt vmcnt(0)
	v_cvt_f64_u32_e32 v[16:17], v16
	v_cvt_f64_u32_e32 v[18:19], v15
	s_delay_alu instid0(VALU_DEP_2) | instskip(NEXT) | instid1(VALU_DEP_1)
	v_ldexp_f64 v[16:17], v[16:17], 32
	v_add_f64 v[15:16], v[16:17], v[18:19]
	s_branch .LBB7_1638
.LBB7_1636:
	s_mov_b32 s6, -1
                                        ; implicit-def: $vgpr15_vgpr16
.LBB7_1637:
	s_mov_b32 s3, 0
.LBB7_1638:
	s_delay_alu instid0(SALU_CYCLE_1)
	s_and_b32 vcc_lo, exec_lo, s3
	s_cbranch_vccz .LBB7_1658
; %bb.1639:
	v_cmp_gt_i16_e32 vcc_lo, 27, v13
	s_cbranch_vccnz .LBB7_1642
; %bb.1640:
	v_cmp_lt_i16_e32 vcc_lo, 27, v13
	s_cbranch_vccz .LBB7_1643
; %bb.1641:
	global_load_b32 v3, v[7:8], off
	s_mov_b32 s2, 0
	s_waitcnt vmcnt(0)
	v_cvt_f64_u32_e32 v[15:16], v3
	s_branch .LBB7_1644
.LBB7_1642:
	s_mov_b32 s2, -1
                                        ; implicit-def: $vgpr15_vgpr16
	s_branch .LBB7_1647
.LBB7_1643:
	s_mov_b32 s2, -1
                                        ; implicit-def: $vgpr15_vgpr16
.LBB7_1644:
	s_delay_alu instid0(SALU_CYCLE_1)
	s_and_not1_b32 vcc_lo, exec_lo, s2
	s_cbranch_vccnz .LBB7_1646
; %bb.1645:
	global_load_u16 v3, v[7:8], off
	s_waitcnt vmcnt(0)
	v_cvt_f64_u32_e32 v[15:16], v3
.LBB7_1646:
	s_mov_b32 s2, 0
.LBB7_1647:
	s_delay_alu instid0(SALU_CYCLE_1)
	s_and_not1_b32 vcc_lo, exec_lo, s2
	s_cbranch_vccnz .LBB7_1657
; %bb.1648:
	global_load_u8 v3, v[7:8], off
	s_mov_b32 s11, 0
	s_mov_b32 s12, exec_lo
                                        ; implicit-def: $sgpr2_sgpr3
	s_waitcnt vmcnt(0)
	v_cmpx_lt_i16_e32 0x7f, v3
	s_xor_b32 s12, exec_lo, s12
	s_cbranch_execz .LBB7_1652
; %bb.1649:
	s_mov_b32 s13, -1
	s_mov_b32 s11, exec_lo
                                        ; implicit-def: $sgpr2_sgpr3
	v_cmpx_eq_u16_e32 0x80, v3
; %bb.1650:
	s_mov_b32 s3, 0x7ff80000
	s_brev_b32 s2, 4
	s_xor_b32 s13, exec_lo, -1
; %bb.1651:
	s_or_b32 exec_lo, exec_lo, s11
	s_delay_alu instid0(SALU_CYCLE_1)
	s_and_b32 s11, s13, exec_lo
.LBB7_1652:
	s_or_saveexec_b32 s12, s12
	v_dual_mov_b32 v16, s3 :: v_dual_mov_b32 v15, s2
	s_xor_b32 exec_lo, exec_lo, s12
; %bb.1653:
	v_cmp_ne_u16_e32 vcc_lo, 0, v3
	v_mov_b32_e32 v15, 0
	v_mov_b32_e32 v16, 0
	s_and_not1_b32 s2, s11, exec_lo
	s_and_b32 s3, vcc_lo, exec_lo
	s_delay_alu instid0(SALU_CYCLE_1)
	s_or_b32 s11, s2, s3
; %bb.1654:
	s_or_b32 exec_lo, exec_lo, s12
	s_and_saveexec_b32 s2, s11
	s_cbranch_execz .LBB7_1656
; %bb.1655:
	v_and_b32_e32 v9, 0xffff, v3
	v_lshlrev_b32_e32 v3, 24, v3
	s_delay_alu instid0(VALU_DEP_2) | instskip(NEXT) | instid1(VALU_DEP_2)
	v_and_b32_e32 v15, 7, v9
	v_and_b32_e32 v3, 0x80000000, v3
	s_delay_alu instid0(VALU_DEP_2) | instskip(NEXT) | instid1(VALU_DEP_1)
	v_clz_i32_u32_e32 v16, v15
	v_min_u32_e32 v16, 32, v16
	s_delay_alu instid0(VALU_DEP_1) | instskip(SKIP_1) | instid1(VALU_DEP_2)
	v_subrev_nc_u32_e32 v17, 28, v16
	v_sub_nc_u32_e32 v16, 29, v16
	v_lshlrev_b32_e32 v17, v17, v9
	v_bfe_u32 v9, v9, 3, 4
	s_delay_alu instid0(VALU_DEP_2) | instskip(NEXT) | instid1(VALU_DEP_2)
	v_and_b32_e32 v17, 7, v17
	v_cmp_eq_u32_e32 vcc_lo, 0, v9
	v_cndmask_b32_e32 v9, v9, v16, vcc_lo
	s_delay_alu instid0(VALU_DEP_3) | instskip(NEXT) | instid1(VALU_DEP_2)
	v_cndmask_b32_e32 v15, v15, v17, vcc_lo
	v_lshl_add_u32 v9, v9, 23, 0x3b800000
	s_delay_alu instid0(VALU_DEP_2) | instskip(NEXT) | instid1(VALU_DEP_1)
	v_lshlrev_b32_e32 v15, 20, v15
	v_or3_b32 v3, v3, v9, v15
	s_delay_alu instid0(VALU_DEP_1)
	v_cvt_f64_f32_e32 v[15:16], v3
.LBB7_1656:
	s_or_b32 exec_lo, exec_lo, s2
.LBB7_1657:
	s_mov_b32 s2, -1
.LBB7_1658:
	s_mov_b32 s3, 0
.LBB7_1659:
	s_delay_alu instid0(SALU_CYCLE_1)
	s_and_b32 vcc_lo, exec_lo, s3
	s_cbranch_vccz .LBB7_1690
; %bb.1660:
	v_cmp_lt_i16_e32 vcc_lo, 22, v13
	s_cbranch_vccz .LBB7_1672
; %bb.1661:
	v_cmp_gt_i16_e32 vcc_lo, 24, v13
	s_cbranch_vccnz .LBB7_1673
; %bb.1662:
	v_cmp_lt_i16_e32 vcc_lo, 24, v13
	s_cbranch_vccz .LBB7_1674
; %bb.1663:
	global_load_u8 v3, v[7:8], off
	s_mov_b32 s11, exec_lo
                                        ; implicit-def: $sgpr2_sgpr3
	s_waitcnt vmcnt(0)
	v_cmpx_lt_i16_e32 0x7f, v3
	s_xor_b32 s11, exec_lo, s11
	s_cbranch_execz .LBB7_1667
; %bb.1664:
	s_mov_b32 s12, -1
	s_mov_b32 s7, exec_lo
                                        ; implicit-def: $sgpr2_sgpr3
	v_cmpx_eq_u16_e32 0x80, v3
; %bb.1665:
	s_mov_b32 s3, 0x7ff80000
	s_brev_b32 s2, 4
	s_xor_b32 s12, exec_lo, -1
; %bb.1666:
	s_or_b32 exec_lo, exec_lo, s7
	s_delay_alu instid0(SALU_CYCLE_1)
	s_and_b32 s7, s12, exec_lo
.LBB7_1667:
	s_or_saveexec_b32 s11, s11
	v_dual_mov_b32 v16, s3 :: v_dual_mov_b32 v15, s2
	s_xor_b32 exec_lo, exec_lo, s11
; %bb.1668:
	v_cmp_ne_u16_e32 vcc_lo, 0, v3
	v_mov_b32_e32 v15, 0
	v_mov_b32_e32 v16, 0
	s_and_not1_b32 s2, s7, exec_lo
	s_and_b32 s3, vcc_lo, exec_lo
	s_delay_alu instid0(SALU_CYCLE_1)
	s_or_b32 s7, s2, s3
; %bb.1669:
	s_or_b32 exec_lo, exec_lo, s11
	s_and_saveexec_b32 s2, s7
	s_cbranch_execz .LBB7_1671
; %bb.1670:
	v_and_b32_e32 v9, 0xffff, v3
	v_lshlrev_b32_e32 v3, 24, v3
	s_delay_alu instid0(VALU_DEP_2) | instskip(NEXT) | instid1(VALU_DEP_2)
	v_and_b32_e32 v15, 3, v9
	v_and_b32_e32 v3, 0x80000000, v3
	s_delay_alu instid0(VALU_DEP_2) | instskip(NEXT) | instid1(VALU_DEP_1)
	v_clz_i32_u32_e32 v16, v15
	v_min_u32_e32 v16, 32, v16
	s_delay_alu instid0(VALU_DEP_1) | instskip(SKIP_1) | instid1(VALU_DEP_2)
	v_subrev_nc_u32_e32 v17, 29, v16
	v_sub_nc_u32_e32 v16, 30, v16
	v_lshlrev_b32_e32 v17, v17, v9
	v_bfe_u32 v9, v9, 2, 5
	s_delay_alu instid0(VALU_DEP_2) | instskip(NEXT) | instid1(VALU_DEP_2)
	v_and_b32_e32 v17, 3, v17
	v_cmp_eq_u32_e32 vcc_lo, 0, v9
	v_cndmask_b32_e32 v9, v9, v16, vcc_lo
	s_delay_alu instid0(VALU_DEP_3) | instskip(NEXT) | instid1(VALU_DEP_2)
	v_cndmask_b32_e32 v15, v15, v17, vcc_lo
	v_lshl_add_u32 v9, v9, 23, 0x37800000
	s_delay_alu instid0(VALU_DEP_2) | instskip(NEXT) | instid1(VALU_DEP_1)
	v_lshlrev_b32_e32 v15, 21, v15
	v_or3_b32 v3, v3, v9, v15
	s_delay_alu instid0(VALU_DEP_1)
	v_cvt_f64_f32_e32 v[15:16], v3
.LBB7_1671:
	s_or_b32 exec_lo, exec_lo, s2
	s_mov_b32 s2, 0
	s_branch .LBB7_1675
.LBB7_1672:
	s_mov_b32 s3, -1
                                        ; implicit-def: $vgpr15_vgpr16
	s_branch .LBB7_1681
.LBB7_1673:
	s_mov_b32 s2, -1
                                        ; implicit-def: $vgpr15_vgpr16
	s_branch .LBB7_1678
.LBB7_1674:
	s_mov_b32 s2, -1
                                        ; implicit-def: $vgpr15_vgpr16
.LBB7_1675:
	s_delay_alu instid0(SALU_CYCLE_1)
	s_and_b32 vcc_lo, exec_lo, s2
	s_cbranch_vccz .LBB7_1677
; %bb.1676:
	global_load_u8 v3, v[7:8], off
	s_waitcnt vmcnt(0)
	v_lshlrev_b32_e32 v3, 24, v3
	s_delay_alu instid0(VALU_DEP_1) | instskip(NEXT) | instid1(VALU_DEP_1)
	v_and_b32_e32 v9, 0x7f000000, v3
	v_clz_i32_u32_e32 v15, v9
	v_cmp_ne_u32_e32 vcc_lo, 0, v9
	v_add_nc_u32_e32 v17, 0x1000000, v9
	s_delay_alu instid0(VALU_DEP_3) | instskip(NEXT) | instid1(VALU_DEP_1)
	v_min_u32_e32 v15, 32, v15
	v_sub_nc_u32_e64 v15, v15, 4 clamp
	s_delay_alu instid0(VALU_DEP_1) | instskip(SKIP_1) | instid1(VALU_DEP_2)
	v_lshlrev_b32_e32 v16, v15, v9
	v_lshlrev_b32_e32 v15, 23, v15
	v_lshrrev_b32_e32 v16, 4, v16
	s_delay_alu instid0(VALU_DEP_1) | instskip(SKIP_1) | instid1(VALU_DEP_2)
	v_sub_nc_u32_e32 v15, v16, v15
	v_ashrrev_i32_e32 v16, 8, v17
	v_add_nc_u32_e32 v15, 0x3c000000, v15
	s_delay_alu instid0(VALU_DEP_1) | instskip(NEXT) | instid1(VALU_DEP_1)
	v_and_or_b32 v15, 0x7f800000, v16, v15
	v_cndmask_b32_e32 v9, 0, v15, vcc_lo
	s_delay_alu instid0(VALU_DEP_1) | instskip(NEXT) | instid1(VALU_DEP_1)
	v_and_or_b32 v3, 0x80000000, v3, v9
	v_cvt_f64_f32_e32 v[15:16], v3
.LBB7_1677:
	s_mov_b32 s2, 0
.LBB7_1678:
	s_delay_alu instid0(SALU_CYCLE_1)
	s_and_not1_b32 vcc_lo, exec_lo, s2
	s_cbranch_vccnz .LBB7_1680
; %bb.1679:
	global_load_u8 v3, v[7:8], off
	s_waitcnt vmcnt(0)
	v_lshlrev_b32_e32 v9, 25, v3
	v_lshlrev_b16 v3, 8, v3
	s_delay_alu instid0(VALU_DEP_1) | instskip(SKIP_1) | instid1(VALU_DEP_2)
	v_and_or_b32 v16, 0x7f00, v3, 0.5
	v_bfe_i32 v3, v3, 0, 16
	v_add_f32_e32 v16, -0.5, v16
	v_lshrrev_b32_e32 v15, 4, v9
	v_cmp_gt_u32_e32 vcc_lo, 0x8000000, v9
	s_delay_alu instid0(VALU_DEP_2) | instskip(NEXT) | instid1(VALU_DEP_1)
	v_or_b32_e32 v15, 0x70000000, v15
	v_mul_f32_e32 v15, 0x7800000, v15
	s_delay_alu instid0(VALU_DEP_1) | instskip(NEXT) | instid1(VALU_DEP_1)
	v_cndmask_b32_e32 v9, v15, v16, vcc_lo
	v_and_or_b32 v3, 0x80000000, v3, v9
	s_delay_alu instid0(VALU_DEP_1)
	v_cvt_f64_f32_e32 v[15:16], v3
.LBB7_1680:
	s_mov_b32 s3, 0
	s_mov_b32 s2, -1
.LBB7_1681:
	s_and_not1_b32 vcc_lo, exec_lo, s3
	s_mov_b32 s7, 0
	s_cbranch_vccnz .LBB7_1690
; %bb.1682:
	v_cmp_lt_i16_e32 vcc_lo, 14, v13
	s_cbranch_vccz .LBB7_1685
; %bb.1683:
	v_cmp_eq_u16_e32 vcc_lo, 15, v13
	s_cbranch_vccz .LBB7_1686
; %bb.1684:
	global_load_u16 v3, v[7:8], off
	s_mov_b32 s6, 0
	s_mov_b32 s2, -1
	s_waitcnt vmcnt(0)
	v_lshlrev_b32_e32 v3, 16, v3
	s_delay_alu instid0(VALU_DEP_1)
	v_cvt_f64_f32_e32 v[15:16], v3
	s_branch .LBB7_1687
.LBB7_1685:
	s_mov_b32 s3, -1
                                        ; implicit-def: $vgpr15_vgpr16
	s_branch .LBB7_1688
.LBB7_1686:
	s_mov_b32 s6, -1
                                        ; implicit-def: $vgpr15_vgpr16
.LBB7_1687:
	s_mov_b32 s3, 0
.LBB7_1688:
	s_delay_alu instid0(SALU_CYCLE_1)
	s_and_b32 vcc_lo, exec_lo, s3
	s_cbranch_vccz .LBB7_1690
; %bb.1689:
	v_cmp_ne_u16_e64 s6, 11, v13
	s_mov_b32 s7, -1
                                        ; implicit-def: $vgpr15_vgpr16
.LBB7_1690:
	s_delay_alu instid0(VALU_DEP_1)
	s_and_b32 vcc_lo, exec_lo, s6
	s_cbranch_vccnz .LBB7_1810
; %bb.1691:
	s_and_not1_b32 vcc_lo, exec_lo, s7
	s_cbranch_vccnz .LBB7_1693
.LBB7_1692:
	global_load_u8 v3, v[7:8], off
	v_mov_b32_e32 v15, 0
	s_mov_b32 s2, -1
	s_waitcnt vmcnt(0)
	v_cmp_ne_u16_e32 vcc_lo, 0, v3
	v_cndmask_b32_e64 v16, 0, 0x3ff00000, vcc_lo
.LBB7_1693:
	s_mov_b32 s3, 0
.LBB7_1694:
	s_delay_alu instid0(SALU_CYCLE_1)
	s_and_b32 vcc_lo, exec_lo, s3
	s_cbranch_vccz .LBB7_1743
; %bb.1695:
	v_cmp_gt_i16_e32 vcc_lo, 5, v13
	s_cbranch_vccnz .LBB7_1700
; %bb.1696:
	v_cmp_gt_i16_e32 vcc_lo, 8, v13
	s_cbranch_vccnz .LBB7_1701
	;; [unrolled: 3-line block ×3, first 2 shown]
; %bb.1698:
	v_cmp_lt_i16_e32 vcc_lo, 9, v13
	s_cbranch_vccz .LBB7_1703
; %bb.1699:
	global_load_b64 v[15:16], v[7:8], off
	s_mov_b32 s2, 0
	s_branch .LBB7_1704
.LBB7_1700:
	s_mov_b32 s2, -1
                                        ; implicit-def: $vgpr15_vgpr16
	s_branch .LBB7_1722
.LBB7_1701:
	s_mov_b32 s2, -1
                                        ; implicit-def: $vgpr15_vgpr16
	s_branch .LBB7_1710
.LBB7_1702:
	s_mov_b32 s2, -1
                                        ; implicit-def: $vgpr15_vgpr16
	s_branch .LBB7_1707
.LBB7_1703:
	s_mov_b32 s2, -1
                                        ; implicit-def: $vgpr15_vgpr16
.LBB7_1704:
	s_delay_alu instid0(SALU_CYCLE_1)
	s_and_not1_b32 vcc_lo, exec_lo, s2
	s_cbranch_vccnz .LBB7_1706
; %bb.1705:
	global_load_b32 v3, v[7:8], off
	s_waitcnt vmcnt(0)
	v_cvt_f64_f32_e32 v[15:16], v3
.LBB7_1706:
	s_mov_b32 s2, 0
.LBB7_1707:
	s_delay_alu instid0(SALU_CYCLE_1)
	s_and_not1_b32 vcc_lo, exec_lo, s2
	s_cbranch_vccnz .LBB7_1709
; %bb.1708:
	global_load_b32 v3, v[7:8], off
	s_waitcnt vmcnt(0)
	v_cvt_f32_f16_e32 v3, v3
	s_delay_alu instid0(VALU_DEP_1)
	v_cvt_f64_f32_e32 v[15:16], v3
.LBB7_1709:
	s_mov_b32 s2, 0
.LBB7_1710:
	s_delay_alu instid0(SALU_CYCLE_1)
	s_and_not1_b32 vcc_lo, exec_lo, s2
	s_cbranch_vccnz .LBB7_1721
; %bb.1711:
	v_cmp_gt_i16_e32 vcc_lo, 6, v13
	s_cbranch_vccnz .LBB7_1714
; %bb.1712:
	v_cmp_lt_i16_e32 vcc_lo, 6, v13
	s_cbranch_vccz .LBB7_1715
; %bb.1713:
	global_load_b64 v[15:16], v[7:8], off
	s_mov_b32 s2, 0
	s_branch .LBB7_1716
.LBB7_1714:
	s_mov_b32 s2, -1
                                        ; implicit-def: $vgpr15_vgpr16
	s_branch .LBB7_1719
.LBB7_1715:
	s_mov_b32 s2, -1
                                        ; implicit-def: $vgpr15_vgpr16
.LBB7_1716:
	s_delay_alu instid0(SALU_CYCLE_1)
	s_and_not1_b32 vcc_lo, exec_lo, s2
	s_cbranch_vccnz .LBB7_1718
; %bb.1717:
	global_load_b32 v3, v[7:8], off
	s_waitcnt vmcnt(0)
	v_cvt_f64_f32_e32 v[15:16], v3
.LBB7_1718:
	s_mov_b32 s2, 0
.LBB7_1719:
	s_delay_alu instid0(SALU_CYCLE_1)
	s_and_not1_b32 vcc_lo, exec_lo, s2
	s_cbranch_vccnz .LBB7_1721
; %bb.1720:
	global_load_u16 v3, v[7:8], off
	s_waitcnt vmcnt(0)
	v_cvt_f32_f16_e32 v3, v3
	s_delay_alu instid0(VALU_DEP_1)
	v_cvt_f64_f32_e32 v[15:16], v3
.LBB7_1721:
	s_mov_b32 s2, 0
.LBB7_1722:
	s_delay_alu instid0(SALU_CYCLE_1)
	s_and_not1_b32 vcc_lo, exec_lo, s2
	s_cbranch_vccnz .LBB7_1742
; %bb.1723:
	v_cmp_gt_i16_e32 vcc_lo, 2, v13
	s_cbranch_vccnz .LBB7_1727
; %bb.1724:
	v_cmp_gt_i16_e32 vcc_lo, 3, v13
	s_cbranch_vccnz .LBB7_1728
; %bb.1725:
	v_cmp_lt_i16_e32 vcc_lo, 3, v13
	s_cbranch_vccz .LBB7_1729
; %bb.1726:
	global_load_b64 v[15:16], v[7:8], off
	s_mov_b32 s2, 0
	s_waitcnt vmcnt(0)
	v_cvt_f64_i32_e32 v[16:17], v16
	v_cvt_f64_u32_e32 v[18:19], v15
	s_delay_alu instid0(VALU_DEP_2) | instskip(NEXT) | instid1(VALU_DEP_1)
	v_ldexp_f64 v[16:17], v[16:17], 32
	v_add_f64 v[15:16], v[16:17], v[18:19]
	s_branch .LBB7_1730
.LBB7_1727:
	s_mov_b32 s2, -1
                                        ; implicit-def: $vgpr15_vgpr16
	s_branch .LBB7_1736
.LBB7_1728:
	s_mov_b32 s2, -1
                                        ; implicit-def: $vgpr15_vgpr16
	s_branch .LBB7_1733
.LBB7_1729:
	s_mov_b32 s2, -1
                                        ; implicit-def: $vgpr15_vgpr16
.LBB7_1730:
	s_delay_alu instid0(SALU_CYCLE_1)
	s_and_not1_b32 vcc_lo, exec_lo, s2
	s_cbranch_vccnz .LBB7_1732
; %bb.1731:
	global_load_b32 v3, v[7:8], off
	s_waitcnt vmcnt(0)
	v_cvt_f64_i32_e32 v[15:16], v3
.LBB7_1732:
	s_mov_b32 s2, 0
.LBB7_1733:
	s_delay_alu instid0(SALU_CYCLE_1)
	s_and_not1_b32 vcc_lo, exec_lo, s2
	s_cbranch_vccnz .LBB7_1735
; %bb.1734:
	global_load_i16 v3, v[7:8], off
	s_waitcnt vmcnt(0)
	v_cvt_f64_i32_e32 v[15:16], v3
.LBB7_1735:
	s_mov_b32 s2, 0
.LBB7_1736:
	s_delay_alu instid0(SALU_CYCLE_1)
	s_and_not1_b32 vcc_lo, exec_lo, s2
	s_cbranch_vccnz .LBB7_1742
; %bb.1737:
	v_cmp_lt_i16_e32 vcc_lo, 0, v13
	s_mov_b32 s2, 0
	s_cbranch_vccz .LBB7_1739
; %bb.1738:
	global_load_i8 v3, v[7:8], off
	s_waitcnt vmcnt(0)
	v_cvt_f64_i32_e32 v[15:16], v3
	s_branch .LBB7_1740
.LBB7_1739:
	s_mov_b32 s2, -1
                                        ; implicit-def: $vgpr15_vgpr16
.LBB7_1740:
	s_delay_alu instid0(SALU_CYCLE_1)
	s_and_not1_b32 vcc_lo, exec_lo, s2
	s_cbranch_vccnz .LBB7_1742
; %bb.1741:
	global_load_u8 v3, v[7:8], off
	s_waitcnt vmcnt(0)
	v_cvt_f64_u32_e32 v[15:16], v3
.LBB7_1742:
	s_mov_b32 s2, -1
.LBB7_1743:
	s_delay_alu instid0(SALU_CYCLE_1)
	s_and_not1_b32 vcc_lo, exec_lo, s2
	s_cbranch_vccnz .LBB7_1763
; %bb.1744:
	s_waitcnt vmcnt(0)
	s_delay_alu instid0(VALU_DEP_1) | instskip(SKIP_2) | instid1(VALU_DEP_2)
	v_trunc_f64_e32 v[7:8], v[15:16]
	v_cmp_class_f64_e64 vcc_lo, v[15:16], 0x1f8
	s_mov_b32 s6, exec_lo
	v_ldexp_f64 v[17:18], v[7:8], 0xffffffe0
	s_delay_alu instid0(VALU_DEP_1) | instskip(NEXT) | instid1(VALU_DEP_1)
	v_floor_f64_e32 v[17:18], v[17:18]
	v_fma_f64 v[7:8], 0xc1f00000, v[17:18], v[7:8]
	v_cvt_i32_f64_e32 v3, v[17:18]
	s_delay_alu instid0(VALU_DEP_2) | instskip(NEXT) | instid1(VALU_DEP_2)
	v_cvt_u32_f64_e32 v7, v[7:8]
	v_cndmask_b32_e32 v16, -1, v3, vcc_lo
	v_mov_b32_e32 v8, 0
	v_mov_b32_e32 v9, 0
	s_delay_alu instid0(VALU_DEP_4) | instskip(NEXT) | instid1(VALU_DEP_1)
	v_cndmask_b32_e32 v15, -1, v7, vcc_lo
	v_cmpx_lt_i64_e32 -1, v[15:16]
	s_cbranch_execz .LBB7_1756
; %bb.1745:
	v_mov_b32_e32 v8, 0
	v_mov_b32_e32 v9, 0x3ff00000
	s_mov_b32 s7, exec_lo
	v_cmpx_lt_i64_e32 0, v[15:16]
	s_cbranch_execz .LBB7_1755
; %bb.1746:
                                        ; implicit-def: $vgpr8_vgpr9
	s_mov_b32 s2, exec_lo
	v_cmpx_ne_u64_e32 1, v[15:16]
	s_xor_b32 s11, exec_lo, s2
	s_cbranch_execz .LBB7_1752
; %bb.1747:
	v_mov_b32_e32 v8, 0
	v_mov_b32_e32 v9, 0x7ff80000
	s_mov_b32 s12, exec_lo
	v_cmpx_gt_u64_e32 0x201, v[15:16]
	s_cbranch_execz .LBB7_1751
; %bb.1748:
	s_waitcnt lgkmcnt(0)
	v_add_f64 v[17:18], s[0:1], s[0:1]
	v_lshlrev_b64 v[15:16], 1, v[15:16]
	v_mov_b32_e32 v19, 0
	v_mov_b32_e32 v20, 0x3ff00000
	s_mov_b64 s[2:3], 2
	s_mov_b32 s13, 0
	s_delay_alu instid0(VALU_DEP_4)
	v_dual_mov_b32 v8, v17 :: v_dual_mov_b32 v9, v18
.LBB7_1749:                             ; =>This Inner Loop Header: Depth=1
	v_cvt_f64_u32_e32 v[21:22], s3
	v_cvt_f64_u32_e32 v[23:24], s2
	s_add_u32 s2, s2, 2
	s_addc_u32 s3, s3, 0
	s_delay_alu instid0(SALU_CYCLE_1) | instskip(SKIP_1) | instid1(VALU_DEP_3)
	v_cmp_ge_u64_e32 vcc_lo, s[2:3], v[15:16]
	s_or_b32 s13, vcc_lo, s13
	v_ldexp_f64 v[21:22], v[21:22], 32
	s_delay_alu instid0(VALU_DEP_1) | instskip(NEXT) | instid1(VALU_DEP_1)
	v_add_f64 v[21:22], v[21:22], v[23:24]
	v_mul_f64 v[19:20], v[19:20], v[21:22]
	v_dual_mov_b32 v22, v9 :: v_dual_mov_b32 v21, v8
	s_delay_alu instid0(VALU_DEP_1)
	v_fma_f64 v[8:9], v[17:18], v[21:22], -v[19:20]
	v_dual_mov_b32 v19, v21 :: v_dual_mov_b32 v20, v22
	s_and_not1_b32 exec_lo, exec_lo, s13
	s_cbranch_execnz .LBB7_1749
; %bb.1750:
	s_or_b32 exec_lo, exec_lo, s13
.LBB7_1751:
	s_delay_alu instid0(SALU_CYCLE_1)
	s_or_b32 exec_lo, exec_lo, s12
.LBB7_1752:
	s_and_not1_saveexec_b32 s2, s11
	s_cbranch_execz .LBB7_1754
; %bb.1753:
	s_waitcnt lgkmcnt(0)
	v_add_f64 v[8:9], s[0:1], s[0:1]
.LBB7_1754:
	s_or_b32 exec_lo, exec_lo, s2
.LBB7_1755:
	s_delay_alu instid0(SALU_CYCLE_1)
	s_or_b32 exec_lo, exec_lo, s7
.LBB7_1756:
	s_delay_alu instid0(SALU_CYCLE_1) | instskip(SKIP_3) | instid1(VALU_DEP_1)
	s_or_b32 exec_lo, exec_lo, s6
	s_waitcnt lgkmcnt(0)
	s_load_b32 s0, s[16:17], 0x168
	v_add_co_u32 v15, s1, s4, v2
	v_add_co_ci_u32_e64 v16, null, s5, 0, s1
	s_mov_b32 s3, 0
	s_waitcnt lgkmcnt(0)
	s_and_b32 s2, s0, 0xff
	s_delay_alu instid0(SALU_CYCLE_1) | instskip(NEXT) | instid1(VALU_DEP_1)
	v_cmp_lt_i16_e64 s0, s2, 11
	s_and_b32 vcc_lo, exec_lo, s0
	s_mov_b32 s0, -1
	s_cbranch_vccnz .LBB7_1884
; %bb.1757:
	v_cmp_gt_i16_e64 s0, s2, 25
	s_mov_b32 s6, -1
	s_mov_b32 s1, 0
	s_delay_alu instid0(VALU_DEP_1)
	s_and_b32 vcc_lo, exec_lo, s0
	s_mov_b32 s0, 0
	s_cbranch_vccz .LBB7_1840
; %bb.1758:
	v_cmp_gt_i16_e64 s0, s2, 28
	s_delay_alu instid0(VALU_DEP_1)
	s_and_b32 vcc_lo, exec_lo, s0
	s_cbranch_vccz .LBB7_1808
; %bb.1759:
	v_cmp_gt_i16_e64 s0, s2, 43
	s_delay_alu instid0(VALU_DEP_1)
	s_and_b32 vcc_lo, exec_lo, s0
	;; [unrolled: 5-line block ×3, first 2 shown]
	s_cbranch_vccz .LBB7_1812
; %bb.1761:
	v_cmp_eq_u16_e64 s3, s2, 46
	s_mov_b32 s0, -1
	s_mov_b32 s6, 0
	s_delay_alu instid0(VALU_DEP_1)
	s_and_b32 vcc_lo, exec_lo, s3
	s_mov_b32 s3, 0
	s_cbranch_vccz .LBB7_1813
; %bb.1762:
	v_cvt_f32_f64_e32 v2, v[0:1]
	s_mov_b32 s0, 0
	s_mov_b32 s3, -1
	s_delay_alu instid0(VALU_DEP_1) | instskip(SKIP_1) | instid1(VALU_DEP_2)
	v_bfe_u32 v3, v2, 16, 1
	v_cmp_o_f32_e32 vcc_lo, v2, v2
	v_add3_u32 v3, v2, v3, 0x7fff
	s_delay_alu instid0(VALU_DEP_1) | instskip(NEXT) | instid1(VALU_DEP_1)
	v_lshrrev_b32_e32 v3, 16, v3
	v_cndmask_b32_e32 v2, 0x7fc0, v3, vcc_lo
	global_store_b32 v[15:16], v2, off
	s_branch .LBB7_1813
.LBB7_1763:
	s_waitcnt lgkmcnt(0)
	s_mov_b32 s0, 0
	s_mov_b32 s1, 0
                                        ; implicit-def: $vgpr0_vgpr1
                                        ; implicit-def: $sgpr2
                                        ; implicit-def: $vgpr8_vgpr9
.LBB7_1764:
	s_and_b32 s3, s0, exec_lo
	s_and_not1_b32 s0, s8, exec_lo
	s_and_b32 s4, s10, exec_lo
	s_and_b32 s26, s1, exec_lo
	s_or_b32 s8, s0, s4
.LBB7_1765:
	s_or_b32 exec_lo, exec_lo, s9
	s_and_saveexec_b32 s0, s8
	s_cbranch_execz .LBB7_1768
; %bb.1766:
	; divergent unreachable
	s_or_b32 exec_lo, exec_lo, s0
	s_and_saveexec_b32 s0, s26
	s_delay_alu instid0(SALU_CYCLE_1)
	s_xor_b32 s0, exec_lo, s0
	s_cbranch_execnz .LBB7_1769
.LBB7_1767:
	s_or_b32 exec_lo, exec_lo, s0
	s_and_saveexec_b32 s0, s3
	s_cbranch_execnz .LBB7_1770
	s_branch .LBB7_1807
.LBB7_1768:
	s_or_b32 exec_lo, exec_lo, s0
	s_and_saveexec_b32 s0, s26
	s_delay_alu instid0(SALU_CYCLE_1)
	s_xor_b32 s0, exec_lo, s0
	s_cbranch_execz .LBB7_1767
.LBB7_1769:
	s_waitcnt vmcnt(0)
	s_delay_alu instid0(VALU_DEP_1)
	v_cmp_neq_f64_e32 vcc_lo, 0, v[8:9]
	v_cndmask_b32_e64 v2, 0, 1, vcc_lo
	global_store_b8 v[0:1], v2, off
	s_or_b32 exec_lo, exec_lo, s0
	s_and_saveexec_b32 s0, s3
	s_cbranch_execz .LBB7_1807
.LBB7_1770:
	v_cmp_lt_i16_e64 s0, s2, 5
	s_delay_alu instid0(VALU_DEP_1)
	s_and_b32 vcc_lo, exec_lo, s0
	s_mov_b32 s0, -1
	s_cbranch_vccnz .LBB7_1791
; %bb.1771:
	v_cmp_lt_i16_e64 s0, s2, 8
	s_delay_alu instid0(VALU_DEP_1)
	s_and_b32 vcc_lo, exec_lo, s0
	s_mov_b32 s0, -1
	s_cbranch_vccnz .LBB7_1781
; %bb.1772:
	;; [unrolled: 6-line block ×3, first 2 shown]
	v_cmp_gt_i16_e64 s0, s2, 9
	s_delay_alu instid0(VALU_DEP_1)
	s_and_b32 vcc_lo, exec_lo, s0
	s_mov_b32 s0, -1
	s_cbranch_vccz .LBB7_1775
; %bb.1774:
	s_waitcnt vmcnt(0)
	v_mov_b32_e32 v10, 0
	s_mov_b32 s0, 0
	s_delay_alu instid0(VALU_DEP_1)
	v_mov_b32_e32 v11, v10
	global_store_b128 v[0:1], v[8:11], off
.LBB7_1775:
	s_and_not1_b32 vcc_lo, exec_lo, s0
	s_cbranch_vccnz .LBB7_1777
; %bb.1776:
	s_waitcnt vmcnt(0)
	v_cvt_f32_f64_e32 v2, v[8:9]
	v_mov_b32_e32 v3, 0
	global_store_b64 v[0:1], v[2:3], off
.LBB7_1777:
	s_mov_b32 s0, 0
.LBB7_1778:
	s_delay_alu instid0(SALU_CYCLE_1)
	s_and_not1_b32 vcc_lo, exec_lo, s0
	s_cbranch_vccnz .LBB7_1780
; %bb.1779:
	s_waitcnt vmcnt(0)
	v_cvt_f32_f64_e32 v2, v[8:9]
	s_delay_alu instid0(VALU_DEP_1) | instskip(NEXT) | instid1(VALU_DEP_1)
	v_cvt_f16_f32_e32 v2, v2
	v_and_b32_e32 v2, 0xffff, v2
	global_store_b32 v[0:1], v2, off
.LBB7_1780:
	s_mov_b32 s0, 0
.LBB7_1781:
	s_delay_alu instid0(SALU_CYCLE_1)
	s_and_not1_b32 vcc_lo, exec_lo, s0
	s_cbranch_vccnz .LBB7_1790
; %bb.1782:
	v_cmp_lt_i16_e64 s0, s2, 6
	s_delay_alu instid0(VALU_DEP_1)
	s_and_b32 vcc_lo, exec_lo, s0
	s_mov_b32 s0, -1
	s_cbranch_vccnz .LBB7_1788
; %bb.1783:
	v_cmp_gt_i16_e64 s0, s2, 6
	s_delay_alu instid0(VALU_DEP_1)
	s_and_b32 vcc_lo, exec_lo, s0
	s_mov_b32 s0, -1
	s_cbranch_vccz .LBB7_1785
; %bb.1784:
	s_mov_b32 s0, 0
	s_waitcnt vmcnt(0)
	global_store_b64 v[0:1], v[8:9], off
.LBB7_1785:
	s_and_not1_b32 vcc_lo, exec_lo, s0
	s_cbranch_vccnz .LBB7_1787
; %bb.1786:
	s_waitcnt vmcnt(0)
	v_cvt_f32_f64_e32 v2, v[8:9]
	global_store_b32 v[0:1], v2, off
.LBB7_1787:
	s_mov_b32 s0, 0
.LBB7_1788:
	s_delay_alu instid0(SALU_CYCLE_1)
	s_and_not1_b32 vcc_lo, exec_lo, s0
	s_cbranch_vccnz .LBB7_1790
; %bb.1789:
	s_waitcnt vmcnt(0)
	v_cvt_f32_f64_e32 v2, v[8:9]
	s_delay_alu instid0(VALU_DEP_1)
	v_cvt_f16_f32_e32 v2, v2
	global_store_b16 v[0:1], v2, off
.LBB7_1790:
	s_mov_b32 s0, 0
.LBB7_1791:
	s_delay_alu instid0(SALU_CYCLE_1)
	s_and_not1_b32 vcc_lo, exec_lo, s0
	s_cbranch_vccnz .LBB7_1807
; %bb.1792:
	v_cmp_lt_i16_e64 s0, s2, 2
	s_delay_alu instid0(VALU_DEP_1)
	s_and_b32 vcc_lo, exec_lo, s0
	s_mov_b32 s0, -1
	s_cbranch_vccnz .LBB7_1802
; %bb.1793:
	v_cmp_lt_i16_e64 s0, s2, 3
	s_delay_alu instid0(VALU_DEP_1)
	s_and_b32 vcc_lo, exec_lo, s0
	s_mov_b32 s0, -1
	s_cbranch_vccnz .LBB7_1799
; %bb.1794:
	v_cmp_gt_i16_e64 s0, s2, 3
	s_delay_alu instid0(VALU_DEP_1)
	s_and_b32 vcc_lo, exec_lo, s0
	s_mov_b32 s0, -1
	s_cbranch_vccz .LBB7_1796
; %bb.1795:
	s_waitcnt vmcnt(0)
	v_trunc_f64_e32 v[2:3], v[8:9]
	s_mov_b32 s0, 0
	s_delay_alu instid0(VALU_DEP_1) | instskip(NEXT) | instid1(VALU_DEP_1)
	v_ldexp_f64 v[4:5], v[2:3], 0xffffffe0
	v_floor_f64_e32 v[4:5], v[4:5]
	s_delay_alu instid0(VALU_DEP_1) | instskip(SKIP_1) | instid1(VALU_DEP_2)
	v_fma_f64 v[2:3], 0xc1f00000, v[4:5], v[2:3]
	v_cvt_i32_f64_e32 v4, v[4:5]
	v_cvt_u32_f64_e32 v3, v[2:3]
	global_store_b64 v[0:1], v[3:4], off
.LBB7_1796:
	s_and_not1_b32 vcc_lo, exec_lo, s0
	s_cbranch_vccnz .LBB7_1798
; %bb.1797:
	s_waitcnt vmcnt(0)
	v_cvt_i32_f64_e32 v2, v[8:9]
	global_store_b32 v[0:1], v2, off
.LBB7_1798:
	s_mov_b32 s0, 0
.LBB7_1799:
	s_delay_alu instid0(SALU_CYCLE_1)
	s_and_not1_b32 vcc_lo, exec_lo, s0
	s_cbranch_vccnz .LBB7_1801
; %bb.1800:
	s_waitcnt vmcnt(0)
	v_cvt_i32_f64_e32 v2, v[8:9]
	global_store_b16 v[0:1], v2, off
.LBB7_1801:
	s_mov_b32 s0, 0
.LBB7_1802:
	s_delay_alu instid0(SALU_CYCLE_1)
	s_and_not1_b32 vcc_lo, exec_lo, s0
	s_cbranch_vccnz .LBB7_1807
; %bb.1803:
	v_cmp_gt_i16_e64 s0, s2, 0
	s_delay_alu instid0(VALU_DEP_1)
	s_and_b32 vcc_lo, exec_lo, s0
	s_mov_b32 s0, -1
	s_cbranch_vccz .LBB7_1805
; %bb.1804:
	s_waitcnt vmcnt(0)
	v_cvt_i32_f64_e32 v2, v[8:9]
	s_mov_b32 s0, 0
	global_store_b8 v[0:1], v2, off
.LBB7_1805:
	s_and_not1_b32 vcc_lo, exec_lo, s0
	s_cbranch_vccnz .LBB7_1807
; %bb.1806:
	s_waitcnt vmcnt(0)
	v_trunc_f64_e32 v[2:3], v[8:9]
	s_delay_alu instid0(VALU_DEP_1) | instskip(NEXT) | instid1(VALU_DEP_1)
	v_ldexp_f64 v[4:5], v[2:3], 0xffffffe0
	v_floor_f64_e32 v[4:5], v[4:5]
	s_delay_alu instid0(VALU_DEP_1) | instskip(NEXT) | instid1(VALU_DEP_1)
	v_fma_f64 v[2:3], 0xc1f00000, v[4:5], v[2:3]
	v_cvt_u32_f64_e32 v2, v[2:3]
	global_store_b8 v[0:1], v2, off
	s_nop 0
	s_sendmsg sendmsg(MSG_DEALLOC_VGPRS)
	s_endpgm
.LBB7_1807:
	s_nop 0
	s_sendmsg sendmsg(MSG_DEALLOC_VGPRS)
	s_endpgm
.LBB7_1808:
	s_mov_b32 s0, 0
	s_branch .LBB7_1823
.LBB7_1809:
	s_mov_b32 s0, 0
	s_branch .LBB7_1819
.LBB7_1810:
	s_cbranch_execnz .LBB7_1935
; %bb.1811:
	s_or_b32 s10, s10, exec_lo
                                        ; implicit-def: $vgpr15_vgpr16
	s_cbranch_execz .LBB7_1692
	s_branch .LBB7_1693
.LBB7_1812:
	s_mov_b32 s0, 0
.LBB7_1813:
	s_and_b32 vcc_lo, exec_lo, s6
	s_cbranch_vccz .LBB7_1818
; %bb.1814:
	v_cmp_eq_u16_e64 s0, s2, 44
	s_delay_alu instid0(VALU_DEP_1)
	s_and_b32 vcc_lo, exec_lo, s0
	s_mov_b32 s0, -1
	s_cbranch_vccz .LBB7_1818
; %bb.1815:
	v_cvt_f32_f64_e32 v2, v[0:1]
	v_mov_b32_e32 v3, 0xff
	s_mov_b32 s3, exec_lo
	s_delay_alu instid0(VALU_DEP_2) | instskip(NEXT) | instid1(VALU_DEP_1)
	v_bfe_u32 v7, v2, 23, 8
	v_cmpx_ne_u32_e32 0xff, v7
; %bb.1816:
	v_and_b32_e32 v3, 0x400000, v2
	v_and_or_b32 v7, 0x3fffff, v2, v7
	v_lshrrev_b32_e32 v2, 23, v2
	s_delay_alu instid0(VALU_DEP_3) | instskip(NEXT) | instid1(VALU_DEP_3)
	v_cmp_ne_u32_e32 vcc_lo, 0, v3
	v_cmp_ne_u32_e64 s0, 0, v7
	s_delay_alu instid0(VALU_DEP_1) | instskip(NEXT) | instid1(SALU_CYCLE_1)
	s_and_b32 s0, vcc_lo, s0
	v_cndmask_b32_e64 v3, 0, 1, s0
	s_delay_alu instid0(VALU_DEP_1)
	v_add_nc_u32_e32 v3, v2, v3
; %bb.1817:
	s_or_b32 exec_lo, exec_lo, s3
	s_mov_b32 s0, 0
	s_mov_b32 s3, -1
	global_store_b8 v[15:16], v3, off
.LBB7_1818:
	s_mov_b32 s6, 0
.LBB7_1819:
	s_delay_alu instid0(SALU_CYCLE_1)
	s_and_b32 vcc_lo, exec_lo, s6
	s_cbranch_vccz .LBB7_1822
; %bb.1820:
	v_cmp_eq_u16_e64 s0, s2, 29
	s_delay_alu instid0(VALU_DEP_1)
	s_and_b32 vcc_lo, exec_lo, s0
	s_mov_b32 s0, -1
	s_cbranch_vccz .LBB7_1822
; %bb.1821:
	v_trunc_f64_e32 v[2:3], v[0:1]
	s_mov_b32 s0, 0
	s_mov_b32 s3, -1
	s_mov_b32 s6, 0
	s_delay_alu instid0(VALU_DEP_1) | instskip(NEXT) | instid1(VALU_DEP_1)
	v_ldexp_f64 v[17:18], v[2:3], 0xffffffe0
	v_floor_f64_e32 v[17:18], v[17:18]
	s_delay_alu instid0(VALU_DEP_1) | instskip(SKIP_1) | instid1(VALU_DEP_2)
	v_fma_f64 v[2:3], 0xc1f00000, v[17:18], v[2:3]
	v_cvt_u32_f64_e32 v18, v[17:18]
	v_cvt_u32_f64_e32 v17, v[2:3]
	global_store_b64 v[15:16], v[17:18], off
	s_branch .LBB7_1823
.LBB7_1822:
	s_mov_b32 s6, 0
.LBB7_1823:
	s_delay_alu instid0(SALU_CYCLE_1)
	s_and_b32 vcc_lo, exec_lo, s6
	s_cbranch_vccz .LBB7_1839
; %bb.1824:
	v_cmp_lt_i16_e64 s3, s2, 27
	s_delay_alu instid0(VALU_DEP_1)
	s_and_b32 vcc_lo, exec_lo, s3
	s_mov_b32 s3, -1
	s_cbranch_vccnz .LBB7_1830
; %bb.1825:
	v_cvt_u32_f64_e32 v2, v[0:1]
	v_cmp_gt_i16_e64 s3, s2, 27
	s_delay_alu instid0(VALU_DEP_1)
	s_and_b32 vcc_lo, exec_lo, s3
	s_mov_b32 s3, -1
	s_cbranch_vccz .LBB7_1827
; %bb.1826:
	s_mov_b32 s3, 0
	global_store_b32 v[15:16], v2, off
.LBB7_1827:
	s_and_not1_b32 vcc_lo, exec_lo, s3
	s_cbranch_vccnz .LBB7_1829
; %bb.1828:
	global_store_b16 v[15:16], v2, off
.LBB7_1829:
	s_mov_b32 s3, 0
.LBB7_1830:
	s_delay_alu instid0(SALU_CYCLE_1)
	s_and_not1_b32 vcc_lo, exec_lo, s3
	s_cbranch_vccnz .LBB7_1838
; %bb.1831:
	v_cvt_f32_f64_e32 v2, v[0:1]
	v_mov_b32_e32 v7, 0x80
	s_mov_b32 s3, exec_lo
	s_delay_alu instid0(VALU_DEP_2) | instskip(NEXT) | instid1(VALU_DEP_1)
	v_and_b32_e32 v3, 0x7fffffff, v2
	v_cmpx_gt_u32_e32 0x43800000, v3
	s_cbranch_execz .LBB7_1837
; %bb.1832:
	v_cmp_lt_u32_e32 vcc_lo, 0x3bffffff, v3
	s_mov_b32 s6, 0
                                        ; implicit-def: $vgpr3
	s_and_saveexec_b32 s7, vcc_lo
	s_delay_alu instid0(SALU_CYCLE_1)
	s_xor_b32 s7, exec_lo, s7
	s_cbranch_execz .LBB7_1932
; %bb.1833:
	v_bfe_u32 v3, v2, 20, 1
	s_mov_b32 s6, exec_lo
	s_delay_alu instid0(VALU_DEP_1) | instskip(NEXT) | instid1(VALU_DEP_1)
	v_add3_u32 v3, v2, v3, 0x487ffff
	v_lshrrev_b32_e32 v3, 20, v3
	s_or_saveexec_b32 s7, s7
                                        ; implicit-def: $sgpr11
	s_delay_alu instid0(SALU_CYCLE_1)
	s_xor_b32 exec_lo, exec_lo, s7
	s_cbranch_execnz .LBB7_1933
.LBB7_1834:
	s_or_b32 exec_lo, exec_lo, s7
	v_mov_b32_e32 v7, s11
	s_and_saveexec_b32 s7, s6
.LBB7_1835:
	v_lshrrev_b32_e32 v2, 24, v2
	s_delay_alu instid0(VALU_DEP_1)
	v_and_or_b32 v7, 0x80, v2, v3
.LBB7_1836:
	s_or_b32 exec_lo, exec_lo, s7
.LBB7_1837:
	s_delay_alu instid0(SALU_CYCLE_1)
	s_or_b32 exec_lo, exec_lo, s3
	global_store_b8 v[15:16], v7, off
.LBB7_1838:
	s_mov_b32 s3, -1
.LBB7_1839:
	s_mov_b32 s6, 0
.LBB7_1840:
	s_delay_alu instid0(SALU_CYCLE_1)
	s_and_b32 vcc_lo, exec_lo, s6
	s_cbranch_vccz .LBB7_1880
; %bb.1841:
	v_cmp_gt_i16_e64 s1, s2, 22
	s_delay_alu instid0(VALU_DEP_1)
	s_and_b32 vcc_lo, exec_lo, s1
	s_mov_b32 s1, -1
	s_cbranch_vccz .LBB7_1873
; %bb.1842:
	v_cmp_lt_i16_e64 s1, s2, 24
	s_delay_alu instid0(VALU_DEP_1)
	s_and_b32 vcc_lo, exec_lo, s1
	s_mov_b32 s1, -1
	s_cbranch_vccnz .LBB7_1862
; %bb.1843:
	v_cmp_gt_i16_e64 s1, s2, 24
	s_delay_alu instid0(VALU_DEP_1)
	s_and_b32 vcc_lo, exec_lo, s1
	s_mov_b32 s1, -1
	s_cbranch_vccz .LBB7_1851
; %bb.1844:
	v_cvt_f32_f64_e32 v2, v[0:1]
	v_mov_b32_e32 v7, 0x80
	s_mov_b32 s1, exec_lo
	s_delay_alu instid0(VALU_DEP_2) | instskip(NEXT) | instid1(VALU_DEP_1)
	v_and_b32_e32 v3, 0x7fffffff, v2
	v_cmpx_gt_u32_e32 0x47800000, v3
	s_cbranch_execz .LBB7_1850
; %bb.1845:
	v_cmp_lt_u32_e32 vcc_lo, 0x37ffffff, v3
	s_mov_b32 s3, 0
                                        ; implicit-def: $vgpr3
	s_and_saveexec_b32 s6, vcc_lo
	s_delay_alu instid0(SALU_CYCLE_1)
	s_xor_b32 s6, exec_lo, s6
	s_cbranch_execz .LBB7_1939
; %bb.1846:
	v_bfe_u32 v3, v2, 21, 1
	s_mov_b32 s3, exec_lo
	s_delay_alu instid0(VALU_DEP_1) | instskip(NEXT) | instid1(VALU_DEP_1)
	v_add3_u32 v3, v2, v3, 0x88fffff
	v_lshrrev_b32_e32 v3, 21, v3
	s_or_saveexec_b32 s6, s6
                                        ; implicit-def: $sgpr7
	s_delay_alu instid0(SALU_CYCLE_1)
	s_xor_b32 exec_lo, exec_lo, s6
	s_cbranch_execnz .LBB7_1940
.LBB7_1847:
	s_or_b32 exec_lo, exec_lo, s6
	v_mov_b32_e32 v7, s7
	s_and_saveexec_b32 s6, s3
.LBB7_1848:
	v_lshrrev_b32_e32 v2, 24, v2
	s_delay_alu instid0(VALU_DEP_1)
	v_and_or_b32 v7, 0x80, v2, v3
.LBB7_1849:
	s_or_b32 exec_lo, exec_lo, s6
.LBB7_1850:
	s_delay_alu instid0(SALU_CYCLE_1)
	s_or_b32 exec_lo, exec_lo, s1
	s_mov_b32 s1, 0
	global_store_b8 v[15:16], v7, off
.LBB7_1851:
	s_and_b32 vcc_lo, exec_lo, s1
	s_cbranch_vccz .LBB7_1861
; %bb.1852:
	v_cvt_f32_f64_e32 v2, v[0:1]
	s_mov_b32 s1, exec_lo
                                        ; implicit-def: $vgpr3
	s_delay_alu instid0(VALU_DEP_1) | instskip(NEXT) | instid1(VALU_DEP_1)
	v_and_b32_e32 v7, 0x7fffffff, v2
	v_cmpx_gt_u32_e32 0x43f00000, v7
	s_xor_b32 s1, exec_lo, s1
	s_cbranch_execz .LBB7_1858
; %bb.1853:
	s_mov_b32 s3, exec_lo
                                        ; implicit-def: $vgpr3
	v_cmpx_lt_u32_e32 0x3c7fffff, v7
	s_xor_b32 s3, exec_lo, s3
; %bb.1854:
	v_bfe_u32 v3, v2, 20, 1
	s_delay_alu instid0(VALU_DEP_1) | instskip(NEXT) | instid1(VALU_DEP_1)
	v_add3_u32 v3, v2, v3, 0x407ffff
	v_and_b32_e32 v7, 0xff00000, v3
	v_lshrrev_b32_e32 v3, 20, v3
	s_delay_alu instid0(VALU_DEP_2) | instskip(NEXT) | instid1(VALU_DEP_2)
	v_cmp_ne_u32_e32 vcc_lo, 0x7f00000, v7
	v_cndmask_b32_e32 v3, 0x7e, v3, vcc_lo
; %bb.1855:
	s_and_not1_saveexec_b32 s3, s3
; %bb.1856:
	v_add_f32_e64 v3, 0x46800000, |v2|
; %bb.1857:
	s_or_b32 exec_lo, exec_lo, s3
                                        ; implicit-def: $vgpr7
.LBB7_1858:
	s_and_not1_saveexec_b32 s1, s1
; %bb.1859:
	v_mov_b32_e32 v3, 0x7f
	v_cmp_lt_u32_e32 vcc_lo, 0x7f800000, v7
	s_delay_alu instid0(VALU_DEP_2)
	v_cndmask_b32_e32 v3, 0x7e, v3, vcc_lo
; %bb.1860:
	s_or_b32 exec_lo, exec_lo, s1
	v_lshrrev_b32_e32 v2, 24, v2
	s_delay_alu instid0(VALU_DEP_1)
	v_and_or_b32 v2, 0x80, v2, v3
	global_store_b8 v[15:16], v2, off
.LBB7_1861:
	s_mov_b32 s1, 0
.LBB7_1862:
	s_delay_alu instid0(SALU_CYCLE_1)
	s_and_not1_b32 vcc_lo, exec_lo, s1
	s_cbranch_vccnz .LBB7_1872
; %bb.1863:
	v_cvt_f32_f64_e32 v2, v[0:1]
	s_mov_b32 s1, exec_lo
                                        ; implicit-def: $vgpr3
	s_delay_alu instid0(VALU_DEP_1) | instskip(NEXT) | instid1(VALU_DEP_1)
	v_and_b32_e32 v7, 0x7fffffff, v2
	v_cmpx_gt_u32_e32 0x47800000, v7
	s_xor_b32 s1, exec_lo, s1
	s_cbranch_execz .LBB7_1869
; %bb.1864:
	s_mov_b32 s3, exec_lo
                                        ; implicit-def: $vgpr3
	v_cmpx_lt_u32_e32 0x387fffff, v7
	s_xor_b32 s3, exec_lo, s3
; %bb.1865:
	v_bfe_u32 v3, v2, 21, 1
	s_delay_alu instid0(VALU_DEP_1) | instskip(NEXT) | instid1(VALU_DEP_1)
	v_add3_u32 v3, v2, v3, 0x80fffff
	v_lshrrev_b32_e32 v3, 21, v3
; %bb.1866:
	s_and_not1_saveexec_b32 s3, s3
; %bb.1867:
	v_add_f32_e64 v3, 0x43000000, |v2|
; %bb.1868:
	s_or_b32 exec_lo, exec_lo, s3
                                        ; implicit-def: $vgpr7
.LBB7_1869:
	s_and_not1_saveexec_b32 s1, s1
; %bb.1870:
	v_mov_b32_e32 v3, 0x7f
	v_cmp_lt_u32_e32 vcc_lo, 0x7f800000, v7
	s_delay_alu instid0(VALU_DEP_2)
	v_cndmask_b32_e32 v3, 0x7c, v3, vcc_lo
; %bb.1871:
	s_or_b32 exec_lo, exec_lo, s1
	v_lshrrev_b32_e32 v2, 24, v2
	s_delay_alu instid0(VALU_DEP_1)
	v_and_or_b32 v2, 0x80, v2, v3
	global_store_b8 v[15:16], v2, off
.LBB7_1872:
	s_mov_b32 s1, 0
	s_mov_b32 s3, -1
.LBB7_1873:
	s_and_not1_b32 vcc_lo, exec_lo, s1
	s_mov_b32 s1, 0
	s_cbranch_vccnz .LBB7_1880
; %bb.1874:
	v_cmp_gt_i16_e64 s1, s2, 14
	s_delay_alu instid0(VALU_DEP_1)
	s_and_b32 vcc_lo, exec_lo, s1
	s_mov_b32 s1, -1
	s_cbranch_vccz .LBB7_1878
; %bb.1875:
	v_cmp_eq_u16_e64 s0, s2, 15
	s_delay_alu instid0(VALU_DEP_1)
	s_and_b32 vcc_lo, exec_lo, s0
	s_mov_b32 s0, -1
	s_cbranch_vccz .LBB7_1877
; %bb.1876:
	v_cvt_f32_f64_e32 v2, v[0:1]
	s_mov_b32 s0, 0
	s_mov_b32 s3, -1
	s_delay_alu instid0(VALU_DEP_1) | instskip(SKIP_1) | instid1(VALU_DEP_2)
	v_bfe_u32 v3, v2, 16, 1
	v_cmp_o_f32_e32 vcc_lo, v2, v2
	v_add3_u32 v3, v2, v3, 0x7fff
	s_delay_alu instid0(VALU_DEP_1) | instskip(NEXT) | instid1(VALU_DEP_1)
	v_lshrrev_b32_e32 v3, 16, v3
	v_cndmask_b32_e32 v2, 0x7fc0, v3, vcc_lo
	global_store_b16 v[15:16], v2, off
.LBB7_1877:
	s_mov_b32 s1, 0
.LBB7_1878:
	s_delay_alu instid0(SALU_CYCLE_1)
	s_and_b32 vcc_lo, exec_lo, s1
	s_mov_b32 s1, 0
	s_cbranch_vccz .LBB7_1880
; %bb.1879:
	v_cmp_ne_u16_e64 s0, s2, 11
	s_mov_b32 s1, -1
.LBB7_1880:
	s_delay_alu instid0(VALU_DEP_1)
	s_and_b32 vcc_lo, exec_lo, s0
	s_cbranch_vccnz .LBB7_1937
; %bb.1881:
	s_and_not1_b32 vcc_lo, exec_lo, s1
	s_cbranch_vccnz .LBB7_1883
.LBB7_1882:
	v_cmp_neq_f64_e32 vcc_lo, 0, v[0:1]
	s_mov_b32 s3, -1
	v_cndmask_b32_e64 v2, 0, 1, vcc_lo
	global_store_b8 v[15:16], v2, off
.LBB7_1883:
	s_mov_b32 s0, 0
.LBB7_1884:
	s_delay_alu instid0(SALU_CYCLE_1)
	s_and_b32 vcc_lo, exec_lo, s0
	s_cbranch_vccz .LBB7_1923
; %bb.1885:
	v_cmp_lt_i16_e64 s0, s2, 5
	s_delay_alu instid0(VALU_DEP_1)
	s_and_b32 vcc_lo, exec_lo, s0
	s_mov_b32 s0, -1
	s_cbranch_vccnz .LBB7_1906
; %bb.1886:
	v_cmp_lt_i16_e64 s0, s2, 8
	s_delay_alu instid0(VALU_DEP_1)
	s_and_b32 vcc_lo, exec_lo, s0
	s_mov_b32 s0, -1
	s_cbranch_vccnz .LBB7_1896
	;; [unrolled: 6-line block ×3, first 2 shown]
; %bb.1888:
	v_cmp_gt_i16_e64 s0, s2, 9
	s_delay_alu instid0(VALU_DEP_1)
	s_and_b32 vcc_lo, exec_lo, s0
	s_mov_b32 s0, -1
	s_cbranch_vccz .LBB7_1890
; %bb.1889:
	v_mov_b32_e32 v2, 0
	s_mov_b32 s0, 0
	s_delay_alu instid0(VALU_DEP_1)
	v_mov_b32_e32 v3, v2
	global_store_b128 v[15:16], v[0:3], off
.LBB7_1890:
	s_and_not1_b32 vcc_lo, exec_lo, s0
	s_cbranch_vccnz .LBB7_1892
; %bb.1891:
	v_cvt_f32_f64_e32 v2, v[0:1]
	v_mov_b32_e32 v3, 0
	global_store_b64 v[15:16], v[2:3], off
.LBB7_1892:
	s_mov_b32 s0, 0
.LBB7_1893:
	s_delay_alu instid0(SALU_CYCLE_1)
	s_and_not1_b32 vcc_lo, exec_lo, s0
	s_cbranch_vccnz .LBB7_1895
; %bb.1894:
	v_cvt_f32_f64_e32 v2, v[0:1]
	s_delay_alu instid0(VALU_DEP_1) | instskip(NEXT) | instid1(VALU_DEP_1)
	v_cvt_f16_f32_e32 v2, v2
	v_and_b32_e32 v2, 0xffff, v2
	global_store_b32 v[15:16], v2, off
.LBB7_1895:
	s_mov_b32 s0, 0
.LBB7_1896:
	s_delay_alu instid0(SALU_CYCLE_1)
	s_and_not1_b32 vcc_lo, exec_lo, s0
	s_cbranch_vccnz .LBB7_1905
; %bb.1897:
	v_cmp_lt_i16_e64 s0, s2, 6
	s_delay_alu instid0(VALU_DEP_1)
	s_and_b32 vcc_lo, exec_lo, s0
	s_mov_b32 s0, -1
	s_cbranch_vccnz .LBB7_1903
; %bb.1898:
	v_cmp_gt_i16_e64 s0, s2, 6
	s_delay_alu instid0(VALU_DEP_1)
	s_and_b32 vcc_lo, exec_lo, s0
	s_mov_b32 s0, -1
	s_cbranch_vccz .LBB7_1900
; %bb.1899:
	s_mov_b32 s0, 0
	global_store_b64 v[15:16], v[0:1], off
.LBB7_1900:
	s_and_not1_b32 vcc_lo, exec_lo, s0
	s_cbranch_vccnz .LBB7_1902
; %bb.1901:
	v_cvt_f32_f64_e32 v2, v[0:1]
	global_store_b32 v[15:16], v2, off
.LBB7_1902:
	s_mov_b32 s0, 0
.LBB7_1903:
	s_delay_alu instid0(SALU_CYCLE_1)
	s_and_not1_b32 vcc_lo, exec_lo, s0
	s_cbranch_vccnz .LBB7_1905
; %bb.1904:
	v_cvt_f32_f64_e32 v2, v[0:1]
	s_delay_alu instid0(VALU_DEP_1)
	v_cvt_f16_f32_e32 v2, v2
	global_store_b16 v[15:16], v2, off
.LBB7_1905:
	s_mov_b32 s0, 0
.LBB7_1906:
	s_delay_alu instid0(SALU_CYCLE_1)
	s_and_not1_b32 vcc_lo, exec_lo, s0
	s_cbranch_vccnz .LBB7_1922
; %bb.1907:
	v_cmp_lt_i16_e64 s0, s2, 2
	s_delay_alu instid0(VALU_DEP_1)
	s_and_b32 vcc_lo, exec_lo, s0
	s_mov_b32 s0, -1
	s_cbranch_vccnz .LBB7_1917
; %bb.1908:
	v_cmp_lt_i16_e64 s0, s2, 3
	s_delay_alu instid0(VALU_DEP_1)
	s_and_b32 vcc_lo, exec_lo, s0
	s_mov_b32 s0, -1
	s_cbranch_vccnz .LBB7_1914
; %bb.1909:
	v_cmp_gt_i16_e64 s0, s2, 3
	s_delay_alu instid0(VALU_DEP_1)
	s_and_b32 vcc_lo, exec_lo, s0
	s_mov_b32 s0, -1
	s_cbranch_vccz .LBB7_1911
; %bb.1910:
	v_trunc_f64_e32 v[2:3], v[0:1]
	s_mov_b32 s0, 0
	s_delay_alu instid0(VALU_DEP_1) | instskip(NEXT) | instid1(VALU_DEP_1)
	v_ldexp_f64 v[17:18], v[2:3], 0xffffffe0
	v_floor_f64_e32 v[17:18], v[17:18]
	s_delay_alu instid0(VALU_DEP_1) | instskip(SKIP_1) | instid1(VALU_DEP_2)
	v_fma_f64 v[2:3], 0xc1f00000, v[17:18], v[2:3]
	v_cvt_i32_f64_e32 v18, v[17:18]
	v_cvt_u32_f64_e32 v17, v[2:3]
	global_store_b64 v[15:16], v[17:18], off
.LBB7_1911:
	s_and_not1_b32 vcc_lo, exec_lo, s0
	s_cbranch_vccnz .LBB7_1913
; %bb.1912:
	v_cvt_i32_f64_e32 v2, v[0:1]
	global_store_b32 v[15:16], v2, off
.LBB7_1913:
	s_mov_b32 s0, 0
.LBB7_1914:
	s_delay_alu instid0(SALU_CYCLE_1)
	s_and_not1_b32 vcc_lo, exec_lo, s0
	s_cbranch_vccnz .LBB7_1916
; %bb.1915:
	v_cvt_i32_f64_e32 v2, v[0:1]
	global_store_b16 v[15:16], v2, off
.LBB7_1916:
	s_mov_b32 s0, 0
.LBB7_1917:
	s_delay_alu instid0(SALU_CYCLE_1)
	s_and_not1_b32 vcc_lo, exec_lo, s0
	s_cbranch_vccnz .LBB7_1922
; %bb.1918:
	v_cmp_gt_i16_e64 s0, s2, 0
	s_delay_alu instid0(VALU_DEP_1)
	s_and_b32 vcc_lo, exec_lo, s0
	s_mov_b32 s0, -1
	s_cbranch_vccz .LBB7_1920
; %bb.1919:
	v_cvt_i32_f64_e32 v2, v[0:1]
	s_mov_b32 s0, 0
	global_store_b8 v[15:16], v2, off
.LBB7_1920:
	s_and_not1_b32 vcc_lo, exec_lo, s0
	s_cbranch_vccnz .LBB7_1922
; %bb.1921:
	v_trunc_f64_e32 v[0:1], v[0:1]
	s_delay_alu instid0(VALU_DEP_1) | instskip(NEXT) | instid1(VALU_DEP_1)
	v_ldexp_f64 v[2:3], v[0:1], 0xffffffe0
	v_floor_f64_e32 v[2:3], v[2:3]
	s_delay_alu instid0(VALU_DEP_1) | instskip(NEXT) | instid1(VALU_DEP_1)
	v_fma_f64 v[0:1], 0xc1f00000, v[2:3], v[0:1]
	v_cvt_u32_f64_e32 v0, v[0:1]
	global_store_b8 v[15:16], v0, off
.LBB7_1922:
	s_mov_b32 s3, -1
.LBB7_1923:
	s_delay_alu instid0(SALU_CYCLE_1)
	s_and_not1_b32 vcc_lo, exec_lo, s3
	s_cbranch_vccnz .LBB7_2190
; %bb.1924:
	v_cmp_lt_i16_e64 s0, s2, 11
	v_add_co_u32 v0, s1, s4, v6
	s_delay_alu instid0(VALU_DEP_1) | instskip(SKIP_1) | instid1(VALU_DEP_3)
	v_add_co_ci_u32_e64 v1, null, s5, 0, s1
	s_mov_b32 s3, 0
	s_and_b32 vcc_lo, exec_lo, s0
	s_mov_b32 s0, -1
	s_cbranch_vccnz .LBB7_2013
; %bb.1925:
	v_cmp_gt_i16_e64 s0, s2, 25
	s_mov_b32 s6, -1
	s_mov_b32 s1, 0
	s_delay_alu instid0(VALU_DEP_1)
	s_and_b32 vcc_lo, exec_lo, s0
	s_mov_b32 s0, 0
	s_cbranch_vccz .LBB7_1969
; %bb.1926:
	v_cmp_gt_i16_e64 s0, s2, 28
	s_delay_alu instid0(VALU_DEP_1)
	s_and_b32 vcc_lo, exec_lo, s0
	s_cbranch_vccz .LBB7_1931
; %bb.1927:
	v_cmp_gt_i16_e64 s0, s2, 43
	s_delay_alu instid0(VALU_DEP_1)
	s_and_b32 vcc_lo, exec_lo, s0
	;; [unrolled: 5-line block ×3, first 2 shown]
	s_cbranch_vccz .LBB7_1941
; %bb.1929:
	v_cmp_eq_u16_e64 s3, s2, 46
	s_mov_b32 s0, -1
	s_mov_b32 s6, 0
	s_delay_alu instid0(VALU_DEP_1)
	s_and_b32 vcc_lo, exec_lo, s3
	s_mov_b32 s3, 0
	s_cbranch_vccz .LBB7_1942
; %bb.1930:
	v_cvt_f32_f64_e32 v2, v[4:5]
	s_mov_b32 s0, 0
	s_mov_b32 s3, -1
	s_delay_alu instid0(VALU_DEP_1) | instskip(SKIP_1) | instid1(VALU_DEP_2)
	v_bfe_u32 v3, v2, 16, 1
	v_cmp_o_f32_e32 vcc_lo, v2, v2
	v_add3_u32 v3, v2, v3, 0x7fff
	s_delay_alu instid0(VALU_DEP_1) | instskip(NEXT) | instid1(VALU_DEP_1)
	v_lshrrev_b32_e32 v3, 16, v3
	v_cndmask_b32_e32 v2, 0x7fc0, v3, vcc_lo
	global_store_b32 v[0:1], v2, off
	s_branch .LBB7_1942
.LBB7_1931:
	s_mov_b32 s0, 0
	s_branch .LBB7_1952
.LBB7_1932:
	s_or_saveexec_b32 s7, s7
                                        ; implicit-def: $sgpr11
	s_delay_alu instid0(SALU_CYCLE_1)
	s_xor_b32 exec_lo, exec_lo, s7
	s_cbranch_execz .LBB7_1834
.LBB7_1933:
	v_add_f32_e64 v3, 0x46000000, |v2|
	s_and_not1_b32 s6, s6, exec_lo
	s_mov_b32 s11, 0
	s_delay_alu instid0(VALU_DEP_1) | instskip(NEXT) | instid1(VALU_DEP_1)
	v_and_b32_e32 v3, 0xff, v3
	v_cmp_ne_u32_e32 vcc_lo, 0, v3
	s_and_b32 s12, vcc_lo, exec_lo
	s_delay_alu instid0(SALU_CYCLE_1)
	s_or_b32 s6, s6, s12
	s_or_b32 exec_lo, exec_lo, s7
	v_mov_b32_e32 v7, s11
	s_and_saveexec_b32 s7, s6
	s_cbranch_execnz .LBB7_1835
	s_branch .LBB7_1836
.LBB7_1934:
	s_mov_b32 s0, 0
	s_branch .LBB7_1948
.LBB7_1935:
	s_trap 2
	s_waitcnt lgkmcnt(0)
	s_sendmsg_rtn_b32 s0, sendmsg(MSG_RTN_GET_DOORBELL)
	s_mov_b32 ttmp2, m0
	s_waitcnt lgkmcnt(0)
	s_and_b32 s0, s0, 0x3ff
	s_delay_alu instid0(SALU_CYCLE_1) | instskip(NEXT) | instid1(SALU_CYCLE_1)
	s_bitset1_b32 s0, 10
	s_mov_b32 m0, s0
	s_sendmsg sendmsg(MSG_INTERRUPT)
	s_mov_b32 m0, ttmp2
.LBB7_1936:                             ; =>This Inner Loop Header: Depth=1
	s_sethalt 5
	s_branch .LBB7_1936
.LBB7_1937:
	s_cbranch_execnz .LBB7_2064
; %bb.1938:
	s_or_b32 s10, s10, exec_lo
	s_cbranch_execz .LBB7_1882
	s_branch .LBB7_1883
.LBB7_1939:
	s_or_saveexec_b32 s6, s6
                                        ; implicit-def: $sgpr7
	s_delay_alu instid0(SALU_CYCLE_1)
	s_xor_b32 exec_lo, exec_lo, s6
	s_cbranch_execz .LBB7_1847
.LBB7_1940:
	v_add_f32_e64 v3, 0x42800000, |v2|
	s_and_not1_b32 s3, s3, exec_lo
	s_mov_b32 s7, 0
	s_delay_alu instid0(VALU_DEP_1) | instskip(NEXT) | instid1(VALU_DEP_1)
	v_and_b32_e32 v3, 0xff, v3
	v_cmp_ne_u32_e32 vcc_lo, 0, v3
	s_and_b32 s11, vcc_lo, exec_lo
	s_delay_alu instid0(SALU_CYCLE_1)
	s_or_b32 s3, s3, s11
	s_or_b32 exec_lo, exec_lo, s6
	v_mov_b32_e32 v7, s7
	s_and_saveexec_b32 s6, s3
	s_cbranch_execnz .LBB7_1848
	s_branch .LBB7_1849
.LBB7_1941:
	s_mov_b32 s0, 0
.LBB7_1942:
	s_and_b32 vcc_lo, exec_lo, s6
	s_cbranch_vccz .LBB7_1947
; %bb.1943:
	v_cmp_eq_u16_e64 s0, s2, 44
	s_delay_alu instid0(VALU_DEP_1)
	s_and_b32 vcc_lo, exec_lo, s0
	s_mov_b32 s0, -1
	s_cbranch_vccz .LBB7_1947
; %bb.1944:
	v_cvt_f32_f64_e32 v2, v[4:5]
	v_mov_b32_e32 v3, 0xff
	s_mov_b32 s3, exec_lo
	s_delay_alu instid0(VALU_DEP_2) | instskip(NEXT) | instid1(VALU_DEP_1)
	v_bfe_u32 v6, v2, 23, 8
	v_cmpx_ne_u32_e32 0xff, v6
; %bb.1945:
	v_and_b32_e32 v3, 0x400000, v2
	v_and_or_b32 v6, 0x3fffff, v2, v6
	v_lshrrev_b32_e32 v2, 23, v2
	s_delay_alu instid0(VALU_DEP_3) | instskip(NEXT) | instid1(VALU_DEP_3)
	v_cmp_ne_u32_e32 vcc_lo, 0, v3
	v_cmp_ne_u32_e64 s0, 0, v6
	s_delay_alu instid0(VALU_DEP_1) | instskip(NEXT) | instid1(SALU_CYCLE_1)
	s_and_b32 s0, vcc_lo, s0
	v_cndmask_b32_e64 v3, 0, 1, s0
	s_delay_alu instid0(VALU_DEP_1)
	v_add_nc_u32_e32 v3, v2, v3
; %bb.1946:
	s_or_b32 exec_lo, exec_lo, s3
	s_mov_b32 s0, 0
	s_mov_b32 s3, -1
	global_store_b8 v[0:1], v3, off
.LBB7_1947:
	s_mov_b32 s6, 0
.LBB7_1948:
	s_delay_alu instid0(SALU_CYCLE_1)
	s_and_b32 vcc_lo, exec_lo, s6
	s_cbranch_vccz .LBB7_1951
; %bb.1949:
	v_cmp_eq_u16_e64 s0, s2, 29
	s_delay_alu instid0(VALU_DEP_1)
	s_and_b32 vcc_lo, exec_lo, s0
	s_mov_b32 s0, -1
	s_cbranch_vccz .LBB7_1951
; %bb.1950:
	v_trunc_f64_e32 v[2:3], v[4:5]
	s_mov_b32 s0, 0
	s_mov_b32 s3, -1
	s_mov_b32 s6, 0
	s_delay_alu instid0(VALU_DEP_1) | instskip(NEXT) | instid1(VALU_DEP_1)
	v_ldexp_f64 v[6:7], v[2:3], 0xffffffe0
	v_floor_f64_e32 v[6:7], v[6:7]
	s_delay_alu instid0(VALU_DEP_1) | instskip(SKIP_1) | instid1(VALU_DEP_2)
	v_fma_f64 v[2:3], 0xc1f00000, v[6:7], v[2:3]
	v_cvt_u32_f64_e32 v7, v[6:7]
	v_cvt_u32_f64_e32 v6, v[2:3]
	global_store_b64 v[0:1], v[6:7], off
	s_branch .LBB7_1952
.LBB7_1951:
	s_mov_b32 s6, 0
.LBB7_1952:
	s_delay_alu instid0(SALU_CYCLE_1)
	s_and_b32 vcc_lo, exec_lo, s6
	s_cbranch_vccz .LBB7_1968
; %bb.1953:
	v_cmp_lt_i16_e64 s3, s2, 27
	s_delay_alu instid0(VALU_DEP_1)
	s_and_b32 vcc_lo, exec_lo, s3
	s_mov_b32 s3, -1
	s_cbranch_vccnz .LBB7_1959
; %bb.1954:
	v_cvt_u32_f64_e32 v2, v[4:5]
	v_cmp_gt_i16_e64 s3, s2, 27
	s_delay_alu instid0(VALU_DEP_1)
	s_and_b32 vcc_lo, exec_lo, s3
	s_mov_b32 s3, -1
	s_cbranch_vccz .LBB7_1956
; %bb.1955:
	s_mov_b32 s3, 0
	global_store_b32 v[0:1], v2, off
.LBB7_1956:
	s_and_not1_b32 vcc_lo, exec_lo, s3
	s_cbranch_vccnz .LBB7_1958
; %bb.1957:
	global_store_b16 v[0:1], v2, off
.LBB7_1958:
	s_mov_b32 s3, 0
.LBB7_1959:
	s_delay_alu instid0(SALU_CYCLE_1)
	s_and_not1_b32 vcc_lo, exec_lo, s3
	s_cbranch_vccnz .LBB7_1967
; %bb.1960:
	v_cvt_f32_f64_e32 v2, v[4:5]
	v_mov_b32_e32 v6, 0x80
	s_mov_b32 s3, exec_lo
	s_delay_alu instid0(VALU_DEP_2) | instskip(NEXT) | instid1(VALU_DEP_1)
	v_and_b32_e32 v3, 0x7fffffff, v2
	v_cmpx_gt_u32_e32 0x43800000, v3
	s_cbranch_execz .LBB7_1966
; %bb.1961:
	v_cmp_lt_u32_e32 vcc_lo, 0x3bffffff, v3
	s_mov_b32 s6, 0
                                        ; implicit-def: $vgpr3
	s_and_saveexec_b32 s7, vcc_lo
	s_delay_alu instid0(SALU_CYCLE_1)
	s_xor_b32 s7, exec_lo, s7
	s_cbranch_execz .LBB7_2061
; %bb.1962:
	v_bfe_u32 v3, v2, 20, 1
	s_mov_b32 s6, exec_lo
	s_delay_alu instid0(VALU_DEP_1) | instskip(NEXT) | instid1(VALU_DEP_1)
	v_add3_u32 v3, v2, v3, 0x487ffff
	v_lshrrev_b32_e32 v3, 20, v3
	s_or_saveexec_b32 s7, s7
                                        ; implicit-def: $sgpr11
	s_delay_alu instid0(SALU_CYCLE_1)
	s_xor_b32 exec_lo, exec_lo, s7
	s_cbranch_execnz .LBB7_2062
.LBB7_1963:
	s_or_b32 exec_lo, exec_lo, s7
	v_mov_b32_e32 v6, s11
	s_and_saveexec_b32 s7, s6
.LBB7_1964:
	v_lshrrev_b32_e32 v2, 24, v2
	s_delay_alu instid0(VALU_DEP_1)
	v_and_or_b32 v6, 0x80, v2, v3
.LBB7_1965:
	s_or_b32 exec_lo, exec_lo, s7
.LBB7_1966:
	s_delay_alu instid0(SALU_CYCLE_1)
	s_or_b32 exec_lo, exec_lo, s3
	global_store_b8 v[0:1], v6, off
.LBB7_1967:
	s_mov_b32 s3, -1
.LBB7_1968:
	s_mov_b32 s6, 0
.LBB7_1969:
	s_delay_alu instid0(SALU_CYCLE_1)
	s_and_b32 vcc_lo, exec_lo, s6
	s_cbranch_vccz .LBB7_2009
; %bb.1970:
	v_cmp_gt_i16_e64 s1, s2, 22
	s_delay_alu instid0(VALU_DEP_1)
	s_and_b32 vcc_lo, exec_lo, s1
	s_mov_b32 s1, -1
	s_cbranch_vccz .LBB7_2002
; %bb.1971:
	v_cmp_lt_i16_e64 s1, s2, 24
	s_delay_alu instid0(VALU_DEP_1)
	s_and_b32 vcc_lo, exec_lo, s1
	s_mov_b32 s1, -1
	s_cbranch_vccnz .LBB7_1991
; %bb.1972:
	v_cmp_gt_i16_e64 s1, s2, 24
	s_delay_alu instid0(VALU_DEP_1)
	s_and_b32 vcc_lo, exec_lo, s1
	s_mov_b32 s1, -1
	s_cbranch_vccz .LBB7_1980
; %bb.1973:
	v_cvt_f32_f64_e32 v2, v[4:5]
	v_mov_b32_e32 v6, 0x80
	s_mov_b32 s1, exec_lo
	s_delay_alu instid0(VALU_DEP_2) | instskip(NEXT) | instid1(VALU_DEP_1)
	v_and_b32_e32 v3, 0x7fffffff, v2
	v_cmpx_gt_u32_e32 0x47800000, v3
	s_cbranch_execz .LBB7_1979
; %bb.1974:
	v_cmp_lt_u32_e32 vcc_lo, 0x37ffffff, v3
	s_mov_b32 s3, 0
                                        ; implicit-def: $vgpr3
	s_and_saveexec_b32 s6, vcc_lo
	s_delay_alu instid0(SALU_CYCLE_1)
	s_xor_b32 s6, exec_lo, s6
	s_cbranch_execz .LBB7_2068
; %bb.1975:
	v_bfe_u32 v3, v2, 21, 1
	s_mov_b32 s3, exec_lo
	s_delay_alu instid0(VALU_DEP_1) | instskip(NEXT) | instid1(VALU_DEP_1)
	v_add3_u32 v3, v2, v3, 0x88fffff
	v_lshrrev_b32_e32 v3, 21, v3
	s_or_saveexec_b32 s6, s6
                                        ; implicit-def: $sgpr7
	s_delay_alu instid0(SALU_CYCLE_1)
	s_xor_b32 exec_lo, exec_lo, s6
	s_cbranch_execnz .LBB7_2069
.LBB7_1976:
	s_or_b32 exec_lo, exec_lo, s6
	v_mov_b32_e32 v6, s7
	s_and_saveexec_b32 s6, s3
.LBB7_1977:
	v_lshrrev_b32_e32 v2, 24, v2
	s_delay_alu instid0(VALU_DEP_1)
	v_and_or_b32 v6, 0x80, v2, v3
.LBB7_1978:
	s_or_b32 exec_lo, exec_lo, s6
.LBB7_1979:
	s_delay_alu instid0(SALU_CYCLE_1)
	s_or_b32 exec_lo, exec_lo, s1
	s_mov_b32 s1, 0
	global_store_b8 v[0:1], v6, off
.LBB7_1980:
	s_and_b32 vcc_lo, exec_lo, s1
	s_cbranch_vccz .LBB7_1990
; %bb.1981:
	v_cvt_f32_f64_e32 v2, v[4:5]
	s_mov_b32 s1, exec_lo
                                        ; implicit-def: $vgpr3
	s_delay_alu instid0(VALU_DEP_1) | instskip(NEXT) | instid1(VALU_DEP_1)
	v_and_b32_e32 v6, 0x7fffffff, v2
	v_cmpx_gt_u32_e32 0x43f00000, v6
	s_xor_b32 s1, exec_lo, s1
	s_cbranch_execz .LBB7_1987
; %bb.1982:
	s_mov_b32 s3, exec_lo
                                        ; implicit-def: $vgpr3
	v_cmpx_lt_u32_e32 0x3c7fffff, v6
	s_xor_b32 s3, exec_lo, s3
; %bb.1983:
	v_bfe_u32 v3, v2, 20, 1
	s_delay_alu instid0(VALU_DEP_1) | instskip(NEXT) | instid1(VALU_DEP_1)
	v_add3_u32 v3, v2, v3, 0x407ffff
	v_and_b32_e32 v6, 0xff00000, v3
	v_lshrrev_b32_e32 v3, 20, v3
	s_delay_alu instid0(VALU_DEP_2) | instskip(NEXT) | instid1(VALU_DEP_2)
	v_cmp_ne_u32_e32 vcc_lo, 0x7f00000, v6
	v_cndmask_b32_e32 v3, 0x7e, v3, vcc_lo
; %bb.1984:
	s_and_not1_saveexec_b32 s3, s3
; %bb.1985:
	v_add_f32_e64 v3, 0x46800000, |v2|
; %bb.1986:
	s_or_b32 exec_lo, exec_lo, s3
                                        ; implicit-def: $vgpr6
.LBB7_1987:
	s_and_not1_saveexec_b32 s1, s1
; %bb.1988:
	v_mov_b32_e32 v3, 0x7f
	v_cmp_lt_u32_e32 vcc_lo, 0x7f800000, v6
	s_delay_alu instid0(VALU_DEP_2)
	v_cndmask_b32_e32 v3, 0x7e, v3, vcc_lo
; %bb.1989:
	s_or_b32 exec_lo, exec_lo, s1
	v_lshrrev_b32_e32 v2, 24, v2
	s_delay_alu instid0(VALU_DEP_1)
	v_and_or_b32 v2, 0x80, v2, v3
	global_store_b8 v[0:1], v2, off
.LBB7_1990:
	s_mov_b32 s1, 0
.LBB7_1991:
	s_delay_alu instid0(SALU_CYCLE_1)
	s_and_not1_b32 vcc_lo, exec_lo, s1
	s_cbranch_vccnz .LBB7_2001
; %bb.1992:
	v_cvt_f32_f64_e32 v2, v[4:5]
	s_mov_b32 s1, exec_lo
                                        ; implicit-def: $vgpr3
	s_delay_alu instid0(VALU_DEP_1) | instskip(NEXT) | instid1(VALU_DEP_1)
	v_and_b32_e32 v6, 0x7fffffff, v2
	v_cmpx_gt_u32_e32 0x47800000, v6
	s_xor_b32 s1, exec_lo, s1
	s_cbranch_execz .LBB7_1998
; %bb.1993:
	s_mov_b32 s3, exec_lo
                                        ; implicit-def: $vgpr3
	v_cmpx_lt_u32_e32 0x387fffff, v6
	s_xor_b32 s3, exec_lo, s3
; %bb.1994:
	v_bfe_u32 v3, v2, 21, 1
	s_delay_alu instid0(VALU_DEP_1) | instskip(NEXT) | instid1(VALU_DEP_1)
	v_add3_u32 v3, v2, v3, 0x80fffff
	v_lshrrev_b32_e32 v3, 21, v3
; %bb.1995:
	s_and_not1_saveexec_b32 s3, s3
; %bb.1996:
	v_add_f32_e64 v3, 0x43000000, |v2|
; %bb.1997:
	s_or_b32 exec_lo, exec_lo, s3
                                        ; implicit-def: $vgpr6
.LBB7_1998:
	s_and_not1_saveexec_b32 s1, s1
; %bb.1999:
	v_mov_b32_e32 v3, 0x7f
	v_cmp_lt_u32_e32 vcc_lo, 0x7f800000, v6
	s_delay_alu instid0(VALU_DEP_2)
	v_cndmask_b32_e32 v3, 0x7c, v3, vcc_lo
; %bb.2000:
	s_or_b32 exec_lo, exec_lo, s1
	v_lshrrev_b32_e32 v2, 24, v2
	s_delay_alu instid0(VALU_DEP_1)
	v_and_or_b32 v2, 0x80, v2, v3
	global_store_b8 v[0:1], v2, off
.LBB7_2001:
	s_mov_b32 s1, 0
	s_mov_b32 s3, -1
.LBB7_2002:
	s_and_not1_b32 vcc_lo, exec_lo, s1
	s_mov_b32 s1, 0
	s_cbranch_vccnz .LBB7_2009
; %bb.2003:
	v_cmp_gt_i16_e64 s1, s2, 14
	s_delay_alu instid0(VALU_DEP_1)
	s_and_b32 vcc_lo, exec_lo, s1
	s_mov_b32 s1, -1
	s_cbranch_vccz .LBB7_2007
; %bb.2004:
	v_cmp_eq_u16_e64 s0, s2, 15
	s_delay_alu instid0(VALU_DEP_1)
	s_and_b32 vcc_lo, exec_lo, s0
	s_mov_b32 s0, -1
	s_cbranch_vccz .LBB7_2006
; %bb.2005:
	v_cvt_f32_f64_e32 v2, v[4:5]
	s_mov_b32 s0, 0
	s_mov_b32 s3, -1
	s_delay_alu instid0(VALU_DEP_1) | instskip(SKIP_1) | instid1(VALU_DEP_2)
	v_bfe_u32 v3, v2, 16, 1
	v_cmp_o_f32_e32 vcc_lo, v2, v2
	v_add3_u32 v3, v2, v3, 0x7fff
	s_delay_alu instid0(VALU_DEP_1) | instskip(NEXT) | instid1(VALU_DEP_1)
	v_lshrrev_b32_e32 v3, 16, v3
	v_cndmask_b32_e32 v2, 0x7fc0, v3, vcc_lo
	global_store_b16 v[0:1], v2, off
.LBB7_2006:
	s_mov_b32 s1, 0
.LBB7_2007:
	s_delay_alu instid0(SALU_CYCLE_1)
	s_and_b32 vcc_lo, exec_lo, s1
	s_mov_b32 s1, 0
	s_cbranch_vccz .LBB7_2009
; %bb.2008:
	v_cmp_ne_u16_e64 s0, s2, 11
	s_mov_b32 s1, -1
.LBB7_2009:
	s_delay_alu instid0(VALU_DEP_1)
	s_and_b32 vcc_lo, exec_lo, s0
	s_cbranch_vccnz .LBB7_2066
; %bb.2010:
	s_and_not1_b32 vcc_lo, exec_lo, s1
	s_cbranch_vccnz .LBB7_2012
.LBB7_2011:
	v_cmp_neq_f64_e32 vcc_lo, 0, v[4:5]
	s_mov_b32 s3, -1
	v_cndmask_b32_e64 v2, 0, 1, vcc_lo
	global_store_b8 v[0:1], v2, off
.LBB7_2012:
	s_mov_b32 s0, 0
.LBB7_2013:
	s_delay_alu instid0(SALU_CYCLE_1)
	s_and_b32 vcc_lo, exec_lo, s0
	s_cbranch_vccz .LBB7_2052
; %bb.2014:
	v_cmp_lt_i16_e64 s0, s2, 5
	s_delay_alu instid0(VALU_DEP_1)
	s_and_b32 vcc_lo, exec_lo, s0
	s_mov_b32 s0, -1
	s_cbranch_vccnz .LBB7_2035
; %bb.2015:
	v_cmp_lt_i16_e64 s0, s2, 8
	s_delay_alu instid0(VALU_DEP_1)
	s_and_b32 vcc_lo, exec_lo, s0
	s_mov_b32 s0, -1
	s_cbranch_vccnz .LBB7_2025
	;; [unrolled: 6-line block ×3, first 2 shown]
; %bb.2017:
	v_cmp_gt_i16_e64 s0, s2, 9
	s_delay_alu instid0(VALU_DEP_1)
	s_and_b32 vcc_lo, exec_lo, s0
	s_mov_b32 s0, -1
	s_cbranch_vccz .LBB7_2019
; %bb.2018:
	v_mov_b32_e32 v6, 0
	s_mov_b32 s0, 0
	s_delay_alu instid0(VALU_DEP_1)
	v_mov_b32_e32 v7, v6
	global_store_b128 v[0:1], v[4:7], off
.LBB7_2019:
	s_and_not1_b32 vcc_lo, exec_lo, s0
	s_cbranch_vccnz .LBB7_2021
; %bb.2020:
	v_cvt_f32_f64_e32 v2, v[4:5]
	v_mov_b32_e32 v3, 0
	global_store_b64 v[0:1], v[2:3], off
.LBB7_2021:
	s_mov_b32 s0, 0
.LBB7_2022:
	s_delay_alu instid0(SALU_CYCLE_1)
	s_and_not1_b32 vcc_lo, exec_lo, s0
	s_cbranch_vccnz .LBB7_2024
; %bb.2023:
	v_cvt_f32_f64_e32 v2, v[4:5]
	s_delay_alu instid0(VALU_DEP_1) | instskip(NEXT) | instid1(VALU_DEP_1)
	v_cvt_f16_f32_e32 v2, v2
	v_and_b32_e32 v2, 0xffff, v2
	global_store_b32 v[0:1], v2, off
.LBB7_2024:
	s_mov_b32 s0, 0
.LBB7_2025:
	s_delay_alu instid0(SALU_CYCLE_1)
	s_and_not1_b32 vcc_lo, exec_lo, s0
	s_cbranch_vccnz .LBB7_2034
; %bb.2026:
	v_cmp_lt_i16_e64 s0, s2, 6
	s_delay_alu instid0(VALU_DEP_1)
	s_and_b32 vcc_lo, exec_lo, s0
	s_mov_b32 s0, -1
	s_cbranch_vccnz .LBB7_2032
; %bb.2027:
	v_cmp_gt_i16_e64 s0, s2, 6
	s_delay_alu instid0(VALU_DEP_1)
	s_and_b32 vcc_lo, exec_lo, s0
	s_mov_b32 s0, -1
	s_cbranch_vccz .LBB7_2029
; %bb.2028:
	s_mov_b32 s0, 0
	global_store_b64 v[0:1], v[4:5], off
.LBB7_2029:
	s_and_not1_b32 vcc_lo, exec_lo, s0
	s_cbranch_vccnz .LBB7_2031
; %bb.2030:
	v_cvt_f32_f64_e32 v2, v[4:5]
	global_store_b32 v[0:1], v2, off
.LBB7_2031:
	s_mov_b32 s0, 0
.LBB7_2032:
	s_delay_alu instid0(SALU_CYCLE_1)
	s_and_not1_b32 vcc_lo, exec_lo, s0
	s_cbranch_vccnz .LBB7_2034
; %bb.2033:
	v_cvt_f32_f64_e32 v2, v[4:5]
	s_delay_alu instid0(VALU_DEP_1)
	v_cvt_f16_f32_e32 v2, v2
	global_store_b16 v[0:1], v2, off
.LBB7_2034:
	s_mov_b32 s0, 0
.LBB7_2035:
	s_delay_alu instid0(SALU_CYCLE_1)
	s_and_not1_b32 vcc_lo, exec_lo, s0
	s_cbranch_vccnz .LBB7_2051
; %bb.2036:
	v_cmp_lt_i16_e64 s0, s2, 2
	s_delay_alu instid0(VALU_DEP_1)
	s_and_b32 vcc_lo, exec_lo, s0
	s_mov_b32 s0, -1
	s_cbranch_vccnz .LBB7_2046
; %bb.2037:
	v_cmp_lt_i16_e64 s0, s2, 3
	s_delay_alu instid0(VALU_DEP_1)
	s_and_b32 vcc_lo, exec_lo, s0
	s_mov_b32 s0, -1
	s_cbranch_vccnz .LBB7_2043
; %bb.2038:
	v_cmp_gt_i16_e64 s0, s2, 3
	s_delay_alu instid0(VALU_DEP_1)
	s_and_b32 vcc_lo, exec_lo, s0
	s_mov_b32 s0, -1
	s_cbranch_vccz .LBB7_2040
; %bb.2039:
	v_trunc_f64_e32 v[2:3], v[4:5]
	s_mov_b32 s0, 0
	s_delay_alu instid0(VALU_DEP_1) | instskip(NEXT) | instid1(VALU_DEP_1)
	v_ldexp_f64 v[6:7], v[2:3], 0xffffffe0
	v_floor_f64_e32 v[6:7], v[6:7]
	s_delay_alu instid0(VALU_DEP_1) | instskip(SKIP_1) | instid1(VALU_DEP_2)
	v_fma_f64 v[2:3], 0xc1f00000, v[6:7], v[2:3]
	v_cvt_i32_f64_e32 v7, v[6:7]
	v_cvt_u32_f64_e32 v6, v[2:3]
	global_store_b64 v[0:1], v[6:7], off
.LBB7_2040:
	s_and_not1_b32 vcc_lo, exec_lo, s0
	s_cbranch_vccnz .LBB7_2042
; %bb.2041:
	v_cvt_i32_f64_e32 v2, v[4:5]
	global_store_b32 v[0:1], v2, off
.LBB7_2042:
	s_mov_b32 s0, 0
.LBB7_2043:
	s_delay_alu instid0(SALU_CYCLE_1)
	s_and_not1_b32 vcc_lo, exec_lo, s0
	s_cbranch_vccnz .LBB7_2045
; %bb.2044:
	v_cvt_i32_f64_e32 v2, v[4:5]
	global_store_b16 v[0:1], v2, off
.LBB7_2045:
	s_mov_b32 s0, 0
.LBB7_2046:
	s_delay_alu instid0(SALU_CYCLE_1)
	s_and_not1_b32 vcc_lo, exec_lo, s0
	s_cbranch_vccnz .LBB7_2051
; %bb.2047:
	v_cmp_gt_i16_e64 s0, s2, 0
	s_delay_alu instid0(VALU_DEP_1)
	s_and_b32 vcc_lo, exec_lo, s0
	s_mov_b32 s0, -1
	s_cbranch_vccz .LBB7_2049
; %bb.2048:
	v_cvt_i32_f64_e32 v2, v[4:5]
	s_mov_b32 s0, 0
	global_store_b8 v[0:1], v2, off
.LBB7_2049:
	s_and_not1_b32 vcc_lo, exec_lo, s0
	s_cbranch_vccnz .LBB7_2051
; %bb.2050:
	v_trunc_f64_e32 v[2:3], v[4:5]
	s_delay_alu instid0(VALU_DEP_1) | instskip(NEXT) | instid1(VALU_DEP_1)
	v_ldexp_f64 v[4:5], v[2:3], 0xffffffe0
	v_floor_f64_e32 v[4:5], v[4:5]
	s_delay_alu instid0(VALU_DEP_1) | instskip(NEXT) | instid1(VALU_DEP_1)
	v_fma_f64 v[2:3], 0xc1f00000, v[4:5], v[2:3]
	v_cvt_u32_f64_e32 v2, v[2:3]
	global_store_b8 v[0:1], v2, off
.LBB7_2051:
	s_mov_b32 s3, -1
.LBB7_2052:
	s_delay_alu instid0(SALU_CYCLE_1)
	s_and_not1_b32 vcc_lo, exec_lo, s3
	s_cbranch_vccnz .LBB7_2190
; %bb.2053:
	v_cmp_lt_i16_e64 s0, s2, 11
	v_add_co_u32 v0, s1, s4, v12
	s_delay_alu instid0(VALU_DEP_1) | instskip(SKIP_1) | instid1(VALU_DEP_3)
	v_add_co_ci_u32_e64 v1, null, s5, 0, s1
	s_mov_b32 s3, 0
	s_and_b32 vcc_lo, exec_lo, s0
	s_mov_b32 s0, -1
	s_cbranch_vccnz .LBB7_2142
; %bb.2054:
	v_cmp_gt_i16_e64 s0, s2, 25
	s_mov_b32 s6, -1
	s_mov_b32 s1, 0
	s_delay_alu instid0(VALU_DEP_1)
	s_and_b32 vcc_lo, exec_lo, s0
	s_mov_b32 s0, 0
	s_cbranch_vccz .LBB7_2098
; %bb.2055:
	v_cmp_gt_i16_e64 s0, s2, 28
	s_delay_alu instid0(VALU_DEP_1)
	s_and_b32 vcc_lo, exec_lo, s0
	s_cbranch_vccz .LBB7_2060
; %bb.2056:
	v_cmp_gt_i16_e64 s0, s2, 43
	s_delay_alu instid0(VALU_DEP_1)
	s_and_b32 vcc_lo, exec_lo, s0
	;; [unrolled: 5-line block ×3, first 2 shown]
	s_cbranch_vccz .LBB7_2070
; %bb.2058:
	v_cmp_eq_u16_e64 s3, s2, 46
	s_mov_b32 s0, -1
	s_mov_b32 s6, 0
	s_delay_alu instid0(VALU_DEP_1)
	s_and_b32 vcc_lo, exec_lo, s3
	s_mov_b32 s3, 0
	s_cbranch_vccz .LBB7_2071
; %bb.2059:
	v_cvt_f32_f64_e32 v2, v[10:11]
	s_mov_b32 s0, 0
	s_mov_b32 s3, -1
	s_delay_alu instid0(VALU_DEP_1) | instskip(SKIP_1) | instid1(VALU_DEP_2)
	v_bfe_u32 v3, v2, 16, 1
	v_cmp_o_f32_e32 vcc_lo, v2, v2
	v_add3_u32 v3, v2, v3, 0x7fff
	s_delay_alu instid0(VALU_DEP_1) | instskip(NEXT) | instid1(VALU_DEP_1)
	v_lshrrev_b32_e32 v3, 16, v3
	v_cndmask_b32_e32 v2, 0x7fc0, v3, vcc_lo
	global_store_b32 v[0:1], v2, off
	s_branch .LBB7_2071
.LBB7_2060:
	s_mov_b32 s0, 0
	s_branch .LBB7_2081
.LBB7_2061:
	s_or_saveexec_b32 s7, s7
                                        ; implicit-def: $sgpr11
	s_delay_alu instid0(SALU_CYCLE_1)
	s_xor_b32 exec_lo, exec_lo, s7
	s_cbranch_execz .LBB7_1963
.LBB7_2062:
	v_add_f32_e64 v3, 0x46000000, |v2|
	s_and_not1_b32 s6, s6, exec_lo
	s_mov_b32 s11, 0
	s_delay_alu instid0(VALU_DEP_1) | instskip(NEXT) | instid1(VALU_DEP_1)
	v_and_b32_e32 v3, 0xff, v3
	v_cmp_ne_u32_e32 vcc_lo, 0, v3
	s_and_b32 s12, vcc_lo, exec_lo
	s_delay_alu instid0(SALU_CYCLE_1)
	s_or_b32 s6, s6, s12
	s_or_b32 exec_lo, exec_lo, s7
	v_mov_b32_e32 v6, s11
	s_and_saveexec_b32 s7, s6
	s_cbranch_execnz .LBB7_1964
	s_branch .LBB7_1965
.LBB7_2063:
	s_mov_b32 s0, 0
	s_branch .LBB7_2077
.LBB7_2064:
	s_trap 2
	s_sendmsg_rtn_b32 s0, sendmsg(MSG_RTN_GET_DOORBELL)
	s_mov_b32 ttmp2, m0
	s_waitcnt lgkmcnt(0)
	s_and_b32 s0, s0, 0x3ff
	s_delay_alu instid0(SALU_CYCLE_1) | instskip(NEXT) | instid1(SALU_CYCLE_1)
	s_bitset1_b32 s0, 10
	s_mov_b32 m0, s0
	s_sendmsg sendmsg(MSG_INTERRUPT)
	s_mov_b32 m0, ttmp2
.LBB7_2065:                             ; =>This Inner Loop Header: Depth=1
	s_sethalt 5
	s_branch .LBB7_2065
.LBB7_2066:
	s_cbranch_execnz .LBB7_2195
; %bb.2067:
	s_or_b32 s10, s10, exec_lo
	s_cbranch_execz .LBB7_2011
	s_branch .LBB7_2012
.LBB7_2068:
	s_or_saveexec_b32 s6, s6
                                        ; implicit-def: $sgpr7
	s_delay_alu instid0(SALU_CYCLE_1)
	s_xor_b32 exec_lo, exec_lo, s6
	s_cbranch_execz .LBB7_1976
.LBB7_2069:
	v_add_f32_e64 v3, 0x42800000, |v2|
	s_and_not1_b32 s3, s3, exec_lo
	s_mov_b32 s7, 0
	s_delay_alu instid0(VALU_DEP_1) | instskip(NEXT) | instid1(VALU_DEP_1)
	v_and_b32_e32 v3, 0xff, v3
	v_cmp_ne_u32_e32 vcc_lo, 0, v3
	s_and_b32 s11, vcc_lo, exec_lo
	s_delay_alu instid0(SALU_CYCLE_1)
	s_or_b32 s3, s3, s11
	s_or_b32 exec_lo, exec_lo, s6
	v_mov_b32_e32 v6, s7
	s_and_saveexec_b32 s6, s3
	s_cbranch_execnz .LBB7_1977
	s_branch .LBB7_1978
.LBB7_2070:
	s_mov_b32 s0, 0
.LBB7_2071:
	s_and_b32 vcc_lo, exec_lo, s6
	s_cbranch_vccz .LBB7_2076
; %bb.2072:
	v_cmp_eq_u16_e64 s0, s2, 44
	s_delay_alu instid0(VALU_DEP_1)
	s_and_b32 vcc_lo, exec_lo, s0
	s_mov_b32 s0, -1
	s_cbranch_vccz .LBB7_2076
; %bb.2073:
	v_cvt_f32_f64_e32 v2, v[10:11]
	v_mov_b32_e32 v3, 0xff
	s_mov_b32 s3, exec_lo
	s_delay_alu instid0(VALU_DEP_2) | instskip(NEXT) | instid1(VALU_DEP_1)
	v_bfe_u32 v4, v2, 23, 8
	v_cmpx_ne_u32_e32 0xff, v4
; %bb.2074:
	v_and_b32_e32 v3, 0x400000, v2
	v_and_or_b32 v4, 0x3fffff, v2, v4
	v_lshrrev_b32_e32 v2, 23, v2
	s_delay_alu instid0(VALU_DEP_3) | instskip(NEXT) | instid1(VALU_DEP_3)
	v_cmp_ne_u32_e32 vcc_lo, 0, v3
	v_cmp_ne_u32_e64 s0, 0, v4
	s_delay_alu instid0(VALU_DEP_1) | instskip(NEXT) | instid1(SALU_CYCLE_1)
	s_and_b32 s0, vcc_lo, s0
	v_cndmask_b32_e64 v3, 0, 1, s0
	s_delay_alu instid0(VALU_DEP_1)
	v_add_nc_u32_e32 v3, v2, v3
; %bb.2075:
	s_or_b32 exec_lo, exec_lo, s3
	s_mov_b32 s0, 0
	s_mov_b32 s3, -1
	global_store_b8 v[0:1], v3, off
.LBB7_2076:
	s_mov_b32 s6, 0
.LBB7_2077:
	s_delay_alu instid0(SALU_CYCLE_1)
	s_and_b32 vcc_lo, exec_lo, s6
	s_cbranch_vccz .LBB7_2080
; %bb.2078:
	v_cmp_eq_u16_e64 s0, s2, 29
	s_delay_alu instid0(VALU_DEP_1)
	s_and_b32 vcc_lo, exec_lo, s0
	s_mov_b32 s0, -1
	s_cbranch_vccz .LBB7_2080
; %bb.2079:
	v_trunc_f64_e32 v[2:3], v[10:11]
	s_mov_b32 s0, 0
	s_mov_b32 s3, -1
	s_mov_b32 s6, 0
	s_delay_alu instid0(VALU_DEP_1) | instskip(NEXT) | instid1(VALU_DEP_1)
	v_ldexp_f64 v[4:5], v[2:3], 0xffffffe0
	v_floor_f64_e32 v[4:5], v[4:5]
	s_delay_alu instid0(VALU_DEP_1) | instskip(SKIP_1) | instid1(VALU_DEP_2)
	v_fma_f64 v[2:3], 0xc1f00000, v[4:5], v[2:3]
	v_cvt_u32_f64_e32 v4, v[4:5]
	v_cvt_u32_f64_e32 v3, v[2:3]
	global_store_b64 v[0:1], v[3:4], off
	s_branch .LBB7_2081
.LBB7_2080:
	s_mov_b32 s6, 0
.LBB7_2081:
	s_delay_alu instid0(SALU_CYCLE_1)
	s_and_b32 vcc_lo, exec_lo, s6
	s_cbranch_vccz .LBB7_2097
; %bb.2082:
	v_cmp_lt_i16_e64 s3, s2, 27
	s_delay_alu instid0(VALU_DEP_1)
	s_and_b32 vcc_lo, exec_lo, s3
	s_mov_b32 s3, -1
	s_cbranch_vccnz .LBB7_2088
; %bb.2083:
	v_cvt_u32_f64_e32 v2, v[10:11]
	v_cmp_gt_i16_e64 s3, s2, 27
	s_delay_alu instid0(VALU_DEP_1)
	s_and_b32 vcc_lo, exec_lo, s3
	s_mov_b32 s3, -1
	s_cbranch_vccz .LBB7_2085
; %bb.2084:
	s_mov_b32 s3, 0
	global_store_b32 v[0:1], v2, off
.LBB7_2085:
	s_and_not1_b32 vcc_lo, exec_lo, s3
	s_cbranch_vccnz .LBB7_2087
; %bb.2086:
	global_store_b16 v[0:1], v2, off
.LBB7_2087:
	s_mov_b32 s3, 0
.LBB7_2088:
	s_delay_alu instid0(SALU_CYCLE_1)
	s_and_not1_b32 vcc_lo, exec_lo, s3
	s_cbranch_vccnz .LBB7_2096
; %bb.2089:
	v_cvt_f32_f64_e32 v2, v[10:11]
	v_mov_b32_e32 v4, 0x80
	s_mov_b32 s3, exec_lo
	s_delay_alu instid0(VALU_DEP_2) | instskip(NEXT) | instid1(VALU_DEP_1)
	v_and_b32_e32 v3, 0x7fffffff, v2
	v_cmpx_gt_u32_e32 0x43800000, v3
	s_cbranch_execz .LBB7_2095
; %bb.2090:
	v_cmp_lt_u32_e32 vcc_lo, 0x3bffffff, v3
	s_mov_b32 s6, 0
                                        ; implicit-def: $vgpr3
	s_and_saveexec_b32 s7, vcc_lo
	s_delay_alu instid0(SALU_CYCLE_1)
	s_xor_b32 s7, exec_lo, s7
	s_cbranch_execz .LBB7_2192
; %bb.2091:
	v_bfe_u32 v3, v2, 20, 1
	s_mov_b32 s6, exec_lo
	s_delay_alu instid0(VALU_DEP_1) | instskip(NEXT) | instid1(VALU_DEP_1)
	v_add3_u32 v3, v2, v3, 0x487ffff
	v_lshrrev_b32_e32 v3, 20, v3
	s_or_saveexec_b32 s7, s7
                                        ; implicit-def: $sgpr11
	s_delay_alu instid0(SALU_CYCLE_1)
	s_xor_b32 exec_lo, exec_lo, s7
	s_cbranch_execnz .LBB7_2193
.LBB7_2092:
	s_or_b32 exec_lo, exec_lo, s7
	v_mov_b32_e32 v4, s11
	s_and_saveexec_b32 s7, s6
.LBB7_2093:
	v_lshrrev_b32_e32 v2, 24, v2
	s_delay_alu instid0(VALU_DEP_1)
	v_and_or_b32 v4, 0x80, v2, v3
.LBB7_2094:
	s_or_b32 exec_lo, exec_lo, s7
.LBB7_2095:
	s_delay_alu instid0(SALU_CYCLE_1)
	s_or_b32 exec_lo, exec_lo, s3
	global_store_b8 v[0:1], v4, off
.LBB7_2096:
	s_mov_b32 s3, -1
.LBB7_2097:
	s_mov_b32 s6, 0
.LBB7_2098:
	s_delay_alu instid0(SALU_CYCLE_1)
	s_and_b32 vcc_lo, exec_lo, s6
	s_cbranch_vccz .LBB7_2138
; %bb.2099:
	v_cmp_gt_i16_e64 s1, s2, 22
	s_delay_alu instid0(VALU_DEP_1)
	s_and_b32 vcc_lo, exec_lo, s1
	s_mov_b32 s1, -1
	s_cbranch_vccz .LBB7_2131
; %bb.2100:
	v_cmp_lt_i16_e64 s1, s2, 24
	s_delay_alu instid0(VALU_DEP_1)
	s_and_b32 vcc_lo, exec_lo, s1
	s_mov_b32 s1, -1
	s_cbranch_vccnz .LBB7_2120
; %bb.2101:
	v_cmp_gt_i16_e64 s1, s2, 24
	s_delay_alu instid0(VALU_DEP_1)
	s_and_b32 vcc_lo, exec_lo, s1
	s_mov_b32 s1, -1
	s_cbranch_vccz .LBB7_2109
; %bb.2102:
	v_cvt_f32_f64_e32 v2, v[10:11]
	v_mov_b32_e32 v4, 0x80
	s_mov_b32 s1, exec_lo
	s_delay_alu instid0(VALU_DEP_2) | instskip(NEXT) | instid1(VALU_DEP_1)
	v_and_b32_e32 v3, 0x7fffffff, v2
	v_cmpx_gt_u32_e32 0x47800000, v3
	s_cbranch_execz .LBB7_2108
; %bb.2103:
	v_cmp_lt_u32_e32 vcc_lo, 0x37ffffff, v3
	s_mov_b32 s3, 0
                                        ; implicit-def: $vgpr3
	s_and_saveexec_b32 s6, vcc_lo
	s_delay_alu instid0(SALU_CYCLE_1)
	s_xor_b32 s6, exec_lo, s6
	s_cbranch_execz .LBB7_2199
; %bb.2104:
	v_bfe_u32 v3, v2, 21, 1
	s_mov_b32 s3, exec_lo
	s_delay_alu instid0(VALU_DEP_1) | instskip(NEXT) | instid1(VALU_DEP_1)
	v_add3_u32 v3, v2, v3, 0x88fffff
	v_lshrrev_b32_e32 v3, 21, v3
	s_or_saveexec_b32 s6, s6
                                        ; implicit-def: $sgpr7
	s_delay_alu instid0(SALU_CYCLE_1)
	s_xor_b32 exec_lo, exec_lo, s6
	s_cbranch_execnz .LBB7_2200
.LBB7_2105:
	s_or_b32 exec_lo, exec_lo, s6
	v_mov_b32_e32 v4, s7
	s_and_saveexec_b32 s6, s3
.LBB7_2106:
	v_lshrrev_b32_e32 v2, 24, v2
	s_delay_alu instid0(VALU_DEP_1)
	v_and_or_b32 v4, 0x80, v2, v3
.LBB7_2107:
	s_or_b32 exec_lo, exec_lo, s6
.LBB7_2108:
	s_delay_alu instid0(SALU_CYCLE_1)
	s_or_b32 exec_lo, exec_lo, s1
	s_mov_b32 s1, 0
	global_store_b8 v[0:1], v4, off
.LBB7_2109:
	s_and_b32 vcc_lo, exec_lo, s1
	s_cbranch_vccz .LBB7_2119
; %bb.2110:
	v_cvt_f32_f64_e32 v2, v[10:11]
	s_mov_b32 s1, exec_lo
                                        ; implicit-def: $vgpr3
	s_delay_alu instid0(VALU_DEP_1) | instskip(NEXT) | instid1(VALU_DEP_1)
	v_and_b32_e32 v4, 0x7fffffff, v2
	v_cmpx_gt_u32_e32 0x43f00000, v4
	s_xor_b32 s1, exec_lo, s1
	s_cbranch_execz .LBB7_2116
; %bb.2111:
	s_mov_b32 s3, exec_lo
                                        ; implicit-def: $vgpr3
	v_cmpx_lt_u32_e32 0x3c7fffff, v4
	s_xor_b32 s3, exec_lo, s3
; %bb.2112:
	v_bfe_u32 v3, v2, 20, 1
	s_delay_alu instid0(VALU_DEP_1) | instskip(NEXT) | instid1(VALU_DEP_1)
	v_add3_u32 v3, v2, v3, 0x407ffff
	v_and_b32_e32 v4, 0xff00000, v3
	v_lshrrev_b32_e32 v3, 20, v3
	s_delay_alu instid0(VALU_DEP_2) | instskip(NEXT) | instid1(VALU_DEP_2)
	v_cmp_ne_u32_e32 vcc_lo, 0x7f00000, v4
	v_cndmask_b32_e32 v3, 0x7e, v3, vcc_lo
; %bb.2113:
	s_and_not1_saveexec_b32 s3, s3
; %bb.2114:
	v_add_f32_e64 v3, 0x46800000, |v2|
; %bb.2115:
	s_or_b32 exec_lo, exec_lo, s3
                                        ; implicit-def: $vgpr4
.LBB7_2116:
	s_and_not1_saveexec_b32 s1, s1
; %bb.2117:
	v_mov_b32_e32 v3, 0x7f
	v_cmp_lt_u32_e32 vcc_lo, 0x7f800000, v4
	s_delay_alu instid0(VALU_DEP_2)
	v_cndmask_b32_e32 v3, 0x7e, v3, vcc_lo
; %bb.2118:
	s_or_b32 exec_lo, exec_lo, s1
	v_lshrrev_b32_e32 v2, 24, v2
	s_delay_alu instid0(VALU_DEP_1)
	v_and_or_b32 v2, 0x80, v2, v3
	global_store_b8 v[0:1], v2, off
.LBB7_2119:
	s_mov_b32 s1, 0
.LBB7_2120:
	s_delay_alu instid0(SALU_CYCLE_1)
	s_and_not1_b32 vcc_lo, exec_lo, s1
	s_cbranch_vccnz .LBB7_2130
; %bb.2121:
	v_cvt_f32_f64_e32 v2, v[10:11]
	s_mov_b32 s1, exec_lo
                                        ; implicit-def: $vgpr3
	s_delay_alu instid0(VALU_DEP_1) | instskip(NEXT) | instid1(VALU_DEP_1)
	v_and_b32_e32 v4, 0x7fffffff, v2
	v_cmpx_gt_u32_e32 0x47800000, v4
	s_xor_b32 s1, exec_lo, s1
	s_cbranch_execz .LBB7_2127
; %bb.2122:
	s_mov_b32 s3, exec_lo
                                        ; implicit-def: $vgpr3
	v_cmpx_lt_u32_e32 0x387fffff, v4
	s_xor_b32 s3, exec_lo, s3
; %bb.2123:
	v_bfe_u32 v3, v2, 21, 1
	s_delay_alu instid0(VALU_DEP_1) | instskip(NEXT) | instid1(VALU_DEP_1)
	v_add3_u32 v3, v2, v3, 0x80fffff
	v_lshrrev_b32_e32 v3, 21, v3
; %bb.2124:
	s_and_not1_saveexec_b32 s3, s3
; %bb.2125:
	v_add_f32_e64 v3, 0x43000000, |v2|
; %bb.2126:
	s_or_b32 exec_lo, exec_lo, s3
                                        ; implicit-def: $vgpr4
.LBB7_2127:
	s_and_not1_saveexec_b32 s1, s1
; %bb.2128:
	v_mov_b32_e32 v3, 0x7f
	v_cmp_lt_u32_e32 vcc_lo, 0x7f800000, v4
	s_delay_alu instid0(VALU_DEP_2)
	v_cndmask_b32_e32 v3, 0x7c, v3, vcc_lo
; %bb.2129:
	s_or_b32 exec_lo, exec_lo, s1
	v_lshrrev_b32_e32 v2, 24, v2
	s_delay_alu instid0(VALU_DEP_1)
	v_and_or_b32 v2, 0x80, v2, v3
	global_store_b8 v[0:1], v2, off
.LBB7_2130:
	s_mov_b32 s1, 0
	s_mov_b32 s3, -1
.LBB7_2131:
	s_and_not1_b32 vcc_lo, exec_lo, s1
	s_mov_b32 s1, 0
	s_cbranch_vccnz .LBB7_2138
; %bb.2132:
	v_cmp_gt_i16_e64 s1, s2, 14
	s_delay_alu instid0(VALU_DEP_1)
	s_and_b32 vcc_lo, exec_lo, s1
	s_mov_b32 s1, -1
	s_cbranch_vccz .LBB7_2136
; %bb.2133:
	v_cmp_eq_u16_e64 s0, s2, 15
	s_delay_alu instid0(VALU_DEP_1)
	s_and_b32 vcc_lo, exec_lo, s0
	s_mov_b32 s0, -1
	s_cbranch_vccz .LBB7_2135
; %bb.2134:
	v_cvt_f32_f64_e32 v2, v[10:11]
	s_mov_b32 s0, 0
	s_mov_b32 s3, -1
	s_delay_alu instid0(VALU_DEP_1) | instskip(SKIP_1) | instid1(VALU_DEP_2)
	v_bfe_u32 v3, v2, 16, 1
	v_cmp_o_f32_e32 vcc_lo, v2, v2
	v_add3_u32 v3, v2, v3, 0x7fff
	s_delay_alu instid0(VALU_DEP_1) | instskip(NEXT) | instid1(VALU_DEP_1)
	v_lshrrev_b32_e32 v3, 16, v3
	v_cndmask_b32_e32 v2, 0x7fc0, v3, vcc_lo
	global_store_b16 v[0:1], v2, off
.LBB7_2135:
	s_mov_b32 s1, 0
.LBB7_2136:
	s_delay_alu instid0(SALU_CYCLE_1)
	s_and_b32 vcc_lo, exec_lo, s1
	s_mov_b32 s1, 0
	s_cbranch_vccz .LBB7_2138
; %bb.2137:
	v_cmp_ne_u16_e64 s0, s2, 11
	s_mov_b32 s1, -1
.LBB7_2138:
	s_delay_alu instid0(VALU_DEP_1)
	s_and_b32 vcc_lo, exec_lo, s0
	s_cbranch_vccnz .LBB7_2197
; %bb.2139:
	s_and_not1_b32 vcc_lo, exec_lo, s1
	s_cbranch_vccnz .LBB7_2141
.LBB7_2140:
	v_cmp_neq_f64_e32 vcc_lo, 0, v[10:11]
	s_mov_b32 s3, -1
	v_cndmask_b32_e64 v2, 0, 1, vcc_lo
	global_store_b8 v[0:1], v2, off
.LBB7_2141:
	s_mov_b32 s0, 0
.LBB7_2142:
	s_delay_alu instid0(SALU_CYCLE_1)
	s_and_b32 vcc_lo, exec_lo, s0
	s_cbranch_vccz .LBB7_2181
; %bb.2143:
	v_cmp_lt_i16_e64 s0, s2, 5
	s_delay_alu instid0(VALU_DEP_1)
	s_and_b32 vcc_lo, exec_lo, s0
	s_mov_b32 s0, -1
	s_cbranch_vccnz .LBB7_2164
; %bb.2144:
	v_cmp_lt_i16_e64 s0, s2, 8
	s_delay_alu instid0(VALU_DEP_1)
	s_and_b32 vcc_lo, exec_lo, s0
	s_mov_b32 s0, -1
	s_cbranch_vccnz .LBB7_2154
; %bb.2145:
	v_cmp_lt_i16_e64 s0, s2, 9
	s_delay_alu instid0(VALU_DEP_1)
	s_and_b32 vcc_lo, exec_lo, s0
	s_mov_b32 s0, -1
	s_cbranch_vccnz .LBB7_2151
; %bb.2146:
	v_cmp_gt_i16_e64 s0, s2, 9
	s_delay_alu instid0(VALU_DEP_1)
	s_and_b32 vcc_lo, exec_lo, s0
	s_mov_b32 s0, -1
	s_cbranch_vccz .LBB7_2148
; %bb.2147:
	v_mov_b32_e32 v12, 0
	s_mov_b32 s0, 0
	s_delay_alu instid0(VALU_DEP_1)
	v_mov_b32_e32 v13, v12
	global_store_b128 v[0:1], v[10:13], off
.LBB7_2148:
	s_and_not1_b32 vcc_lo, exec_lo, s0
	s_cbranch_vccnz .LBB7_2150
; %bb.2149:
	v_cvt_f32_f64_e32 v2, v[10:11]
	v_mov_b32_e32 v3, 0
	global_store_b64 v[0:1], v[2:3], off
.LBB7_2150:
	s_mov_b32 s0, 0
.LBB7_2151:
	s_delay_alu instid0(SALU_CYCLE_1)
	s_and_not1_b32 vcc_lo, exec_lo, s0
	s_cbranch_vccnz .LBB7_2153
; %bb.2152:
	v_cvt_f32_f64_e32 v2, v[10:11]
	s_delay_alu instid0(VALU_DEP_1) | instskip(NEXT) | instid1(VALU_DEP_1)
	v_cvt_f16_f32_e32 v2, v2
	v_and_b32_e32 v2, 0xffff, v2
	global_store_b32 v[0:1], v2, off
.LBB7_2153:
	s_mov_b32 s0, 0
.LBB7_2154:
	s_delay_alu instid0(SALU_CYCLE_1)
	s_and_not1_b32 vcc_lo, exec_lo, s0
	s_cbranch_vccnz .LBB7_2163
; %bb.2155:
	v_cmp_lt_i16_e64 s0, s2, 6
	s_delay_alu instid0(VALU_DEP_1)
	s_and_b32 vcc_lo, exec_lo, s0
	s_mov_b32 s0, -1
	s_cbranch_vccnz .LBB7_2161
; %bb.2156:
	v_cmp_gt_i16_e64 s0, s2, 6
	s_delay_alu instid0(VALU_DEP_1)
	s_and_b32 vcc_lo, exec_lo, s0
	s_mov_b32 s0, -1
	s_cbranch_vccz .LBB7_2158
; %bb.2157:
	s_mov_b32 s0, 0
	global_store_b64 v[0:1], v[10:11], off
.LBB7_2158:
	s_and_not1_b32 vcc_lo, exec_lo, s0
	s_cbranch_vccnz .LBB7_2160
; %bb.2159:
	v_cvt_f32_f64_e32 v2, v[10:11]
	global_store_b32 v[0:1], v2, off
.LBB7_2160:
	s_mov_b32 s0, 0
.LBB7_2161:
	s_delay_alu instid0(SALU_CYCLE_1)
	s_and_not1_b32 vcc_lo, exec_lo, s0
	s_cbranch_vccnz .LBB7_2163
; %bb.2162:
	v_cvt_f32_f64_e32 v2, v[10:11]
	s_delay_alu instid0(VALU_DEP_1)
	v_cvt_f16_f32_e32 v2, v2
	global_store_b16 v[0:1], v2, off
.LBB7_2163:
	s_mov_b32 s0, 0
.LBB7_2164:
	s_delay_alu instid0(SALU_CYCLE_1)
	s_and_not1_b32 vcc_lo, exec_lo, s0
	s_cbranch_vccnz .LBB7_2180
; %bb.2165:
	v_cmp_lt_i16_e64 s0, s2, 2
	s_delay_alu instid0(VALU_DEP_1)
	s_and_b32 vcc_lo, exec_lo, s0
	s_mov_b32 s0, -1
	s_cbranch_vccnz .LBB7_2175
; %bb.2166:
	v_cmp_lt_i16_e64 s0, s2, 3
	s_delay_alu instid0(VALU_DEP_1)
	s_and_b32 vcc_lo, exec_lo, s0
	s_mov_b32 s0, -1
	s_cbranch_vccnz .LBB7_2172
; %bb.2167:
	v_cmp_gt_i16_e64 s0, s2, 3
	s_delay_alu instid0(VALU_DEP_1)
	s_and_b32 vcc_lo, exec_lo, s0
	s_mov_b32 s0, -1
	s_cbranch_vccz .LBB7_2169
; %bb.2168:
	v_trunc_f64_e32 v[2:3], v[10:11]
	s_mov_b32 s0, 0
	s_delay_alu instid0(VALU_DEP_1) | instskip(NEXT) | instid1(VALU_DEP_1)
	v_ldexp_f64 v[4:5], v[2:3], 0xffffffe0
	v_floor_f64_e32 v[4:5], v[4:5]
	s_delay_alu instid0(VALU_DEP_1) | instskip(SKIP_1) | instid1(VALU_DEP_2)
	v_fma_f64 v[2:3], 0xc1f00000, v[4:5], v[2:3]
	v_cvt_i32_f64_e32 v4, v[4:5]
	v_cvt_u32_f64_e32 v3, v[2:3]
	global_store_b64 v[0:1], v[3:4], off
.LBB7_2169:
	s_and_not1_b32 vcc_lo, exec_lo, s0
	s_cbranch_vccnz .LBB7_2171
; %bb.2170:
	v_cvt_i32_f64_e32 v2, v[10:11]
	global_store_b32 v[0:1], v2, off
.LBB7_2171:
	s_mov_b32 s0, 0
.LBB7_2172:
	s_delay_alu instid0(SALU_CYCLE_1)
	s_and_not1_b32 vcc_lo, exec_lo, s0
	s_cbranch_vccnz .LBB7_2174
; %bb.2173:
	v_cvt_i32_f64_e32 v2, v[10:11]
	global_store_b16 v[0:1], v2, off
.LBB7_2174:
	s_mov_b32 s0, 0
.LBB7_2175:
	s_delay_alu instid0(SALU_CYCLE_1)
	s_and_not1_b32 vcc_lo, exec_lo, s0
	s_cbranch_vccnz .LBB7_2180
; %bb.2176:
	v_cmp_gt_i16_e64 s0, s2, 0
	s_delay_alu instid0(VALU_DEP_1)
	s_and_b32 vcc_lo, exec_lo, s0
	s_mov_b32 s0, -1
	s_cbranch_vccz .LBB7_2178
; %bb.2177:
	v_cvt_i32_f64_e32 v2, v[10:11]
	s_mov_b32 s0, 0
	global_store_b8 v[0:1], v2, off
.LBB7_2178:
	s_and_not1_b32 vcc_lo, exec_lo, s0
	s_cbranch_vccnz .LBB7_2180
; %bb.2179:
	v_trunc_f64_e32 v[2:3], v[10:11]
	s_delay_alu instid0(VALU_DEP_1) | instskip(NEXT) | instid1(VALU_DEP_1)
	v_ldexp_f64 v[4:5], v[2:3], 0xffffffe0
	v_floor_f64_e32 v[4:5], v[4:5]
	s_delay_alu instid0(VALU_DEP_1) | instskip(NEXT) | instid1(VALU_DEP_1)
	v_fma_f64 v[2:3], 0xc1f00000, v[4:5], v[2:3]
	v_cvt_u32_f64_e32 v2, v[2:3]
	global_store_b8 v[0:1], v2, off
.LBB7_2180:
	s_mov_b32 s3, -1
.LBB7_2181:
	s_delay_alu instid0(SALU_CYCLE_1)
	s_and_not1_b32 vcc_lo, exec_lo, s3
	s_cbranch_vccnz .LBB7_2190
; %bb.2182:
	v_cmp_lt_i16_e64 s0, s2, 11
	v_add_co_u32 v0, s3, s4, v14
	s_delay_alu instid0(VALU_DEP_1) | instskip(SKIP_1) | instid1(VALU_DEP_3)
	v_add_co_ci_u32_e64 v1, null, s5, 0, s3
	s_mov_b32 s1, 0
	s_and_b32 vcc_lo, exec_lo, s0
	s_mov_b32 s0, -1
	s_cbranch_vccnz .LBB7_1764
; %bb.2183:
	v_cmp_gt_i16_e64 s0, s2, 25
	s_mov_b32 s3, -1
	s_delay_alu instid0(VALU_DEP_1)
	s_and_b32 vcc_lo, exec_lo, s0
	s_mov_b32 s0, 0
	s_cbranch_vccz .LBB7_2228
; %bb.2184:
	v_cmp_gt_i16_e64 s0, s2, 28
	s_delay_alu instid0(VALU_DEP_1)
	s_and_b32 vcc_lo, exec_lo, s0
	s_cbranch_vccz .LBB7_2191
; %bb.2185:
	v_cmp_gt_i16_e64 s0, s2, 43
	s_delay_alu instid0(VALU_DEP_1)
	s_and_b32 vcc_lo, exec_lo, s0
	;; [unrolled: 5-line block ×3, first 2 shown]
	s_cbranch_vccz .LBB7_2201
; %bb.2187:
	v_cmp_eq_u16_e64 s0, s2, 46
	s_delay_alu instid0(VALU_DEP_1)
	s_and_b32 vcc_lo, exec_lo, s0
	s_mov_b32 s0, -1
	s_cbranch_vccz .LBB7_2189
; %bb.2188:
	v_cvt_f32_f64_e32 v2, v[8:9]
	s_mov_b32 s0, 0
	s_delay_alu instid0(VALU_DEP_1) | instskip(SKIP_1) | instid1(VALU_DEP_2)
	v_bfe_u32 v3, v2, 16, 1
	v_cmp_o_f32_e32 vcc_lo, v2, v2
	v_add3_u32 v3, v2, v3, 0x7fff
	s_delay_alu instid0(VALU_DEP_1) | instskip(NEXT) | instid1(VALU_DEP_1)
	v_lshrrev_b32_e32 v3, 16, v3
	v_cndmask_b32_e32 v2, 0x7fc0, v3, vcc_lo
	global_store_b32 v[0:1], v2, off
.LBB7_2189:
	s_mov_b32 s3, 0
	s_branch .LBB7_2202
.LBB7_2190:
	s_mov_b32 s0, 0
	s_mov_b32 s1, 0
                                        ; implicit-def: $vgpr0_vgpr1
                                        ; implicit-def: $sgpr2
	s_branch .LBB7_1764
.LBB7_2191:
	s_mov_b32 s0, 0
	s_branch .LBB7_2212
.LBB7_2192:
	s_or_saveexec_b32 s7, s7
                                        ; implicit-def: $sgpr11
	s_delay_alu instid0(SALU_CYCLE_1)
	s_xor_b32 exec_lo, exec_lo, s7
	s_cbranch_execz .LBB7_2092
.LBB7_2193:
	v_add_f32_e64 v3, 0x46000000, |v2|
	s_and_not1_b32 s6, s6, exec_lo
	s_mov_b32 s11, 0
	s_delay_alu instid0(VALU_DEP_1) | instskip(NEXT) | instid1(VALU_DEP_1)
	v_and_b32_e32 v3, 0xff, v3
	v_cmp_ne_u32_e32 vcc_lo, 0, v3
	s_and_b32 s12, vcc_lo, exec_lo
	s_delay_alu instid0(SALU_CYCLE_1)
	s_or_b32 s6, s6, s12
	s_or_b32 exec_lo, exec_lo, s7
	v_mov_b32_e32 v4, s11
	s_and_saveexec_b32 s7, s6
	s_cbranch_execnz .LBB7_2093
	s_branch .LBB7_2094
.LBB7_2194:
	s_mov_b32 s0, 0
	s_branch .LBB7_2208
.LBB7_2195:
	s_trap 2
	s_sendmsg_rtn_b32 s0, sendmsg(MSG_RTN_GET_DOORBELL)
	s_mov_b32 ttmp2, m0
	s_waitcnt lgkmcnt(0)
	s_and_b32 s0, s0, 0x3ff
	s_delay_alu instid0(SALU_CYCLE_1) | instskip(NEXT) | instid1(SALU_CYCLE_1)
	s_bitset1_b32 s0, 10
	s_mov_b32 m0, s0
	s_sendmsg sendmsg(MSG_INTERRUPT)
	s_mov_b32 m0, ttmp2
.LBB7_2196:                             ; =>This Inner Loop Header: Depth=1
	s_sethalt 5
	s_branch .LBB7_2196
.LBB7_2197:
	s_cbranch_execnz .LBB7_2272
; %bb.2198:
	s_or_b32 s10, s10, exec_lo
	s_cbranch_execz .LBB7_2140
	s_branch .LBB7_2141
.LBB7_2199:
	s_or_saveexec_b32 s6, s6
                                        ; implicit-def: $sgpr7
	s_delay_alu instid0(SALU_CYCLE_1)
	s_xor_b32 exec_lo, exec_lo, s6
	s_cbranch_execz .LBB7_2105
.LBB7_2200:
	v_add_f32_e64 v3, 0x42800000, |v2|
	s_and_not1_b32 s3, s3, exec_lo
	s_mov_b32 s7, 0
	s_delay_alu instid0(VALU_DEP_1) | instskip(NEXT) | instid1(VALU_DEP_1)
	v_and_b32_e32 v3, 0xff, v3
	v_cmp_ne_u32_e32 vcc_lo, 0, v3
	s_and_b32 s11, vcc_lo, exec_lo
	s_delay_alu instid0(SALU_CYCLE_1)
	s_or_b32 s3, s3, s11
	s_or_b32 exec_lo, exec_lo, s6
	v_mov_b32_e32 v4, s7
	s_and_saveexec_b32 s6, s3
	s_cbranch_execnz .LBB7_2106
	s_branch .LBB7_2107
.LBB7_2201:
	s_mov_b32 s0, 0
.LBB7_2202:
	s_and_b32 vcc_lo, exec_lo, s3
	s_cbranch_vccz .LBB7_2207
; %bb.2203:
	v_cmp_eq_u16_e64 s0, s2, 44
	s_delay_alu instid0(VALU_DEP_1)
	s_and_b32 vcc_lo, exec_lo, s0
	s_mov_b32 s0, -1
	s_cbranch_vccz .LBB7_2207
; %bb.2204:
	v_cvt_f32_f64_e32 v2, v[8:9]
	v_mov_b32_e32 v3, 0xff
	s_mov_b32 s3, exec_lo
	s_delay_alu instid0(VALU_DEP_2) | instskip(NEXT) | instid1(VALU_DEP_1)
	v_bfe_u32 v4, v2, 23, 8
	v_cmpx_ne_u32_e32 0xff, v4
; %bb.2205:
	v_and_b32_e32 v3, 0x400000, v2
	v_and_or_b32 v4, 0x3fffff, v2, v4
	v_lshrrev_b32_e32 v2, 23, v2
	s_delay_alu instid0(VALU_DEP_3) | instskip(NEXT) | instid1(VALU_DEP_3)
	v_cmp_ne_u32_e32 vcc_lo, 0, v3
	v_cmp_ne_u32_e64 s0, 0, v4
	s_delay_alu instid0(VALU_DEP_1) | instskip(NEXT) | instid1(SALU_CYCLE_1)
	s_and_b32 s0, vcc_lo, s0
	v_cndmask_b32_e64 v3, 0, 1, s0
	s_delay_alu instid0(VALU_DEP_1)
	v_add_nc_u32_e32 v3, v2, v3
; %bb.2206:
	s_or_b32 exec_lo, exec_lo, s3
	s_mov_b32 s0, 0
	global_store_b8 v[0:1], v3, off
.LBB7_2207:
	s_mov_b32 s3, 0
.LBB7_2208:
	s_delay_alu instid0(SALU_CYCLE_1)
	s_and_b32 vcc_lo, exec_lo, s3
	s_cbranch_vccz .LBB7_2211
; %bb.2209:
	v_cmp_eq_u16_e64 s0, s2, 29
	s_delay_alu instid0(VALU_DEP_1)
	s_and_b32 vcc_lo, exec_lo, s0
	s_mov_b32 s0, -1
	s_cbranch_vccz .LBB7_2211
; %bb.2210:
	v_trunc_f64_e32 v[2:3], v[8:9]
	s_mov_b32 s0, 0
	s_delay_alu instid0(VALU_DEP_1) | instskip(NEXT) | instid1(VALU_DEP_1)
	v_ldexp_f64 v[4:5], v[2:3], 0xffffffe0
	v_floor_f64_e32 v[4:5], v[4:5]
	s_delay_alu instid0(VALU_DEP_1) | instskip(SKIP_1) | instid1(VALU_DEP_2)
	v_fma_f64 v[2:3], 0xc1f00000, v[4:5], v[2:3]
	v_cvt_u32_f64_e32 v4, v[4:5]
	v_cvt_u32_f64_e32 v3, v[2:3]
	global_store_b64 v[0:1], v[3:4], off
.LBB7_2211:
	s_mov_b32 s3, 0
.LBB7_2212:
	s_delay_alu instid0(SALU_CYCLE_1)
	s_and_b32 vcc_lo, exec_lo, s3
	s_cbranch_vccz .LBB7_2227
; %bb.2213:
	v_cmp_lt_i16_e64 s3, s2, 27
	s_delay_alu instid0(VALU_DEP_1)
	s_and_b32 vcc_lo, exec_lo, s3
	s_mov_b32 s3, -1
	s_cbranch_vccnz .LBB7_2219
; %bb.2214:
	v_cvt_u32_f64_e32 v2, v[8:9]
	v_cmp_gt_i16_e64 s3, s2, 27
	s_delay_alu instid0(VALU_DEP_1)
	s_and_b32 vcc_lo, exec_lo, s3
	s_mov_b32 s3, -1
	s_cbranch_vccz .LBB7_2216
; %bb.2215:
	s_mov_b32 s3, 0
	global_store_b32 v[0:1], v2, off
.LBB7_2216:
	s_and_not1_b32 vcc_lo, exec_lo, s3
	s_cbranch_vccnz .LBB7_2218
; %bb.2217:
	global_store_b16 v[0:1], v2, off
.LBB7_2218:
	s_mov_b32 s3, 0
.LBB7_2219:
	s_delay_alu instid0(SALU_CYCLE_1)
	s_and_not1_b32 vcc_lo, exec_lo, s3
	s_cbranch_vccnz .LBB7_2227
; %bb.2220:
	v_cvt_f32_f64_e32 v2, v[8:9]
	v_mov_b32_e32 v4, 0x80
	s_mov_b32 s3, exec_lo
	s_delay_alu instid0(VALU_DEP_2) | instskip(NEXT) | instid1(VALU_DEP_1)
	v_and_b32_e32 v3, 0x7fffffff, v2
	v_cmpx_gt_u32_e32 0x43800000, v3
	s_cbranch_execz .LBB7_2226
; %bb.2221:
	v_cmp_lt_u32_e32 vcc_lo, 0x3bffffff, v3
	s_mov_b32 s4, 0
                                        ; implicit-def: $vgpr3
	s_and_saveexec_b32 s5, vcc_lo
	s_delay_alu instid0(SALU_CYCLE_1)
	s_xor_b32 s5, exec_lo, s5
	s_cbranch_execz .LBB7_2270
; %bb.2222:
	v_bfe_u32 v3, v2, 20, 1
	s_mov_b32 s4, exec_lo
	s_delay_alu instid0(VALU_DEP_1) | instskip(NEXT) | instid1(VALU_DEP_1)
	v_add3_u32 v3, v2, v3, 0x487ffff
	v_lshrrev_b32_e32 v3, 20, v3
	s_or_saveexec_b32 s5, s5
                                        ; implicit-def: $sgpr6
	s_delay_alu instid0(SALU_CYCLE_1)
	s_xor_b32 exec_lo, exec_lo, s5
	s_cbranch_execnz .LBB7_2271
.LBB7_2223:
	s_or_b32 exec_lo, exec_lo, s5
	v_mov_b32_e32 v4, s6
	s_and_saveexec_b32 s5, s4
.LBB7_2224:
	v_lshrrev_b32_e32 v2, 24, v2
	s_delay_alu instid0(VALU_DEP_1)
	v_and_or_b32 v4, 0x80, v2, v3
.LBB7_2225:
	s_or_b32 exec_lo, exec_lo, s5
.LBB7_2226:
	s_delay_alu instid0(SALU_CYCLE_1)
	s_or_b32 exec_lo, exec_lo, s3
	global_store_b8 v[0:1], v4, off
.LBB7_2227:
	s_mov_b32 s3, 0
.LBB7_2228:
	s_delay_alu instid0(SALU_CYCLE_1)
	s_and_b32 vcc_lo, exec_lo, s3
	s_cbranch_vccz .LBB7_2268
; %bb.2229:
	v_cmp_gt_i16_e64 s1, s2, 22
	s_delay_alu instid0(VALU_DEP_1)
	s_and_b32 vcc_lo, exec_lo, s1
	s_mov_b32 s1, -1
	s_cbranch_vccz .LBB7_2261
; %bb.2230:
	v_cmp_lt_i16_e64 s1, s2, 24
	s_delay_alu instid0(VALU_DEP_1)
	s_and_b32 vcc_lo, exec_lo, s1
	s_mov_b32 s1, -1
	s_cbranch_vccnz .LBB7_2250
; %bb.2231:
	v_cmp_gt_i16_e64 s1, s2, 24
	s_delay_alu instid0(VALU_DEP_1)
	s_and_b32 vcc_lo, exec_lo, s1
	s_mov_b32 s1, -1
	s_cbranch_vccz .LBB7_2239
; %bb.2232:
	v_cvt_f32_f64_e32 v2, v[8:9]
	v_mov_b32_e32 v4, 0x80
	s_mov_b32 s1, exec_lo
	s_delay_alu instid0(VALU_DEP_2) | instskip(NEXT) | instid1(VALU_DEP_1)
	v_and_b32_e32 v3, 0x7fffffff, v2
	v_cmpx_gt_u32_e32 0x47800000, v3
	s_cbranch_execz .LBB7_2238
; %bb.2233:
	v_cmp_lt_u32_e32 vcc_lo, 0x37ffffff, v3
	s_mov_b32 s3, 0
                                        ; implicit-def: $vgpr3
	s_and_saveexec_b32 s4, vcc_lo
	s_delay_alu instid0(SALU_CYCLE_1)
	s_xor_b32 s4, exec_lo, s4
	s_cbranch_execz .LBB7_2276
; %bb.2234:
	v_bfe_u32 v3, v2, 21, 1
	s_mov_b32 s3, exec_lo
	s_delay_alu instid0(VALU_DEP_1) | instskip(NEXT) | instid1(VALU_DEP_1)
	v_add3_u32 v3, v2, v3, 0x88fffff
	v_lshrrev_b32_e32 v3, 21, v3
	s_or_saveexec_b32 s4, s4
                                        ; implicit-def: $sgpr5
	s_delay_alu instid0(SALU_CYCLE_1)
	s_xor_b32 exec_lo, exec_lo, s4
	s_cbranch_execnz .LBB7_2277
.LBB7_2235:
	s_or_b32 exec_lo, exec_lo, s4
	v_mov_b32_e32 v4, s5
	s_and_saveexec_b32 s4, s3
.LBB7_2236:
	v_lshrrev_b32_e32 v2, 24, v2
	s_delay_alu instid0(VALU_DEP_1)
	v_and_or_b32 v4, 0x80, v2, v3
.LBB7_2237:
	s_or_b32 exec_lo, exec_lo, s4
.LBB7_2238:
	s_delay_alu instid0(SALU_CYCLE_1)
	s_or_b32 exec_lo, exec_lo, s1
	s_mov_b32 s1, 0
	global_store_b8 v[0:1], v4, off
.LBB7_2239:
	s_and_b32 vcc_lo, exec_lo, s1
	s_cbranch_vccz .LBB7_2249
; %bb.2240:
	v_cvt_f32_f64_e32 v2, v[8:9]
	s_mov_b32 s1, exec_lo
                                        ; implicit-def: $vgpr3
	s_delay_alu instid0(VALU_DEP_1) | instskip(NEXT) | instid1(VALU_DEP_1)
	v_and_b32_e32 v4, 0x7fffffff, v2
	v_cmpx_gt_u32_e32 0x43f00000, v4
	s_xor_b32 s1, exec_lo, s1
	s_cbranch_execz .LBB7_2246
; %bb.2241:
	s_mov_b32 s3, exec_lo
                                        ; implicit-def: $vgpr3
	v_cmpx_lt_u32_e32 0x3c7fffff, v4
	s_xor_b32 s3, exec_lo, s3
; %bb.2242:
	v_bfe_u32 v3, v2, 20, 1
	s_delay_alu instid0(VALU_DEP_1) | instskip(NEXT) | instid1(VALU_DEP_1)
	v_add3_u32 v3, v2, v3, 0x407ffff
	v_and_b32_e32 v4, 0xff00000, v3
	v_lshrrev_b32_e32 v3, 20, v3
	s_delay_alu instid0(VALU_DEP_2) | instskip(NEXT) | instid1(VALU_DEP_2)
	v_cmp_ne_u32_e32 vcc_lo, 0x7f00000, v4
	v_cndmask_b32_e32 v3, 0x7e, v3, vcc_lo
; %bb.2243:
	s_and_not1_saveexec_b32 s3, s3
; %bb.2244:
	v_add_f32_e64 v3, 0x46800000, |v2|
; %bb.2245:
	s_or_b32 exec_lo, exec_lo, s3
                                        ; implicit-def: $vgpr4
.LBB7_2246:
	s_and_not1_saveexec_b32 s1, s1
; %bb.2247:
	v_mov_b32_e32 v3, 0x7f
	v_cmp_lt_u32_e32 vcc_lo, 0x7f800000, v4
	s_delay_alu instid0(VALU_DEP_2)
	v_cndmask_b32_e32 v3, 0x7e, v3, vcc_lo
; %bb.2248:
	s_or_b32 exec_lo, exec_lo, s1
	v_lshrrev_b32_e32 v2, 24, v2
	s_delay_alu instid0(VALU_DEP_1)
	v_and_or_b32 v2, 0x80, v2, v3
	global_store_b8 v[0:1], v2, off
.LBB7_2249:
	s_mov_b32 s1, 0
.LBB7_2250:
	s_delay_alu instid0(SALU_CYCLE_1)
	s_and_not1_b32 vcc_lo, exec_lo, s1
	s_cbranch_vccnz .LBB7_2260
; %bb.2251:
	v_cvt_f32_f64_e32 v2, v[8:9]
	s_mov_b32 s1, exec_lo
                                        ; implicit-def: $vgpr3
	s_delay_alu instid0(VALU_DEP_1) | instskip(NEXT) | instid1(VALU_DEP_1)
	v_and_b32_e32 v4, 0x7fffffff, v2
	v_cmpx_gt_u32_e32 0x47800000, v4
	s_xor_b32 s1, exec_lo, s1
	s_cbranch_execz .LBB7_2257
; %bb.2252:
	s_mov_b32 s3, exec_lo
                                        ; implicit-def: $vgpr3
	v_cmpx_lt_u32_e32 0x387fffff, v4
	s_xor_b32 s3, exec_lo, s3
; %bb.2253:
	v_bfe_u32 v3, v2, 21, 1
	s_delay_alu instid0(VALU_DEP_1) | instskip(NEXT) | instid1(VALU_DEP_1)
	v_add3_u32 v3, v2, v3, 0x80fffff
	v_lshrrev_b32_e32 v3, 21, v3
; %bb.2254:
	s_and_not1_saveexec_b32 s3, s3
; %bb.2255:
	v_add_f32_e64 v3, 0x43000000, |v2|
; %bb.2256:
	s_or_b32 exec_lo, exec_lo, s3
                                        ; implicit-def: $vgpr4
.LBB7_2257:
	s_and_not1_saveexec_b32 s1, s1
; %bb.2258:
	v_mov_b32_e32 v3, 0x7f
	v_cmp_lt_u32_e32 vcc_lo, 0x7f800000, v4
	s_delay_alu instid0(VALU_DEP_2)
	v_cndmask_b32_e32 v3, 0x7c, v3, vcc_lo
; %bb.2259:
	s_or_b32 exec_lo, exec_lo, s1
	v_lshrrev_b32_e32 v2, 24, v2
	s_delay_alu instid0(VALU_DEP_1)
	v_and_or_b32 v2, 0x80, v2, v3
	global_store_b8 v[0:1], v2, off
.LBB7_2260:
	s_mov_b32 s1, 0
.LBB7_2261:
	s_delay_alu instid0(SALU_CYCLE_1)
	s_and_not1_b32 vcc_lo, exec_lo, s1
	s_mov_b32 s1, 0
	s_cbranch_vccnz .LBB7_2268
; %bb.2262:
	v_cmp_gt_i16_e64 s1, s2, 14
	s_delay_alu instid0(VALU_DEP_1)
	s_and_b32 vcc_lo, exec_lo, s1
	s_mov_b32 s1, -1
	s_cbranch_vccz .LBB7_2266
; %bb.2263:
	v_cmp_eq_u16_e64 s0, s2, 15
	s_delay_alu instid0(VALU_DEP_1)
	s_and_b32 vcc_lo, exec_lo, s0
	s_mov_b32 s0, -1
	s_cbranch_vccz .LBB7_2265
; %bb.2264:
	v_cvt_f32_f64_e32 v2, v[8:9]
	s_mov_b32 s0, 0
	s_delay_alu instid0(VALU_DEP_1) | instskip(SKIP_1) | instid1(VALU_DEP_2)
	v_bfe_u32 v3, v2, 16, 1
	v_cmp_o_f32_e32 vcc_lo, v2, v2
	v_add3_u32 v3, v2, v3, 0x7fff
	s_delay_alu instid0(VALU_DEP_1) | instskip(NEXT) | instid1(VALU_DEP_1)
	v_lshrrev_b32_e32 v3, 16, v3
	v_cndmask_b32_e32 v2, 0x7fc0, v3, vcc_lo
	global_store_b16 v[0:1], v2, off
.LBB7_2265:
	s_mov_b32 s1, 0
.LBB7_2266:
	s_delay_alu instid0(SALU_CYCLE_1)
	s_and_b32 vcc_lo, exec_lo, s1
	s_mov_b32 s1, 0
	s_cbranch_vccz .LBB7_2268
; %bb.2267:
	v_cmp_ne_u16_e64 s0, s2, 11
	s_mov_b32 s1, -1
.LBB7_2268:
	s_delay_alu instid0(VALU_DEP_1)
	s_and_b32 vcc_lo, exec_lo, s0
	s_cbranch_vccnz .LBB7_2274
.LBB7_2269:
	s_mov_b32 s0, 0
	s_branch .LBB7_1764
.LBB7_2270:
	s_or_saveexec_b32 s5, s5
                                        ; implicit-def: $sgpr6
	s_delay_alu instid0(SALU_CYCLE_1)
	s_xor_b32 exec_lo, exec_lo, s5
	s_cbranch_execz .LBB7_2223
.LBB7_2271:
	v_add_f32_e64 v3, 0x46000000, |v2|
	s_and_not1_b32 s4, s4, exec_lo
	s_mov_b32 s6, 0
	s_delay_alu instid0(VALU_DEP_1) | instskip(NEXT) | instid1(VALU_DEP_1)
	v_and_b32_e32 v3, 0xff, v3
	v_cmp_ne_u32_e32 vcc_lo, 0, v3
	s_and_b32 s7, vcc_lo, exec_lo
	s_delay_alu instid0(SALU_CYCLE_1)
	s_or_b32 s4, s4, s7
	s_or_b32 exec_lo, exec_lo, s5
	v_mov_b32_e32 v4, s6
	s_and_saveexec_b32 s5, s4
	s_cbranch_execnz .LBB7_2224
	s_branch .LBB7_2225
.LBB7_2272:
	s_trap 2
	s_sendmsg_rtn_b32 s0, sendmsg(MSG_RTN_GET_DOORBELL)
	s_mov_b32 ttmp2, m0
	s_waitcnt lgkmcnt(0)
	s_and_b32 s0, s0, 0x3ff
	s_delay_alu instid0(SALU_CYCLE_1) | instskip(NEXT) | instid1(SALU_CYCLE_1)
	s_bitset1_b32 s0, 10
	s_mov_b32 m0, s0
	s_sendmsg sendmsg(MSG_INTERRUPT)
	s_mov_b32 m0, ttmp2
.LBB7_2273:                             ; =>This Inner Loop Header: Depth=1
	s_sethalt 5
	s_branch .LBB7_2273
.LBB7_2274:
	s_cbranch_execnz .LBB7_2278
; %bb.2275:
	s_mov_b32 s1, 0
	s_or_b32 s10, s10, exec_lo
	s_branch .LBB7_2269
.LBB7_2276:
	s_or_saveexec_b32 s4, s4
                                        ; implicit-def: $sgpr5
	s_delay_alu instid0(SALU_CYCLE_1)
	s_xor_b32 exec_lo, exec_lo, s4
	s_cbranch_execz .LBB7_2235
.LBB7_2277:
	v_add_f32_e64 v3, 0x42800000, |v2|
	s_and_not1_b32 s3, s3, exec_lo
	s_mov_b32 s5, 0
	s_delay_alu instid0(VALU_DEP_1) | instskip(NEXT) | instid1(VALU_DEP_1)
	v_and_b32_e32 v3, 0xff, v3
	v_cmp_ne_u32_e32 vcc_lo, 0, v3
	s_and_b32 s6, vcc_lo, exec_lo
	s_delay_alu instid0(SALU_CYCLE_1)
	s_or_b32 s3, s3, s6
	s_or_b32 exec_lo, exec_lo, s4
	v_mov_b32_e32 v4, s5
	s_and_saveexec_b32 s4, s3
	s_cbranch_execnz .LBB7_2236
	s_branch .LBB7_2237
.LBB7_2278:
	s_trap 2
	s_sendmsg_rtn_b32 s0, sendmsg(MSG_RTN_GET_DOORBELL)
	s_mov_b32 ttmp2, m0
	s_waitcnt lgkmcnt(0)
	s_and_b32 s0, s0, 0x3ff
	s_delay_alu instid0(SALU_CYCLE_1) | instskip(NEXT) | instid1(SALU_CYCLE_1)
	s_bitset1_b32 s0, 10
	s_mov_b32 m0, s0
	s_sendmsg sendmsg(MSG_INTERRUPT)
	s_mov_b32 m0, ttmp2
.LBB7_2279:                             ; =>This Inner Loop Header: Depth=1
	s_sethalt 5
	s_branch .LBB7_2279
	.section	.rodata,"a",@progbits
	.p2align	6, 0x0
	.amdhsa_kernel _ZN2at6native32elementwise_kernel_manual_unrollILi128ELi4EZNS0_15gpu_kernel_implINS0_13AUnaryFunctorIdddZZZNS0_12_GLOBAL__N_132hermite_polynomial_h_kernel_cudaERNS_18TensorIteratorBaseEENKUlvE_clEvENKUlvE_clEvEUlddE_EEEEvS6_RKT_EUlibE0_EEviT1_
		.amdhsa_group_segment_fixed_size 0
		.amdhsa_private_segment_fixed_size 0
		.amdhsa_kernarg_size 376
		.amdhsa_user_sgpr_count 15
		.amdhsa_user_sgpr_dispatch_ptr 0
		.amdhsa_user_sgpr_queue_ptr 0
		.amdhsa_user_sgpr_kernarg_segment_ptr 1
		.amdhsa_user_sgpr_dispatch_id 0
		.amdhsa_user_sgpr_private_segment_size 0
		.amdhsa_wavefront_size32 1
		.amdhsa_uses_dynamic_stack 0
		.amdhsa_enable_private_segment 0
		.amdhsa_system_sgpr_workgroup_id_x 1
		.amdhsa_system_sgpr_workgroup_id_y 0
		.amdhsa_system_sgpr_workgroup_id_z 0
		.amdhsa_system_sgpr_workgroup_info 0
		.amdhsa_system_vgpr_workitem_id 0
		.amdhsa_next_free_vgpr 25
		.amdhsa_next_free_sgpr 68
		.amdhsa_reserve_vcc 1
		.amdhsa_float_round_mode_32 0
		.amdhsa_float_round_mode_16_64 0
		.amdhsa_float_denorm_mode_32 3
		.amdhsa_float_denorm_mode_16_64 3
		.amdhsa_dx10_clamp 1
		.amdhsa_ieee_mode 1
		.amdhsa_fp16_overflow 0
		.amdhsa_workgroup_processor_mode 1
		.amdhsa_memory_ordered 1
		.amdhsa_forward_progress 0
		.amdhsa_shared_vgpr_count 0
		.amdhsa_exception_fp_ieee_invalid_op 0
		.amdhsa_exception_fp_denorm_src 0
		.amdhsa_exception_fp_ieee_div_zero 0
		.amdhsa_exception_fp_ieee_overflow 0
		.amdhsa_exception_fp_ieee_underflow 0
		.amdhsa_exception_fp_ieee_inexact 0
		.amdhsa_exception_int_div_zero 0
	.end_amdhsa_kernel
	.section	.text._ZN2at6native32elementwise_kernel_manual_unrollILi128ELi4EZNS0_15gpu_kernel_implINS0_13AUnaryFunctorIdddZZZNS0_12_GLOBAL__N_132hermite_polynomial_h_kernel_cudaERNS_18TensorIteratorBaseEENKUlvE_clEvENKUlvE_clEvEUlddE_EEEEvS6_RKT_EUlibE0_EEviT1_,"axG",@progbits,_ZN2at6native32elementwise_kernel_manual_unrollILi128ELi4EZNS0_15gpu_kernel_implINS0_13AUnaryFunctorIdddZZZNS0_12_GLOBAL__N_132hermite_polynomial_h_kernel_cudaERNS_18TensorIteratorBaseEENKUlvE_clEvENKUlvE_clEvEUlddE_EEEEvS6_RKT_EUlibE0_EEviT1_,comdat
.Lfunc_end7:
	.size	_ZN2at6native32elementwise_kernel_manual_unrollILi128ELi4EZNS0_15gpu_kernel_implINS0_13AUnaryFunctorIdddZZZNS0_12_GLOBAL__N_132hermite_polynomial_h_kernel_cudaERNS_18TensorIteratorBaseEENKUlvE_clEvENKUlvE_clEvEUlddE_EEEEvS6_RKT_EUlibE0_EEviT1_, .Lfunc_end7-_ZN2at6native32elementwise_kernel_manual_unrollILi128ELi4EZNS0_15gpu_kernel_implINS0_13AUnaryFunctorIdddZZZNS0_12_GLOBAL__N_132hermite_polynomial_h_kernel_cudaERNS_18TensorIteratorBaseEENKUlvE_clEvENKUlvE_clEvEUlddE_EEEEvS6_RKT_EUlibE0_EEviT1_
                                        ; -- End function
	.section	.AMDGPU.csdata,"",@progbits
; Kernel info:
; codeLenInByte = 45480
; NumSgprs: 70
; NumVgprs: 25
; ScratchSize: 0
; MemoryBound: 1
; FloatMode: 240
; IeeeMode: 1
; LDSByteSize: 0 bytes/workgroup (compile time only)
; SGPRBlocks: 8
; VGPRBlocks: 3
; NumSGPRsForWavesPerEU: 70
; NumVGPRsForWavesPerEU: 25
; Occupancy: 16
; WaveLimiterHint : 1
; COMPUTE_PGM_RSRC2:SCRATCH_EN: 0
; COMPUTE_PGM_RSRC2:USER_SGPR: 15
; COMPUTE_PGM_RSRC2:TRAP_HANDLER: 0
; COMPUTE_PGM_RSRC2:TGID_X_EN: 1
; COMPUTE_PGM_RSRC2:TGID_Y_EN: 0
; COMPUTE_PGM_RSRC2:TGID_Z_EN: 0
; COMPUTE_PGM_RSRC2:TIDIG_COMP_CNT: 0
	.section	.text._ZN2at6native29vectorized_elementwise_kernelILi16ENS0_13BUnaryFunctorIdddZZZNS0_12_GLOBAL__N_132hermite_polynomial_h_kernel_cudaERNS_18TensorIteratorBaseEENKUlvE_clEvENKUlvE_clEvEUlddE_EESt5arrayIPcLm2EEEEviT0_T1_,"axG",@progbits,_ZN2at6native29vectorized_elementwise_kernelILi16ENS0_13BUnaryFunctorIdddZZZNS0_12_GLOBAL__N_132hermite_polynomial_h_kernel_cudaERNS_18TensorIteratorBaseEENKUlvE_clEvENKUlvE_clEvEUlddE_EESt5arrayIPcLm2EEEEviT0_T1_,comdat
	.globl	_ZN2at6native29vectorized_elementwise_kernelILi16ENS0_13BUnaryFunctorIdddZZZNS0_12_GLOBAL__N_132hermite_polynomial_h_kernel_cudaERNS_18TensorIteratorBaseEENKUlvE_clEvENKUlvE_clEvEUlddE_EESt5arrayIPcLm2EEEEviT0_T1_ ; -- Begin function _ZN2at6native29vectorized_elementwise_kernelILi16ENS0_13BUnaryFunctorIdddZZZNS0_12_GLOBAL__N_132hermite_polynomial_h_kernel_cudaERNS_18TensorIteratorBaseEENKUlvE_clEvENKUlvE_clEvEUlddE_EESt5arrayIPcLm2EEEEviT0_T1_
	.p2align	8
	.type	_ZN2at6native29vectorized_elementwise_kernelILi16ENS0_13BUnaryFunctorIdddZZZNS0_12_GLOBAL__N_132hermite_polynomial_h_kernel_cudaERNS_18TensorIteratorBaseEENKUlvE_clEvENKUlvE_clEvEUlddE_EESt5arrayIPcLm2EEEEviT0_T1_,@function
_ZN2at6native29vectorized_elementwise_kernelILi16ENS0_13BUnaryFunctorIdddZZZNS0_12_GLOBAL__N_132hermite_polynomial_h_kernel_cudaERNS_18TensorIteratorBaseEENKUlvE_clEvENKUlvE_clEvEUlddE_EESt5arrayIPcLm2EEEEviT0_T1_: ; @_ZN2at6native29vectorized_elementwise_kernelILi16ENS0_13BUnaryFunctorIdddZZZNS0_12_GLOBAL__N_132hermite_polynomial_h_kernel_cudaERNS_18TensorIteratorBaseEENKUlvE_clEvENKUlvE_clEvEUlddE_EESt5arrayIPcLm2EEEEviT0_T1_
; %bb.0:
	s_load_b128 s[4:7], s[0:1], 0x10
	s_lshl_b32 s2, s15, 10
	s_waitcnt lgkmcnt(0)
	v_trunc_f64_e32 v[13:14], s[4:5]
	v_cmp_class_f64_e64 s16, s[4:5], 0x1f8
	s_clause 0x1
	s_load_b32 s3, s[0:1], 0x0
	s_load_b64 s[4:5], s[0:1], 0x20
	s_mov_b32 s0, -1
	s_waitcnt lgkmcnt(0)
	s_sub_i32 s14, s3, s2
	s_delay_alu instid0(SALU_CYCLE_1) | instskip(NEXT) | instid1(VALU_DEP_2)
	s_cmpk_gt_i32 s14, 0x3ff
	v_ldexp_f64 v[15:16], v[13:14], 0xffffffe0
	s_cbranch_scc0 .LBB8_38
; %bb.1:
	s_ashr_i32 s3, s2, 31
	v_lshlrev_b32_e32 v19, 5, v0
	s_lshl_b64 s[0:1], s[2:3], 3
	s_delay_alu instid0(VALU_DEP_2)
	v_floor_f64_e32 v[5:6], v[15:16]
	s_add_u32 s8, s4, s0
	s_addc_u32 s9, s5, s1
	s_clause 0x1
	global_load_b128 v[1:4], v19, s[8:9] offset:16
	global_load_b128 v[7:10], v19, s[8:9]
	s_and_b32 s9, s16, exec_lo
	v_fma_f64 v[11:12], 0xc1f00000, v[5:6], v[13:14]
	v_cvt_i32_f64_e32 v5, v[5:6]
	s_delay_alu instid0(VALU_DEP_2) | instskip(NEXT) | instid1(VALU_DEP_2)
	v_cvt_u32_f64_e32 v6, v[11:12]
	v_readfirstlane_b32 s3, v5
	s_delay_alu instid0(VALU_DEP_1) | instskip(NEXT) | instid1(VALU_DEP_2)
	s_cselect_b32 s11, s3, -1
	v_readfirstlane_b32 s8, v6
	v_mov_b32_e32 v5, 0
	v_mov_b32_e32 v6, 0
	s_delay_alu instid0(VALU_DEP_3) | instskip(NEXT) | instid1(SALU_CYCLE_1)
	s_cselect_b32 s10, s8, -1
	v_cmp_lt_i64_e64 s8, s[10:11], 0
	v_cmp_gt_i64_e64 s15, s[10:11], -1
	v_cmp_gt_u64_e64 s3, 0x201, s[10:11]
	v_cmp_lt_i64_e64 s12, s[10:11], 1
	s_delay_alu instid0(VALU_DEP_4)
	s_and_b32 vcc_lo, exec_lo, s8
	s_lshl_b64 s[8:9], s[10:11], 1
	s_cbranch_vccnz .LBB8_10
; %bb.2:
	v_mov_b32_e32 v5, 0
	v_mov_b32_e32 v6, 0x3ff00000
	s_and_b32 vcc_lo, exec_lo, s12
	s_cbranch_vccnz .LBB8_10
; %bb.3:
	s_cmp_lg_u64 s[10:11], 1
	s_cbranch_scc0 .LBB8_8
; %bb.4:
	v_mov_b32_e32 v5, 0
	v_mov_b32_e32 v6, 0x7ff80000
	s_and_not1_b32 vcc_lo, exec_lo, s3
	s_cbranch_vccnz .LBB8_7
; %bb.5:
	s_waitcnt vmcnt(0)
	v_add_f64 v[11:12], v[7:8], v[7:8]
	v_mov_b32_e32 v17, 0
	v_mov_b32_e32 v18, 0x3ff00000
	s_mov_b64 s[12:13], 2
	s_delay_alu instid0(VALU_DEP_3)
	v_dual_mov_b32 v5, v11 :: v_dual_mov_b32 v6, v12
	.p2align	6
.LBB8_6:                                ; =>This Inner Loop Header: Depth=1
	v_cvt_f64_u32_e32 v[20:21], s13
	v_cvt_f64_u32_e32 v[22:23], s12
	s_add_u32 s12, s12, 2
	s_addc_u32 s13, s13, 0
	s_delay_alu instid0(SALU_CYCLE_1) | instskip(NEXT) | instid1(VALU_DEP_1)
	v_cmp_lt_u64_e64 s17, s[12:13], s[8:9]
	s_and_b32 vcc_lo, exec_lo, s17
	s_delay_alu instid0(VALU_DEP_3) | instskip(NEXT) | instid1(VALU_DEP_1)
	v_ldexp_f64 v[20:21], v[20:21], 32
	v_add_f64 v[20:21], v[20:21], v[22:23]
	s_delay_alu instid0(VALU_DEP_1) | instskip(SKIP_1) | instid1(VALU_DEP_1)
	v_mul_f64 v[17:18], v[17:18], v[20:21]
	v_dual_mov_b32 v21, v6 :: v_dual_mov_b32 v20, v5
	v_fma_f64 v[5:6], v[11:12], v[20:21], -v[17:18]
	v_dual_mov_b32 v17, v20 :: v_dual_mov_b32 v18, v21
	s_cbranch_vccnz .LBB8_6
.LBB8_7:
	s_cbranch_execz .LBB8_9
	s_branch .LBB8_10
.LBB8_8:
                                        ; implicit-def: $vgpr5_vgpr6
.LBB8_9:
	s_waitcnt vmcnt(0)
	v_add_f64 v[5:6], v[7:8], v[7:8]
.LBB8_10:
	s_waitcnt vmcnt(0)
	v_mov_b32_e32 v7, 0
	v_cndmask_b32_e64 v20, 0, 1, s15
	v_mov_b32_e32 v8, 0
	s_and_not1_b32 vcc_lo, exec_lo, s15
	s_cbranch_vccnz .LBB8_19
; %bb.11:
	v_cmp_lt_i64_e64 s12, s[10:11], 1
	v_mov_b32_e32 v7, 0
	v_mov_b32_e32 v8, 0x3ff00000
	s_delay_alu instid0(VALU_DEP_3)
	s_and_b32 vcc_lo, exec_lo, s12
	s_cbranch_vccnz .LBB8_19
; %bb.12:
	s_cmp_lg_u64 s[10:11], 1
	s_cbranch_scc0 .LBB8_17
; %bb.13:
	v_mov_b32_e32 v7, 0
	v_mov_b32_e32 v8, 0x7ff80000
	s_and_not1_b32 vcc_lo, exec_lo, s3
	s_cbranch_vccnz .LBB8_16
; %bb.14:
	v_add_f64 v[11:12], v[9:10], v[9:10]
	v_mov_b32_e32 v17, 0
	v_mov_b32_e32 v18, 0x3ff00000
	s_mov_b64 s[12:13], 2
	s_delay_alu instid0(VALU_DEP_3)
	v_dual_mov_b32 v7, v11 :: v_dual_mov_b32 v8, v12
	.p2align	6
.LBB8_15:                               ; =>This Inner Loop Header: Depth=1
	v_cvt_f64_u32_e32 v[21:22], s13
	v_cvt_f64_u32_e32 v[23:24], s12
	s_add_u32 s12, s12, 2
	s_addc_u32 s13, s13, 0
	s_delay_alu instid0(SALU_CYCLE_1) | instskip(NEXT) | instid1(VALU_DEP_1)
	v_cmp_lt_u64_e64 s15, s[12:13], s[8:9]
	s_and_b32 vcc_lo, exec_lo, s15
	s_delay_alu instid0(VALU_DEP_3) | instskip(NEXT) | instid1(VALU_DEP_1)
	v_ldexp_f64 v[21:22], v[21:22], 32
	v_add_f64 v[21:22], v[21:22], v[23:24]
	s_delay_alu instid0(VALU_DEP_1) | instskip(SKIP_1) | instid1(VALU_DEP_1)
	v_mul_f64 v[17:18], v[17:18], v[21:22]
	v_dual_mov_b32 v22, v8 :: v_dual_mov_b32 v21, v7
	v_fma_f64 v[7:8], v[11:12], v[21:22], -v[17:18]
	v_dual_mov_b32 v17, v21 :: v_dual_mov_b32 v18, v22
	s_cbranch_vccnz .LBB8_15
.LBB8_16:
	s_cbranch_execz .LBB8_18
	s_branch .LBB8_19
.LBB8_17:
.LBB8_18:
	v_add_f64 v[7:8], v[9:10], v[9:10]
.LBB8_19:
	s_delay_alu instid0(VALU_DEP_2)
	v_cmp_ne_u32_e32 vcc_lo, 1, v20
	v_mov_b32_e32 v9, 0
	v_mov_b32_e32 v10, 0
	s_cbranch_vccnz .LBB8_28
; %bb.20:
	v_cmp_lt_i64_e64 s12, s[10:11], 1
	v_mov_b32_e32 v9, 0
	v_mov_b32_e32 v10, 0x3ff00000
	s_delay_alu instid0(VALU_DEP_3)
	s_and_b32 vcc_lo, exec_lo, s12
	s_cbranch_vccnz .LBB8_28
; %bb.21:
	s_cmp_lg_u64 s[10:11], 1
	s_cbranch_scc0 .LBB8_26
; %bb.22:
	v_mov_b32_e32 v9, 0
	v_mov_b32_e32 v10, 0x7ff80000
	s_and_not1_b32 vcc_lo, exec_lo, s3
	s_cbranch_vccnz .LBB8_25
; %bb.23:
	v_add_f64 v[11:12], v[1:2], v[1:2]
	v_mov_b32_e32 v17, 0
	v_mov_b32_e32 v18, 0x3ff00000
	s_mov_b64 s[12:13], 2
	s_delay_alu instid0(VALU_DEP_3)
	v_dual_mov_b32 v9, v11 :: v_dual_mov_b32 v10, v12
	.p2align	6
.LBB8_24:                               ; =>This Inner Loop Header: Depth=1
	v_cvt_f64_u32_e32 v[21:22], s13
	v_cvt_f64_u32_e32 v[23:24], s12
	s_add_u32 s12, s12, 2
	s_addc_u32 s13, s13, 0
	s_delay_alu instid0(SALU_CYCLE_1) | instskip(NEXT) | instid1(VALU_DEP_1)
	v_cmp_lt_u64_e64 s15, s[12:13], s[8:9]
	s_and_b32 vcc_lo, exec_lo, s15
	s_delay_alu instid0(VALU_DEP_3) | instskip(NEXT) | instid1(VALU_DEP_1)
	v_ldexp_f64 v[21:22], v[21:22], 32
	v_add_f64 v[21:22], v[21:22], v[23:24]
	s_delay_alu instid0(VALU_DEP_1) | instskip(SKIP_1) | instid1(VALU_DEP_1)
	v_mul_f64 v[17:18], v[17:18], v[21:22]
	v_dual_mov_b32 v22, v10 :: v_dual_mov_b32 v21, v9
	v_fma_f64 v[9:10], v[11:12], v[21:22], -v[17:18]
	v_dual_mov_b32 v17, v21 :: v_dual_mov_b32 v18, v22
	s_cbranch_vccnz .LBB8_24
.LBB8_25:
	s_cbranch_execz .LBB8_27
	s_branch .LBB8_28
.LBB8_26:
                                        ; implicit-def: $vgpr9_vgpr10
.LBB8_27:
	v_add_f64 v[9:10], v[1:2], v[1:2]
.LBB8_28:
	v_cmp_ne_u32_e32 vcc_lo, 1, v20
	v_mov_b32_e32 v11, 0
	v_mov_b32_e32 v12, 0
	s_cbranch_vccnz .LBB8_37
; %bb.29:
	v_cmp_lt_i64_e64 s12, s[10:11], 1
	v_mov_b32_e32 v11, 0
	v_mov_b32_e32 v12, 0x3ff00000
	s_delay_alu instid0(VALU_DEP_3)
	s_and_b32 vcc_lo, exec_lo, s12
	s_cbranch_vccnz .LBB8_37
; %bb.30:
	s_cmp_lg_u64 s[10:11], 1
	s_cbranch_scc0 .LBB8_35
; %bb.31:
	v_mov_b32_e32 v11, 0
	v_mov_b32_e32 v12, 0x7ff80000
	s_and_not1_b32 vcc_lo, exec_lo, s3
	s_cbranch_vccnz .LBB8_34
; %bb.32:
	v_add_f64 v[1:2], v[3:4], v[3:4]
	v_mov_b32_e32 v17, 0
	v_mov_b32_e32 v18, 0x3ff00000
	s_mov_b64 s[10:11], 2
	s_delay_alu instid0(VALU_DEP_3)
	v_dual_mov_b32 v12, v2 :: v_dual_mov_b32 v11, v1
	.p2align	6
.LBB8_33:                               ; =>This Inner Loop Header: Depth=1
	v_cvt_f64_u32_e32 v[20:21], s11
	v_cvt_f64_u32_e32 v[22:23], s10
	s_add_u32 s10, s10, 2
	s_addc_u32 s11, s11, 0
	s_delay_alu instid0(SALU_CYCLE_1) | instskip(NEXT) | instid1(VALU_DEP_1)
	v_cmp_lt_u64_e64 s3, s[10:11], s[8:9]
	s_and_b32 vcc_lo, exec_lo, s3
	s_delay_alu instid0(VALU_DEP_3) | instskip(NEXT) | instid1(VALU_DEP_1)
	v_ldexp_f64 v[20:21], v[20:21], 32
	v_add_f64 v[20:21], v[20:21], v[22:23]
	s_delay_alu instid0(VALU_DEP_1) | instskip(SKIP_1) | instid1(VALU_DEP_1)
	v_mul_f64 v[17:18], v[17:18], v[20:21]
	v_dual_mov_b32 v21, v12 :: v_dual_mov_b32 v20, v11
	v_fma_f64 v[11:12], v[1:2], v[20:21], -v[17:18]
	v_dual_mov_b32 v17, v20 :: v_dual_mov_b32 v18, v21
	s_cbranch_vccnz .LBB8_33
.LBB8_34:
	s_cbranch_execz .LBB8_36
	s_branch .LBB8_37
.LBB8_35:
.LBB8_36:
	v_add_f64 v[11:12], v[3:4], v[3:4]
.LBB8_37:
	s_add_u32 s8, s6, s0
	s_addc_u32 s9, s7, s1
	s_mov_b32 s0, 0
	s_clause 0x1
	global_store_b128 v19, v[5:8], s[8:9]
	global_store_b128 v19, v[9:12], s[8:9] offset:16
.LBB8_38:
	s_and_b32 vcc_lo, exec_lo, s0
	s_cbranch_vccz .LBB8_96
; %bb.39:
	v_mov_b32_e32 v19, 0
	v_dual_mov_b32 v20, 0 :: v_dual_mov_b32 v1, v0
	v_cmp_gt_i32_e64 s0, s14, v0
	v_or_b32_e32 v9, s2, v0
	v_or_b32_e32 v23, 0x100, v0
	s_delay_alu instid0(VALU_DEP_4) | instskip(NEXT) | instid1(VALU_DEP_4)
	v_dual_mov_b32 v22, v20 :: v_dual_mov_b32 v21, v19
	s_and_saveexec_b32 s1, s0
	s_cbranch_execz .LBB8_41
; %bb.40:
	v_mov_b32_e32 v10, 0
	s_delay_alu instid0(VALU_DEP_1) | instskip(NEXT) | instid1(VALU_DEP_1)
	v_lshlrev_b64 v[1:2], 3, v[9:10]
	v_add_co_u32 v1, vcc_lo, s4, v1
	s_delay_alu instid0(VALU_DEP_2)
	v_add_co_ci_u32_e32 v2, vcc_lo, s5, v2, vcc_lo
	global_load_b64 v[21:22], v[1:2], off
	v_or_b32_e32 v1, 0x100, v0
.LBB8_41:
	s_or_b32 exec_lo, exec_lo, s1
	s_delay_alu instid0(SALU_CYCLE_1) | instskip(NEXT) | instid1(VALU_DEP_1)
	s_mov_b32 s1, exec_lo
	v_cmpx_gt_i32_e64 s14, v1
	s_cbranch_execz .LBB8_43
; %bb.42:
	v_dual_mov_b32 v3, 0 :: v_dual_add_nc_u32 v2, s2, v1
	v_add_nc_u32_e32 v1, 0x100, v1
	s_delay_alu instid0(VALU_DEP_2) | instskip(NEXT) | instid1(VALU_DEP_1)
	v_lshlrev_b64 v[2:3], 3, v[2:3]
	v_add_co_u32 v2, vcc_lo, s4, v2
	s_delay_alu instid0(VALU_DEP_2)
	v_add_co_ci_u32_e32 v3, vcc_lo, s5, v3, vcc_lo
	global_load_b64 v[19:20], v[2:3], off
.LBB8_43:
	s_or_b32 exec_lo, exec_lo, s1
	v_mov_b32_e32 v10, 0
	v_mov_b32_e32 v11, 0
	s_mov_b32 s1, exec_lo
	s_delay_alu instid0(VALU_DEP_1)
	v_dual_mov_b32 v18, v11 :: v_dual_mov_b32 v17, v10
	v_cmpx_gt_i32_e64 s14, v1
	s_cbranch_execz .LBB8_45
; %bb.44:
	v_dual_mov_b32 v3, 0 :: v_dual_add_nc_u32 v2, s2, v1
	v_add_nc_u32_e32 v1, 0x100, v1
	s_delay_alu instid0(VALU_DEP_2) | instskip(NEXT) | instid1(VALU_DEP_1)
	v_lshlrev_b64 v[2:3], 3, v[2:3]
	v_add_co_u32 v2, vcc_lo, s4, v2
	s_delay_alu instid0(VALU_DEP_2)
	v_add_co_ci_u32_e32 v3, vcc_lo, s5, v3, vcc_lo
	global_load_b64 v[17:18], v[2:3], off
.LBB8_45:
	s_or_b32 exec_lo, exec_lo, s1
	s_delay_alu instid0(SALU_CYCLE_1)
	s_mov_b32 s1, exec_lo
	v_cmpx_gt_i32_e64 s14, v1
	s_cbranch_execz .LBB8_47
; %bb.46:
	v_dual_mov_b32 v2, 0 :: v_dual_add_nc_u32 v1, s2, v1
	s_delay_alu instid0(VALU_DEP_1) | instskip(NEXT) | instid1(VALU_DEP_1)
	v_lshlrev_b64 v[1:2], 3, v[1:2]
	v_add_co_u32 v1, vcc_lo, s4, v1
	s_delay_alu instid0(VALU_DEP_2)
	v_add_co_ci_u32_e32 v2, vcc_lo, s5, v2, vcc_lo
	global_load_b64 v[10:11], v[1:2], off
.LBB8_47:
	s_or_b32 exec_lo, exec_lo, s1
	v_floor_f64_e32 v[1:2], v[15:16]
	s_and_b32 s4, s16, exec_lo
	s_delay_alu instid0(VALU_DEP_1) | instskip(SKIP_1) | instid1(VALU_DEP_2)
	v_fma_f64 v[3:4], 0xc1f00000, v[1:2], v[13:14]
	v_cvt_i32_f64_e32 v1, v[1:2]
	v_cvt_u32_f64_e32 v2, v[3:4]
	s_delay_alu instid0(VALU_DEP_2) | instskip(NEXT) | instid1(VALU_DEP_1)
	v_readfirstlane_b32 s1, v1
	s_cselect_b32 s9, s1, -1
	s_delay_alu instid0(VALU_DEP_2) | instskip(NEXT) | instid1(VALU_DEP_1)
	v_readfirstlane_b32 s3, v2
                                        ; implicit-def: $vgpr1_vgpr2_vgpr3_vgpr4_vgpr5_vgpr6_vgpr7_vgpr8
	s_cselect_b32 s8, s3, -1
	s_delay_alu instid0(SALU_CYCLE_1) | instskip(SKIP_2) | instid1(VALU_DEP_2)
	v_cmp_gt_i64_e64 s10, s[8:9], -1
	v_cmp_gt_u64_e64 s1, 0x201, s[8:9]
	s_lshl_b64 s[4:5], s[8:9], 1
	v_cndmask_b32_e64 v16, 0, 1, s10
	s_and_saveexec_b32 s3, s0
	s_cbranch_execz .LBB8_58
; %bb.48:
	v_mov_b32_e32 v1, 0
	v_mov_b32_e32 v2, 0
	s_and_not1_b32 vcc_lo, exec_lo, s10
	s_cbranch_vccnz .LBB8_58
; %bb.49:
	v_cmp_lt_i64_e64 s10, s[8:9], 1
	v_mov_b32_e32 v1, 0
	v_mov_b32_e32 v2, 0x3ff00000
	s_delay_alu instid0(VALU_DEP_3)
	s_and_b32 vcc_lo, exec_lo, s10
	s_cbranch_vccnz .LBB8_58
; %bb.50:
	s_cmp_lg_u64 s[8:9], 1
	s_cbranch_scc0 .LBB8_55
; %bb.51:
	v_mov_b32_e32 v1, 0
	v_mov_b32_e32 v2, 0x7ff80000
	s_and_not1_b32 vcc_lo, exec_lo, s1
	s_cbranch_vccnz .LBB8_54
; %bb.52:
	s_waitcnt vmcnt(0)
	v_add_f64 v[3:4], v[21:22], v[21:22]
	v_mov_b32_e32 v5, 0
	v_mov_b32_e32 v6, 0x3ff00000
	s_mov_b64 s[10:11], 2
	s_delay_alu instid0(VALU_DEP_3)
	v_dual_mov_b32 v1, v3 :: v_dual_mov_b32 v2, v4
	.p2align	6
.LBB8_53:                               ; =>This Inner Loop Header: Depth=1
	v_cvt_f64_u32_e32 v[7:8], s11
	v_cvt_f64_u32_e32 v[12:13], s10
	s_add_u32 s10, s10, 2
	s_addc_u32 s11, s11, 0
	s_delay_alu instid0(SALU_CYCLE_1) | instskip(NEXT) | instid1(VALU_DEP_1)
	v_cmp_lt_u64_e64 s12, s[10:11], s[4:5]
	s_and_b32 vcc_lo, exec_lo, s12
	s_delay_alu instid0(VALU_DEP_3) | instskip(NEXT) | instid1(VALU_DEP_1)
	v_ldexp_f64 v[7:8], v[7:8], 32
	v_add_f64 v[7:8], v[7:8], v[12:13]
	s_delay_alu instid0(VALU_DEP_1) | instskip(SKIP_1) | instid1(VALU_DEP_1)
	v_mul_f64 v[5:6], v[5:6], v[7:8]
	v_dual_mov_b32 v8, v2 :: v_dual_mov_b32 v7, v1
	v_fma_f64 v[1:2], v[3:4], v[7:8], -v[5:6]
	v_dual_mov_b32 v5, v7 :: v_dual_mov_b32 v6, v8
	s_cbranch_vccnz .LBB8_53
.LBB8_54:
	s_mov_b32 s10, 0
	s_branch .LBB8_56
.LBB8_55:
	s_mov_b32 s10, -1
                                        ; implicit-def: $vgpr1_vgpr2
.LBB8_56:
	s_delay_alu instid0(SALU_CYCLE_1)
	s_and_not1_b32 vcc_lo, exec_lo, s10
	s_cbranch_vccnz .LBB8_58
; %bb.57:
	s_waitcnt vmcnt(0)
	v_add_f64 v[1:2], v[21:22], v[21:22]
.LBB8_58:
	s_or_b32 exec_lo, exec_lo, s3
	s_delay_alu instid0(SALU_CYCLE_1)
	s_mov_b32 s3, exec_lo
	v_cmpx_gt_i32_e64 s14, v23
	s_cbranch_execz .LBB8_69
; %bb.59:
	v_cmp_ne_u32_e32 vcc_lo, 1, v16
	v_mov_b32_e32 v3, 0
	v_mov_b32_e32 v4, 0
	s_cbranch_vccnz .LBB8_69
; %bb.60:
	v_cmp_lt_i64_e64 s10, s[8:9], 1
	v_mov_b32_e32 v3, 0
	v_mov_b32_e32 v4, 0x3ff00000
	s_delay_alu instid0(VALU_DEP_3)
	s_and_b32 vcc_lo, exec_lo, s10
	s_cbranch_vccnz .LBB8_69
; %bb.61:
	s_cmp_lg_u64 s[8:9], 1
	s_cbranch_scc0 .LBB8_66
; %bb.62:
	v_mov_b32_e32 v3, 0
	v_mov_b32_e32 v4, 0x7ff80000
	s_and_not1_b32 vcc_lo, exec_lo, s1
	s_cbranch_vccnz .LBB8_65
; %bb.63:
	s_waitcnt vmcnt(0)
	v_add_f64 v[12:13], v[19:20], v[19:20]
	v_mov_b32_e32 v14, 0
	v_mov_b32_e32 v15, 0x3ff00000
	s_mov_b64 s[10:11], 2
	s_delay_alu instid0(VALU_DEP_3)
	v_dual_mov_b32 v3, v12 :: v_dual_mov_b32 v4, v13
	.p2align	6
.LBB8_64:                               ; =>This Inner Loop Header: Depth=1
	v_cvt_f64_u32_e32 v[21:22], s11
	v_cvt_f64_u32_e32 v[24:25], s10
	s_add_u32 s10, s10, 2
	s_addc_u32 s11, s11, 0
	s_delay_alu instid0(SALU_CYCLE_1) | instskip(NEXT) | instid1(VALU_DEP_1)
	v_cmp_lt_u64_e64 s12, s[10:11], s[4:5]
	s_and_b32 vcc_lo, exec_lo, s12
	s_delay_alu instid0(VALU_DEP_3) | instskip(NEXT) | instid1(VALU_DEP_1)
	v_ldexp_f64 v[21:22], v[21:22], 32
	v_add_f64 v[21:22], v[21:22], v[24:25]
	s_delay_alu instid0(VALU_DEP_1) | instskip(SKIP_1) | instid1(VALU_DEP_1)
	v_mul_f64 v[14:15], v[14:15], v[21:22]
	v_dual_mov_b32 v22, v4 :: v_dual_mov_b32 v21, v3
	v_fma_f64 v[3:4], v[12:13], v[21:22], -v[14:15]
	v_dual_mov_b32 v14, v21 :: v_dual_mov_b32 v15, v22
	s_cbranch_vccnz .LBB8_64
.LBB8_65:
	s_mov_b32 s10, 0
	s_branch .LBB8_67
.LBB8_66:
	s_mov_b32 s10, -1
.LBB8_67:
	s_delay_alu instid0(SALU_CYCLE_1)
	s_and_not1_b32 vcc_lo, exec_lo, s10
	s_cbranch_vccnz .LBB8_69
; %bb.68:
	s_waitcnt vmcnt(0)
	v_add_f64 v[3:4], v[19:20], v[19:20]
.LBB8_69:
	s_or_b32 exec_lo, exec_lo, s3
	v_or_b32_e32 v12, 0x200, v0
	s_mov_b32 s3, exec_lo
	s_delay_alu instid0(VALU_DEP_1)
	v_cmpx_gt_i32_e64 s14, v12
	s_cbranch_execz .LBB8_80
; %bb.70:
	v_cmp_ne_u32_e32 vcc_lo, 1, v16
	v_mov_b32_e32 v5, 0
	v_mov_b32_e32 v6, 0
	s_cbranch_vccnz .LBB8_80
; %bb.71:
	v_cmp_lt_i64_e64 s10, s[8:9], 1
	v_mov_b32_e32 v5, 0
	v_mov_b32_e32 v6, 0x3ff00000
	s_delay_alu instid0(VALU_DEP_3)
	s_and_b32 vcc_lo, exec_lo, s10
	s_cbranch_vccnz .LBB8_80
; %bb.72:
	s_cmp_lg_u64 s[8:9], 1
	s_cbranch_scc0 .LBB8_77
; %bb.73:
	v_mov_b32_e32 v5, 0
	v_mov_b32_e32 v6, 0x7ff80000
	s_and_not1_b32 vcc_lo, exec_lo, s1
	s_cbranch_vccnz .LBB8_76
; %bb.74:
	s_waitcnt vmcnt(0)
	v_add_f64 v[12:13], v[17:18], v[17:18]
	v_mov_b32_e32 v14, 0
	v_mov_b32_e32 v15, 0x3ff00000
	s_mov_b64 s[10:11], 2
	s_delay_alu instid0(VALU_DEP_3)
	v_dual_mov_b32 v5, v12 :: v_dual_mov_b32 v6, v13
	.p2align	6
.LBB8_75:                               ; =>This Inner Loop Header: Depth=1
	v_cvt_f64_u32_e32 v[19:20], s11
	v_cvt_f64_u32_e32 v[21:22], s10
	s_add_u32 s10, s10, 2
	s_addc_u32 s11, s11, 0
	s_delay_alu instid0(SALU_CYCLE_1) | instskip(NEXT) | instid1(VALU_DEP_1)
	v_cmp_lt_u64_e64 s12, s[10:11], s[4:5]
	s_and_b32 vcc_lo, exec_lo, s12
	s_delay_alu instid0(VALU_DEP_3) | instskip(NEXT) | instid1(VALU_DEP_1)
	v_ldexp_f64 v[19:20], v[19:20], 32
	v_add_f64 v[19:20], v[19:20], v[21:22]
	s_delay_alu instid0(VALU_DEP_1) | instskip(SKIP_1) | instid1(VALU_DEP_1)
	v_mul_f64 v[14:15], v[14:15], v[19:20]
	v_dual_mov_b32 v20, v6 :: v_dual_mov_b32 v19, v5
	v_fma_f64 v[5:6], v[12:13], v[19:20], -v[14:15]
	v_dual_mov_b32 v14, v19 :: v_dual_mov_b32 v15, v20
	s_cbranch_vccnz .LBB8_75
.LBB8_76:
	s_mov_b32 s10, 0
	s_branch .LBB8_78
.LBB8_77:
	s_mov_b32 s10, -1
.LBB8_78:
	s_delay_alu instid0(SALU_CYCLE_1)
	s_and_not1_b32 vcc_lo, exec_lo, s10
	s_cbranch_vccnz .LBB8_80
; %bb.79:
	s_waitcnt vmcnt(0)
	v_add_f64 v[5:6], v[17:18], v[17:18]
.LBB8_80:
	s_or_b32 exec_lo, exec_lo, s3
	v_or_b32_e32 v12, 0x300, v0
	s_mov_b32 s3, exec_lo
	s_delay_alu instid0(VALU_DEP_1)
	v_cmpx_gt_i32_e64 s14, v12
	s_cbranch_execz .LBB8_91
; %bb.81:
	v_cmp_ne_u32_e32 vcc_lo, 1, v16
	v_mov_b32_e32 v7, 0
	v_mov_b32_e32 v8, 0
	s_cbranch_vccnz .LBB8_91
; %bb.82:
	v_cmp_lt_i64_e64 s10, s[8:9], 1
	v_mov_b32_e32 v7, 0
	v_mov_b32_e32 v8, 0x3ff00000
	s_delay_alu instid0(VALU_DEP_3)
	s_and_b32 vcc_lo, exec_lo, s10
	s_cbranch_vccnz .LBB8_91
; %bb.83:
	s_cmp_lg_u64 s[8:9], 1
	s_cbranch_scc0 .LBB8_88
; %bb.84:
	v_mov_b32_e32 v7, 0
	v_mov_b32_e32 v8, 0x7ff80000
	s_and_not1_b32 vcc_lo, exec_lo, s1
	s_cbranch_vccnz .LBB8_87
; %bb.85:
	s_waitcnt vmcnt(0)
	v_add_f64 v[12:13], v[10:11], v[10:11]
	v_mov_b32_e32 v14, 0
	v_mov_b32_e32 v15, 0x3ff00000
	s_mov_b64 s[8:9], 2
	s_delay_alu instid0(VALU_DEP_3)
	v_dual_mov_b32 v7, v12 :: v_dual_mov_b32 v8, v13
	.p2align	6
.LBB8_86:                               ; =>This Inner Loop Header: Depth=1
	v_cvt_f64_u32_e32 v[16:17], s9
	v_cvt_f64_u32_e32 v[18:19], s8
	s_add_u32 s8, s8, 2
	s_addc_u32 s9, s9, 0
	s_delay_alu instid0(SALU_CYCLE_1) | instskip(NEXT) | instid1(VALU_DEP_1)
	v_cmp_lt_u64_e64 s1, s[8:9], s[4:5]
	s_and_b32 vcc_lo, exec_lo, s1
	s_delay_alu instid0(VALU_DEP_3) | instskip(NEXT) | instid1(VALU_DEP_1)
	v_ldexp_f64 v[16:17], v[16:17], 32
	v_add_f64 v[16:17], v[16:17], v[18:19]
	s_delay_alu instid0(VALU_DEP_1) | instskip(SKIP_1) | instid1(VALU_DEP_1)
	v_mul_f64 v[14:15], v[14:15], v[16:17]
	v_dual_mov_b32 v17, v8 :: v_dual_mov_b32 v16, v7
	v_fma_f64 v[7:8], v[12:13], v[16:17], -v[14:15]
	v_dual_mov_b32 v14, v16 :: v_dual_mov_b32 v15, v17
	s_cbranch_vccnz .LBB8_86
.LBB8_87:
	s_mov_b32 s1, 0
	s_branch .LBB8_89
.LBB8_88:
	s_mov_b32 s1, -1
.LBB8_89:
	s_delay_alu instid0(SALU_CYCLE_1)
	s_and_not1_b32 vcc_lo, exec_lo, s1
	s_cbranch_vccnz .LBB8_91
; %bb.90:
	s_waitcnt vmcnt(0)
	v_add_f64 v[7:8], v[10:11], v[10:11]
.LBB8_91:
	s_or_b32 exec_lo, exec_lo, s3
	s_and_saveexec_b32 s1, s0
	s_delay_alu instid0(SALU_CYCLE_1)
	s_xor_b32 s0, exec_lo, s1
	s_cbranch_execnz .LBB8_97
; %bb.92:
	s_or_b32 exec_lo, exec_lo, s0
	s_delay_alu instid0(SALU_CYCLE_1)
	s_mov_b32 s0, exec_lo
	v_cmpx_gt_i32_e64 s14, v0
	s_cbranch_execnz .LBB8_98
.LBB8_93:
	s_or_b32 exec_lo, exec_lo, s0
	s_delay_alu instid0(SALU_CYCLE_1)
	s_mov_b32 s0, exec_lo
	v_cmpx_gt_i32_e64 s14, v0
	s_cbranch_execnz .LBB8_99
.LBB8_94:
	s_or_b32 exec_lo, exec_lo, s0
	s_delay_alu instid0(SALU_CYCLE_1)
	s_mov_b32 s0, exec_lo
	v_cmpx_gt_i32_e64 s14, v0
	s_cbranch_execz .LBB8_96
.LBB8_95:
	v_dual_mov_b32 v1, 0 :: v_dual_add_nc_u32 v0, s2, v0
	s_delay_alu instid0(VALU_DEP_1) | instskip(NEXT) | instid1(VALU_DEP_1)
	v_lshlrev_b64 v[0:1], 3, v[0:1]
	v_add_co_u32 v0, vcc_lo, s6, v0
	s_delay_alu instid0(VALU_DEP_2)
	v_add_co_ci_u32_e32 v1, vcc_lo, s7, v1, vcc_lo
	global_store_b64 v[0:1], v[7:8], off
.LBB8_96:
	s_nop 0
	s_sendmsg sendmsg(MSG_DEALLOC_VGPRS)
	s_endpgm
.LBB8_97:
	s_waitcnt vmcnt(0)
	v_mov_b32_e32 v10, 0
	v_mov_b32_e32 v0, v23
	s_delay_alu instid0(VALU_DEP_2) | instskip(NEXT) | instid1(VALU_DEP_1)
	v_lshlrev_b64 v[9:10], 3, v[9:10]
	v_add_co_u32 v9, vcc_lo, s6, v9
	s_delay_alu instid0(VALU_DEP_2) | instskip(SKIP_2) | instid1(SALU_CYCLE_1)
	v_add_co_ci_u32_e32 v10, vcc_lo, s7, v10, vcc_lo
	global_store_b64 v[9:10], v[1:2], off
	s_or_b32 exec_lo, exec_lo, s0
	s_mov_b32 s0, exec_lo
	v_cmpx_gt_i32_e64 s14, v0
	s_cbranch_execz .LBB8_93
.LBB8_98:
	v_dual_mov_b32 v2, 0 :: v_dual_add_nc_u32 v1, s2, v0
	v_add_nc_u32_e32 v0, 0x100, v0
	s_delay_alu instid0(VALU_DEP_2) | instskip(NEXT) | instid1(VALU_DEP_1)
	v_lshlrev_b64 v[1:2], 3, v[1:2]
	v_add_co_u32 v1, vcc_lo, s6, v1
	s_delay_alu instid0(VALU_DEP_2) | instskip(SKIP_2) | instid1(SALU_CYCLE_1)
	v_add_co_ci_u32_e32 v2, vcc_lo, s7, v2, vcc_lo
	global_store_b64 v[1:2], v[3:4], off
	s_or_b32 exec_lo, exec_lo, s0
	s_mov_b32 s0, exec_lo
	v_cmpx_gt_i32_e64 s14, v0
	s_cbranch_execz .LBB8_94
.LBB8_99:
	v_dual_mov_b32 v2, 0 :: v_dual_add_nc_u32 v1, s2, v0
	v_add_nc_u32_e32 v0, 0x100, v0
	s_delay_alu instid0(VALU_DEP_2) | instskip(NEXT) | instid1(VALU_DEP_1)
	v_lshlrev_b64 v[1:2], 3, v[1:2]
	v_add_co_u32 v1, vcc_lo, s6, v1
	s_delay_alu instid0(VALU_DEP_2) | instskip(SKIP_2) | instid1(SALU_CYCLE_1)
	v_add_co_ci_u32_e32 v2, vcc_lo, s7, v2, vcc_lo
	global_store_b64 v[1:2], v[5:6], off
	s_or_b32 exec_lo, exec_lo, s0
	s_mov_b32 s0, exec_lo
	v_cmpx_gt_i32_e64 s14, v0
	s_cbranch_execnz .LBB8_95
	s_branch .LBB8_96
	.section	.rodata,"a",@progbits
	.p2align	6, 0x0
	.amdhsa_kernel _ZN2at6native29vectorized_elementwise_kernelILi16ENS0_13BUnaryFunctorIdddZZZNS0_12_GLOBAL__N_132hermite_polynomial_h_kernel_cudaERNS_18TensorIteratorBaseEENKUlvE_clEvENKUlvE_clEvEUlddE_EESt5arrayIPcLm2EEEEviT0_T1_
		.amdhsa_group_segment_fixed_size 0
		.amdhsa_private_segment_fixed_size 0
		.amdhsa_kernarg_size 40
		.amdhsa_user_sgpr_count 15
		.amdhsa_user_sgpr_dispatch_ptr 0
		.amdhsa_user_sgpr_queue_ptr 0
		.amdhsa_user_sgpr_kernarg_segment_ptr 1
		.amdhsa_user_sgpr_dispatch_id 0
		.amdhsa_user_sgpr_private_segment_size 0
		.amdhsa_wavefront_size32 1
		.amdhsa_uses_dynamic_stack 0
		.amdhsa_enable_private_segment 0
		.amdhsa_system_sgpr_workgroup_id_x 1
		.amdhsa_system_sgpr_workgroup_id_y 0
		.amdhsa_system_sgpr_workgroup_id_z 0
		.amdhsa_system_sgpr_workgroup_info 0
		.amdhsa_system_vgpr_workitem_id 0
		.amdhsa_next_free_vgpr 26
		.amdhsa_next_free_sgpr 18
		.amdhsa_reserve_vcc 1
		.amdhsa_float_round_mode_32 0
		.amdhsa_float_round_mode_16_64 0
		.amdhsa_float_denorm_mode_32 3
		.amdhsa_float_denorm_mode_16_64 3
		.amdhsa_dx10_clamp 1
		.amdhsa_ieee_mode 1
		.amdhsa_fp16_overflow 0
		.amdhsa_workgroup_processor_mode 1
		.amdhsa_memory_ordered 1
		.amdhsa_forward_progress 0
		.amdhsa_shared_vgpr_count 0
		.amdhsa_exception_fp_ieee_invalid_op 0
		.amdhsa_exception_fp_denorm_src 0
		.amdhsa_exception_fp_ieee_div_zero 0
		.amdhsa_exception_fp_ieee_overflow 0
		.amdhsa_exception_fp_ieee_underflow 0
		.amdhsa_exception_fp_ieee_inexact 0
		.amdhsa_exception_int_div_zero 0
	.end_amdhsa_kernel
	.section	.text._ZN2at6native29vectorized_elementwise_kernelILi16ENS0_13BUnaryFunctorIdddZZZNS0_12_GLOBAL__N_132hermite_polynomial_h_kernel_cudaERNS_18TensorIteratorBaseEENKUlvE_clEvENKUlvE_clEvEUlddE_EESt5arrayIPcLm2EEEEviT0_T1_,"axG",@progbits,_ZN2at6native29vectorized_elementwise_kernelILi16ENS0_13BUnaryFunctorIdddZZZNS0_12_GLOBAL__N_132hermite_polynomial_h_kernel_cudaERNS_18TensorIteratorBaseEENKUlvE_clEvENKUlvE_clEvEUlddE_EESt5arrayIPcLm2EEEEviT0_T1_,comdat
.Lfunc_end8:
	.size	_ZN2at6native29vectorized_elementwise_kernelILi16ENS0_13BUnaryFunctorIdddZZZNS0_12_GLOBAL__N_132hermite_polynomial_h_kernel_cudaERNS_18TensorIteratorBaseEENKUlvE_clEvENKUlvE_clEvEUlddE_EESt5arrayIPcLm2EEEEviT0_T1_, .Lfunc_end8-_ZN2at6native29vectorized_elementwise_kernelILi16ENS0_13BUnaryFunctorIdddZZZNS0_12_GLOBAL__N_132hermite_polynomial_h_kernel_cudaERNS_18TensorIteratorBaseEENKUlvE_clEvENKUlvE_clEvEUlddE_EESt5arrayIPcLm2EEEEviT0_T1_
                                        ; -- End function
	.section	.AMDGPU.csdata,"",@progbits
; Kernel info:
; codeLenInByte = 3032
; NumSgprs: 20
; NumVgprs: 26
; ScratchSize: 0
; MemoryBound: 0
; FloatMode: 240
; IeeeMode: 1
; LDSByteSize: 0 bytes/workgroup (compile time only)
; SGPRBlocks: 2
; VGPRBlocks: 3
; NumSGPRsForWavesPerEU: 20
; NumVGPRsForWavesPerEU: 26
; Occupancy: 16
; WaveLimiterHint : 0
; COMPUTE_PGM_RSRC2:SCRATCH_EN: 0
; COMPUTE_PGM_RSRC2:USER_SGPR: 15
; COMPUTE_PGM_RSRC2:TRAP_HANDLER: 0
; COMPUTE_PGM_RSRC2:TGID_X_EN: 1
; COMPUTE_PGM_RSRC2:TGID_Y_EN: 0
; COMPUTE_PGM_RSRC2:TGID_Z_EN: 0
; COMPUTE_PGM_RSRC2:TIDIG_COMP_CNT: 0
	.section	.text._ZN2at6native29vectorized_elementwise_kernelILi8ENS0_13BUnaryFunctorIdddZZZNS0_12_GLOBAL__N_132hermite_polynomial_h_kernel_cudaERNS_18TensorIteratorBaseEENKUlvE_clEvENKUlvE_clEvEUlddE_EESt5arrayIPcLm2EEEEviT0_T1_,"axG",@progbits,_ZN2at6native29vectorized_elementwise_kernelILi8ENS0_13BUnaryFunctorIdddZZZNS0_12_GLOBAL__N_132hermite_polynomial_h_kernel_cudaERNS_18TensorIteratorBaseEENKUlvE_clEvENKUlvE_clEvEUlddE_EESt5arrayIPcLm2EEEEviT0_T1_,comdat
	.globl	_ZN2at6native29vectorized_elementwise_kernelILi8ENS0_13BUnaryFunctorIdddZZZNS0_12_GLOBAL__N_132hermite_polynomial_h_kernel_cudaERNS_18TensorIteratorBaseEENKUlvE_clEvENKUlvE_clEvEUlddE_EESt5arrayIPcLm2EEEEviT0_T1_ ; -- Begin function _ZN2at6native29vectorized_elementwise_kernelILi8ENS0_13BUnaryFunctorIdddZZZNS0_12_GLOBAL__N_132hermite_polynomial_h_kernel_cudaERNS_18TensorIteratorBaseEENKUlvE_clEvENKUlvE_clEvEUlddE_EESt5arrayIPcLm2EEEEviT0_T1_
	.p2align	8
	.type	_ZN2at6native29vectorized_elementwise_kernelILi8ENS0_13BUnaryFunctorIdddZZZNS0_12_GLOBAL__N_132hermite_polynomial_h_kernel_cudaERNS_18TensorIteratorBaseEENKUlvE_clEvENKUlvE_clEvEUlddE_EESt5arrayIPcLm2EEEEviT0_T1_,@function
_ZN2at6native29vectorized_elementwise_kernelILi8ENS0_13BUnaryFunctorIdddZZZNS0_12_GLOBAL__N_132hermite_polynomial_h_kernel_cudaERNS_18TensorIteratorBaseEENKUlvE_clEvENKUlvE_clEvEUlddE_EESt5arrayIPcLm2EEEEviT0_T1_: ; @_ZN2at6native29vectorized_elementwise_kernelILi8ENS0_13BUnaryFunctorIdddZZZNS0_12_GLOBAL__N_132hermite_polynomial_h_kernel_cudaERNS_18TensorIteratorBaseEENKUlvE_clEvENKUlvE_clEvEUlddE_EESt5arrayIPcLm2EEEEviT0_T1_
; %bb.0:
	s_load_b128 s[4:7], s[0:1], 0x10
	s_lshl_b32 s2, s15, 10
	s_waitcnt lgkmcnt(0)
	v_trunc_f64_e32 v[13:14], s[4:5]
	v_cmp_class_f64_e64 s16, s[4:5], 0x1f8
	s_clause 0x1
	s_load_b32 s3, s[0:1], 0x0
	s_load_b64 s[4:5], s[0:1], 0x20
	s_mov_b32 s0, -1
	s_waitcnt lgkmcnt(0)
	s_sub_i32 s14, s3, s2
	s_delay_alu instid0(SALU_CYCLE_1) | instskip(NEXT) | instid1(VALU_DEP_2)
	s_cmpk_gt_i32 s14, 0x3ff
	v_ldexp_f64 v[15:16], v[13:14], 0xffffffe0
	s_cbranch_scc0 .LBB9_38
; %bb.1:
	s_ashr_i32 s3, s2, 31
	v_lshlrev_b32_e32 v19, 5, v0
	s_lshl_b64 s[0:1], s[2:3], 3
	s_delay_alu instid0(VALU_DEP_2)
	v_floor_f64_e32 v[5:6], v[15:16]
	s_add_u32 s8, s4, s0
	s_addc_u32 s9, s5, s1
	s_clause 0x1
	global_load_b128 v[1:4], v19, s[8:9] offset:16
	global_load_b128 v[7:10], v19, s[8:9]
	s_and_b32 s9, s16, exec_lo
	v_fma_f64 v[11:12], 0xc1f00000, v[5:6], v[13:14]
	v_cvt_i32_f64_e32 v5, v[5:6]
	s_delay_alu instid0(VALU_DEP_2) | instskip(NEXT) | instid1(VALU_DEP_2)
	v_cvt_u32_f64_e32 v6, v[11:12]
	v_readfirstlane_b32 s3, v5
	s_delay_alu instid0(VALU_DEP_1) | instskip(NEXT) | instid1(VALU_DEP_2)
	s_cselect_b32 s11, s3, -1
	v_readfirstlane_b32 s8, v6
	v_mov_b32_e32 v5, 0
	v_mov_b32_e32 v6, 0
	s_delay_alu instid0(VALU_DEP_3) | instskip(NEXT) | instid1(SALU_CYCLE_1)
	s_cselect_b32 s10, s8, -1
	v_cmp_lt_i64_e64 s8, s[10:11], 0
	v_cmp_gt_i64_e64 s15, s[10:11], -1
	v_cmp_gt_u64_e64 s3, 0x201, s[10:11]
	v_cmp_lt_i64_e64 s12, s[10:11], 1
	s_delay_alu instid0(VALU_DEP_4)
	s_and_b32 vcc_lo, exec_lo, s8
	s_lshl_b64 s[8:9], s[10:11], 1
	s_cbranch_vccnz .LBB9_10
; %bb.2:
	v_mov_b32_e32 v5, 0
	v_mov_b32_e32 v6, 0x3ff00000
	s_and_b32 vcc_lo, exec_lo, s12
	s_cbranch_vccnz .LBB9_10
; %bb.3:
	s_cmp_lg_u64 s[10:11], 1
	s_cbranch_scc0 .LBB9_8
; %bb.4:
	v_mov_b32_e32 v5, 0
	v_mov_b32_e32 v6, 0x7ff80000
	s_and_not1_b32 vcc_lo, exec_lo, s3
	s_cbranch_vccnz .LBB9_7
; %bb.5:
	s_waitcnt vmcnt(0)
	v_add_f64 v[11:12], v[7:8], v[7:8]
	v_mov_b32_e32 v17, 0
	v_mov_b32_e32 v18, 0x3ff00000
	s_mov_b64 s[12:13], 2
	s_delay_alu instid0(VALU_DEP_3)
	v_dual_mov_b32 v5, v11 :: v_dual_mov_b32 v6, v12
	.p2align	6
.LBB9_6:                                ; =>This Inner Loop Header: Depth=1
	v_cvt_f64_u32_e32 v[20:21], s13
	v_cvt_f64_u32_e32 v[22:23], s12
	s_add_u32 s12, s12, 2
	s_addc_u32 s13, s13, 0
	s_delay_alu instid0(SALU_CYCLE_1) | instskip(NEXT) | instid1(VALU_DEP_1)
	v_cmp_lt_u64_e64 s17, s[12:13], s[8:9]
	s_and_b32 vcc_lo, exec_lo, s17
	s_delay_alu instid0(VALU_DEP_3) | instskip(NEXT) | instid1(VALU_DEP_1)
	v_ldexp_f64 v[20:21], v[20:21], 32
	v_add_f64 v[20:21], v[20:21], v[22:23]
	s_delay_alu instid0(VALU_DEP_1) | instskip(SKIP_1) | instid1(VALU_DEP_1)
	v_mul_f64 v[17:18], v[17:18], v[20:21]
	v_dual_mov_b32 v21, v6 :: v_dual_mov_b32 v20, v5
	v_fma_f64 v[5:6], v[11:12], v[20:21], -v[17:18]
	v_dual_mov_b32 v17, v20 :: v_dual_mov_b32 v18, v21
	s_cbranch_vccnz .LBB9_6
.LBB9_7:
	s_cbranch_execz .LBB9_9
	s_branch .LBB9_10
.LBB9_8:
                                        ; implicit-def: $vgpr5_vgpr6
.LBB9_9:
	s_waitcnt vmcnt(0)
	v_add_f64 v[5:6], v[7:8], v[7:8]
.LBB9_10:
	s_waitcnt vmcnt(0)
	v_mov_b32_e32 v7, 0
	v_cndmask_b32_e64 v20, 0, 1, s15
	v_mov_b32_e32 v8, 0
	s_and_not1_b32 vcc_lo, exec_lo, s15
	s_cbranch_vccnz .LBB9_19
; %bb.11:
	v_cmp_lt_i64_e64 s12, s[10:11], 1
	v_mov_b32_e32 v7, 0
	v_mov_b32_e32 v8, 0x3ff00000
	s_delay_alu instid0(VALU_DEP_3)
	s_and_b32 vcc_lo, exec_lo, s12
	s_cbranch_vccnz .LBB9_19
; %bb.12:
	s_cmp_lg_u64 s[10:11], 1
	s_cbranch_scc0 .LBB9_17
; %bb.13:
	v_mov_b32_e32 v7, 0
	v_mov_b32_e32 v8, 0x7ff80000
	s_and_not1_b32 vcc_lo, exec_lo, s3
	s_cbranch_vccnz .LBB9_16
; %bb.14:
	v_add_f64 v[11:12], v[9:10], v[9:10]
	v_mov_b32_e32 v17, 0
	v_mov_b32_e32 v18, 0x3ff00000
	s_mov_b64 s[12:13], 2
	s_delay_alu instid0(VALU_DEP_3)
	v_dual_mov_b32 v7, v11 :: v_dual_mov_b32 v8, v12
	.p2align	6
.LBB9_15:                               ; =>This Inner Loop Header: Depth=1
	v_cvt_f64_u32_e32 v[21:22], s13
	v_cvt_f64_u32_e32 v[23:24], s12
	s_add_u32 s12, s12, 2
	s_addc_u32 s13, s13, 0
	s_delay_alu instid0(SALU_CYCLE_1) | instskip(NEXT) | instid1(VALU_DEP_1)
	v_cmp_lt_u64_e64 s15, s[12:13], s[8:9]
	s_and_b32 vcc_lo, exec_lo, s15
	s_delay_alu instid0(VALU_DEP_3) | instskip(NEXT) | instid1(VALU_DEP_1)
	v_ldexp_f64 v[21:22], v[21:22], 32
	v_add_f64 v[21:22], v[21:22], v[23:24]
	s_delay_alu instid0(VALU_DEP_1) | instskip(SKIP_1) | instid1(VALU_DEP_1)
	v_mul_f64 v[17:18], v[17:18], v[21:22]
	v_dual_mov_b32 v22, v8 :: v_dual_mov_b32 v21, v7
	v_fma_f64 v[7:8], v[11:12], v[21:22], -v[17:18]
	v_dual_mov_b32 v17, v21 :: v_dual_mov_b32 v18, v22
	s_cbranch_vccnz .LBB9_15
.LBB9_16:
	s_cbranch_execz .LBB9_18
	s_branch .LBB9_19
.LBB9_17:
.LBB9_18:
	v_add_f64 v[7:8], v[9:10], v[9:10]
.LBB9_19:
	s_delay_alu instid0(VALU_DEP_2)
	v_cmp_ne_u32_e32 vcc_lo, 1, v20
	v_mov_b32_e32 v9, 0
	v_mov_b32_e32 v10, 0
	s_cbranch_vccnz .LBB9_28
; %bb.20:
	v_cmp_lt_i64_e64 s12, s[10:11], 1
	v_mov_b32_e32 v9, 0
	v_mov_b32_e32 v10, 0x3ff00000
	s_delay_alu instid0(VALU_DEP_3)
	s_and_b32 vcc_lo, exec_lo, s12
	s_cbranch_vccnz .LBB9_28
; %bb.21:
	s_cmp_lg_u64 s[10:11], 1
	s_cbranch_scc0 .LBB9_26
; %bb.22:
	v_mov_b32_e32 v9, 0
	v_mov_b32_e32 v10, 0x7ff80000
	s_and_not1_b32 vcc_lo, exec_lo, s3
	s_cbranch_vccnz .LBB9_25
; %bb.23:
	v_add_f64 v[11:12], v[1:2], v[1:2]
	v_mov_b32_e32 v17, 0
	v_mov_b32_e32 v18, 0x3ff00000
	s_mov_b64 s[12:13], 2
	s_delay_alu instid0(VALU_DEP_3)
	v_dual_mov_b32 v9, v11 :: v_dual_mov_b32 v10, v12
	.p2align	6
.LBB9_24:                               ; =>This Inner Loop Header: Depth=1
	v_cvt_f64_u32_e32 v[21:22], s13
	v_cvt_f64_u32_e32 v[23:24], s12
	s_add_u32 s12, s12, 2
	s_addc_u32 s13, s13, 0
	s_delay_alu instid0(SALU_CYCLE_1) | instskip(NEXT) | instid1(VALU_DEP_1)
	v_cmp_lt_u64_e64 s15, s[12:13], s[8:9]
	s_and_b32 vcc_lo, exec_lo, s15
	s_delay_alu instid0(VALU_DEP_3) | instskip(NEXT) | instid1(VALU_DEP_1)
	v_ldexp_f64 v[21:22], v[21:22], 32
	v_add_f64 v[21:22], v[21:22], v[23:24]
	s_delay_alu instid0(VALU_DEP_1) | instskip(SKIP_1) | instid1(VALU_DEP_1)
	v_mul_f64 v[17:18], v[17:18], v[21:22]
	v_dual_mov_b32 v22, v10 :: v_dual_mov_b32 v21, v9
	v_fma_f64 v[9:10], v[11:12], v[21:22], -v[17:18]
	v_dual_mov_b32 v17, v21 :: v_dual_mov_b32 v18, v22
	s_cbranch_vccnz .LBB9_24
.LBB9_25:
	s_cbranch_execz .LBB9_27
	s_branch .LBB9_28
.LBB9_26:
                                        ; implicit-def: $vgpr9_vgpr10
.LBB9_27:
	v_add_f64 v[9:10], v[1:2], v[1:2]
.LBB9_28:
	v_cmp_ne_u32_e32 vcc_lo, 1, v20
	v_mov_b32_e32 v11, 0
	v_mov_b32_e32 v12, 0
	s_cbranch_vccnz .LBB9_37
; %bb.29:
	v_cmp_lt_i64_e64 s12, s[10:11], 1
	v_mov_b32_e32 v11, 0
	v_mov_b32_e32 v12, 0x3ff00000
	s_delay_alu instid0(VALU_DEP_3)
	s_and_b32 vcc_lo, exec_lo, s12
	s_cbranch_vccnz .LBB9_37
; %bb.30:
	s_cmp_lg_u64 s[10:11], 1
	s_cbranch_scc0 .LBB9_35
; %bb.31:
	v_mov_b32_e32 v11, 0
	v_mov_b32_e32 v12, 0x7ff80000
	s_and_not1_b32 vcc_lo, exec_lo, s3
	s_cbranch_vccnz .LBB9_34
; %bb.32:
	v_add_f64 v[1:2], v[3:4], v[3:4]
	v_mov_b32_e32 v17, 0
	v_mov_b32_e32 v18, 0x3ff00000
	s_mov_b64 s[10:11], 2
	s_delay_alu instid0(VALU_DEP_3)
	v_dual_mov_b32 v12, v2 :: v_dual_mov_b32 v11, v1
	.p2align	6
.LBB9_33:                               ; =>This Inner Loop Header: Depth=1
	v_cvt_f64_u32_e32 v[20:21], s11
	v_cvt_f64_u32_e32 v[22:23], s10
	s_add_u32 s10, s10, 2
	s_addc_u32 s11, s11, 0
	s_delay_alu instid0(SALU_CYCLE_1) | instskip(NEXT) | instid1(VALU_DEP_1)
	v_cmp_lt_u64_e64 s3, s[10:11], s[8:9]
	s_and_b32 vcc_lo, exec_lo, s3
	s_delay_alu instid0(VALU_DEP_3) | instskip(NEXT) | instid1(VALU_DEP_1)
	v_ldexp_f64 v[20:21], v[20:21], 32
	v_add_f64 v[20:21], v[20:21], v[22:23]
	s_delay_alu instid0(VALU_DEP_1) | instskip(SKIP_1) | instid1(VALU_DEP_1)
	v_mul_f64 v[17:18], v[17:18], v[20:21]
	v_dual_mov_b32 v21, v12 :: v_dual_mov_b32 v20, v11
	v_fma_f64 v[11:12], v[1:2], v[20:21], -v[17:18]
	v_dual_mov_b32 v17, v20 :: v_dual_mov_b32 v18, v21
	s_cbranch_vccnz .LBB9_33
.LBB9_34:
	s_cbranch_execz .LBB9_36
	s_branch .LBB9_37
.LBB9_35:
.LBB9_36:
	v_add_f64 v[11:12], v[3:4], v[3:4]
.LBB9_37:
	s_add_u32 s8, s6, s0
	s_addc_u32 s9, s7, s1
	s_mov_b32 s0, 0
	s_clause 0x1
	global_store_b128 v19, v[5:8], s[8:9]
	global_store_b128 v19, v[9:12], s[8:9] offset:16
.LBB9_38:
	s_and_b32 vcc_lo, exec_lo, s0
	s_cbranch_vccz .LBB9_96
; %bb.39:
	v_mov_b32_e32 v19, 0
	v_dual_mov_b32 v20, 0 :: v_dual_mov_b32 v1, v0
	v_cmp_gt_i32_e64 s0, s14, v0
	v_or_b32_e32 v9, s2, v0
	v_or_b32_e32 v23, 0x100, v0
	s_delay_alu instid0(VALU_DEP_4) | instskip(NEXT) | instid1(VALU_DEP_4)
	v_dual_mov_b32 v22, v20 :: v_dual_mov_b32 v21, v19
	s_and_saveexec_b32 s1, s0
	s_cbranch_execz .LBB9_41
; %bb.40:
	v_mov_b32_e32 v10, 0
	s_delay_alu instid0(VALU_DEP_1) | instskip(NEXT) | instid1(VALU_DEP_1)
	v_lshlrev_b64 v[1:2], 3, v[9:10]
	v_add_co_u32 v1, vcc_lo, s4, v1
	s_delay_alu instid0(VALU_DEP_2)
	v_add_co_ci_u32_e32 v2, vcc_lo, s5, v2, vcc_lo
	global_load_b64 v[21:22], v[1:2], off
	v_or_b32_e32 v1, 0x100, v0
.LBB9_41:
	s_or_b32 exec_lo, exec_lo, s1
	s_delay_alu instid0(SALU_CYCLE_1) | instskip(NEXT) | instid1(VALU_DEP_1)
	s_mov_b32 s1, exec_lo
	v_cmpx_gt_i32_e64 s14, v1
	s_cbranch_execz .LBB9_43
; %bb.42:
	v_dual_mov_b32 v3, 0 :: v_dual_add_nc_u32 v2, s2, v1
	v_add_nc_u32_e32 v1, 0x100, v1
	s_delay_alu instid0(VALU_DEP_2) | instskip(NEXT) | instid1(VALU_DEP_1)
	v_lshlrev_b64 v[2:3], 3, v[2:3]
	v_add_co_u32 v2, vcc_lo, s4, v2
	s_delay_alu instid0(VALU_DEP_2)
	v_add_co_ci_u32_e32 v3, vcc_lo, s5, v3, vcc_lo
	global_load_b64 v[19:20], v[2:3], off
.LBB9_43:
	s_or_b32 exec_lo, exec_lo, s1
	v_mov_b32_e32 v10, 0
	v_mov_b32_e32 v11, 0
	s_mov_b32 s1, exec_lo
	s_delay_alu instid0(VALU_DEP_1)
	v_dual_mov_b32 v18, v11 :: v_dual_mov_b32 v17, v10
	v_cmpx_gt_i32_e64 s14, v1
	s_cbranch_execz .LBB9_45
; %bb.44:
	v_dual_mov_b32 v3, 0 :: v_dual_add_nc_u32 v2, s2, v1
	v_add_nc_u32_e32 v1, 0x100, v1
	s_delay_alu instid0(VALU_DEP_2) | instskip(NEXT) | instid1(VALU_DEP_1)
	v_lshlrev_b64 v[2:3], 3, v[2:3]
	v_add_co_u32 v2, vcc_lo, s4, v2
	s_delay_alu instid0(VALU_DEP_2)
	v_add_co_ci_u32_e32 v3, vcc_lo, s5, v3, vcc_lo
	global_load_b64 v[17:18], v[2:3], off
.LBB9_45:
	s_or_b32 exec_lo, exec_lo, s1
	s_delay_alu instid0(SALU_CYCLE_1)
	s_mov_b32 s1, exec_lo
	v_cmpx_gt_i32_e64 s14, v1
	s_cbranch_execz .LBB9_47
; %bb.46:
	v_dual_mov_b32 v2, 0 :: v_dual_add_nc_u32 v1, s2, v1
	s_delay_alu instid0(VALU_DEP_1) | instskip(NEXT) | instid1(VALU_DEP_1)
	v_lshlrev_b64 v[1:2], 3, v[1:2]
	v_add_co_u32 v1, vcc_lo, s4, v1
	s_delay_alu instid0(VALU_DEP_2)
	v_add_co_ci_u32_e32 v2, vcc_lo, s5, v2, vcc_lo
	global_load_b64 v[10:11], v[1:2], off
.LBB9_47:
	s_or_b32 exec_lo, exec_lo, s1
	v_floor_f64_e32 v[1:2], v[15:16]
	s_and_b32 s4, s16, exec_lo
	s_delay_alu instid0(VALU_DEP_1) | instskip(SKIP_1) | instid1(VALU_DEP_2)
	v_fma_f64 v[3:4], 0xc1f00000, v[1:2], v[13:14]
	v_cvt_i32_f64_e32 v1, v[1:2]
	v_cvt_u32_f64_e32 v2, v[3:4]
	s_delay_alu instid0(VALU_DEP_2) | instskip(NEXT) | instid1(VALU_DEP_1)
	v_readfirstlane_b32 s1, v1
	s_cselect_b32 s9, s1, -1
	s_delay_alu instid0(VALU_DEP_2) | instskip(NEXT) | instid1(VALU_DEP_1)
	v_readfirstlane_b32 s3, v2
                                        ; implicit-def: $vgpr1_vgpr2_vgpr3_vgpr4_vgpr5_vgpr6_vgpr7_vgpr8
	s_cselect_b32 s8, s3, -1
	s_delay_alu instid0(SALU_CYCLE_1) | instskip(SKIP_2) | instid1(VALU_DEP_2)
	v_cmp_gt_i64_e64 s10, s[8:9], -1
	v_cmp_gt_u64_e64 s1, 0x201, s[8:9]
	s_lshl_b64 s[4:5], s[8:9], 1
	v_cndmask_b32_e64 v16, 0, 1, s10
	s_and_saveexec_b32 s3, s0
	s_cbranch_execz .LBB9_58
; %bb.48:
	v_mov_b32_e32 v1, 0
	v_mov_b32_e32 v2, 0
	s_and_not1_b32 vcc_lo, exec_lo, s10
	s_cbranch_vccnz .LBB9_58
; %bb.49:
	v_cmp_lt_i64_e64 s10, s[8:9], 1
	v_mov_b32_e32 v1, 0
	v_mov_b32_e32 v2, 0x3ff00000
	s_delay_alu instid0(VALU_DEP_3)
	s_and_b32 vcc_lo, exec_lo, s10
	s_cbranch_vccnz .LBB9_58
; %bb.50:
	s_cmp_lg_u64 s[8:9], 1
	s_cbranch_scc0 .LBB9_55
; %bb.51:
	v_mov_b32_e32 v1, 0
	v_mov_b32_e32 v2, 0x7ff80000
	s_and_not1_b32 vcc_lo, exec_lo, s1
	s_cbranch_vccnz .LBB9_54
; %bb.52:
	s_waitcnt vmcnt(0)
	v_add_f64 v[3:4], v[21:22], v[21:22]
	v_mov_b32_e32 v5, 0
	v_mov_b32_e32 v6, 0x3ff00000
	s_mov_b64 s[10:11], 2
	s_delay_alu instid0(VALU_DEP_3)
	v_dual_mov_b32 v1, v3 :: v_dual_mov_b32 v2, v4
	.p2align	6
.LBB9_53:                               ; =>This Inner Loop Header: Depth=1
	v_cvt_f64_u32_e32 v[7:8], s11
	v_cvt_f64_u32_e32 v[12:13], s10
	s_add_u32 s10, s10, 2
	s_addc_u32 s11, s11, 0
	s_delay_alu instid0(SALU_CYCLE_1) | instskip(NEXT) | instid1(VALU_DEP_1)
	v_cmp_lt_u64_e64 s12, s[10:11], s[4:5]
	s_and_b32 vcc_lo, exec_lo, s12
	s_delay_alu instid0(VALU_DEP_3) | instskip(NEXT) | instid1(VALU_DEP_1)
	v_ldexp_f64 v[7:8], v[7:8], 32
	v_add_f64 v[7:8], v[7:8], v[12:13]
	s_delay_alu instid0(VALU_DEP_1) | instskip(SKIP_1) | instid1(VALU_DEP_1)
	v_mul_f64 v[5:6], v[5:6], v[7:8]
	v_dual_mov_b32 v8, v2 :: v_dual_mov_b32 v7, v1
	v_fma_f64 v[1:2], v[3:4], v[7:8], -v[5:6]
	v_dual_mov_b32 v5, v7 :: v_dual_mov_b32 v6, v8
	s_cbranch_vccnz .LBB9_53
.LBB9_54:
	s_mov_b32 s10, 0
	s_branch .LBB9_56
.LBB9_55:
	s_mov_b32 s10, -1
                                        ; implicit-def: $vgpr1_vgpr2
.LBB9_56:
	s_delay_alu instid0(SALU_CYCLE_1)
	s_and_not1_b32 vcc_lo, exec_lo, s10
	s_cbranch_vccnz .LBB9_58
; %bb.57:
	s_waitcnt vmcnt(0)
	v_add_f64 v[1:2], v[21:22], v[21:22]
.LBB9_58:
	s_or_b32 exec_lo, exec_lo, s3
	s_delay_alu instid0(SALU_CYCLE_1)
	s_mov_b32 s3, exec_lo
	v_cmpx_gt_i32_e64 s14, v23
	s_cbranch_execz .LBB9_69
; %bb.59:
	v_cmp_ne_u32_e32 vcc_lo, 1, v16
	v_mov_b32_e32 v3, 0
	v_mov_b32_e32 v4, 0
	s_cbranch_vccnz .LBB9_69
; %bb.60:
	v_cmp_lt_i64_e64 s10, s[8:9], 1
	v_mov_b32_e32 v3, 0
	v_mov_b32_e32 v4, 0x3ff00000
	s_delay_alu instid0(VALU_DEP_3)
	s_and_b32 vcc_lo, exec_lo, s10
	s_cbranch_vccnz .LBB9_69
; %bb.61:
	s_cmp_lg_u64 s[8:9], 1
	s_cbranch_scc0 .LBB9_66
; %bb.62:
	v_mov_b32_e32 v3, 0
	v_mov_b32_e32 v4, 0x7ff80000
	s_and_not1_b32 vcc_lo, exec_lo, s1
	s_cbranch_vccnz .LBB9_65
; %bb.63:
	s_waitcnt vmcnt(0)
	v_add_f64 v[12:13], v[19:20], v[19:20]
	v_mov_b32_e32 v14, 0
	v_mov_b32_e32 v15, 0x3ff00000
	s_mov_b64 s[10:11], 2
	s_delay_alu instid0(VALU_DEP_3)
	v_dual_mov_b32 v3, v12 :: v_dual_mov_b32 v4, v13
	.p2align	6
.LBB9_64:                               ; =>This Inner Loop Header: Depth=1
	v_cvt_f64_u32_e32 v[21:22], s11
	v_cvt_f64_u32_e32 v[24:25], s10
	s_add_u32 s10, s10, 2
	s_addc_u32 s11, s11, 0
	s_delay_alu instid0(SALU_CYCLE_1) | instskip(NEXT) | instid1(VALU_DEP_1)
	v_cmp_lt_u64_e64 s12, s[10:11], s[4:5]
	s_and_b32 vcc_lo, exec_lo, s12
	s_delay_alu instid0(VALU_DEP_3) | instskip(NEXT) | instid1(VALU_DEP_1)
	v_ldexp_f64 v[21:22], v[21:22], 32
	v_add_f64 v[21:22], v[21:22], v[24:25]
	s_delay_alu instid0(VALU_DEP_1) | instskip(SKIP_1) | instid1(VALU_DEP_1)
	v_mul_f64 v[14:15], v[14:15], v[21:22]
	v_dual_mov_b32 v22, v4 :: v_dual_mov_b32 v21, v3
	v_fma_f64 v[3:4], v[12:13], v[21:22], -v[14:15]
	v_dual_mov_b32 v14, v21 :: v_dual_mov_b32 v15, v22
	s_cbranch_vccnz .LBB9_64
.LBB9_65:
	s_mov_b32 s10, 0
	s_branch .LBB9_67
.LBB9_66:
	s_mov_b32 s10, -1
.LBB9_67:
	s_delay_alu instid0(SALU_CYCLE_1)
	s_and_not1_b32 vcc_lo, exec_lo, s10
	s_cbranch_vccnz .LBB9_69
; %bb.68:
	s_waitcnt vmcnt(0)
	v_add_f64 v[3:4], v[19:20], v[19:20]
.LBB9_69:
	s_or_b32 exec_lo, exec_lo, s3
	v_or_b32_e32 v12, 0x200, v0
	s_mov_b32 s3, exec_lo
	s_delay_alu instid0(VALU_DEP_1)
	v_cmpx_gt_i32_e64 s14, v12
	s_cbranch_execz .LBB9_80
; %bb.70:
	v_cmp_ne_u32_e32 vcc_lo, 1, v16
	v_mov_b32_e32 v5, 0
	v_mov_b32_e32 v6, 0
	s_cbranch_vccnz .LBB9_80
; %bb.71:
	v_cmp_lt_i64_e64 s10, s[8:9], 1
	v_mov_b32_e32 v5, 0
	v_mov_b32_e32 v6, 0x3ff00000
	s_delay_alu instid0(VALU_DEP_3)
	s_and_b32 vcc_lo, exec_lo, s10
	s_cbranch_vccnz .LBB9_80
; %bb.72:
	s_cmp_lg_u64 s[8:9], 1
	s_cbranch_scc0 .LBB9_77
; %bb.73:
	v_mov_b32_e32 v5, 0
	v_mov_b32_e32 v6, 0x7ff80000
	s_and_not1_b32 vcc_lo, exec_lo, s1
	s_cbranch_vccnz .LBB9_76
; %bb.74:
	s_waitcnt vmcnt(0)
	v_add_f64 v[12:13], v[17:18], v[17:18]
	v_mov_b32_e32 v14, 0
	v_mov_b32_e32 v15, 0x3ff00000
	s_mov_b64 s[10:11], 2
	s_delay_alu instid0(VALU_DEP_3)
	v_dual_mov_b32 v5, v12 :: v_dual_mov_b32 v6, v13
	.p2align	6
.LBB9_75:                               ; =>This Inner Loop Header: Depth=1
	v_cvt_f64_u32_e32 v[19:20], s11
	v_cvt_f64_u32_e32 v[21:22], s10
	s_add_u32 s10, s10, 2
	s_addc_u32 s11, s11, 0
	s_delay_alu instid0(SALU_CYCLE_1) | instskip(NEXT) | instid1(VALU_DEP_1)
	v_cmp_lt_u64_e64 s12, s[10:11], s[4:5]
	s_and_b32 vcc_lo, exec_lo, s12
	s_delay_alu instid0(VALU_DEP_3) | instskip(NEXT) | instid1(VALU_DEP_1)
	v_ldexp_f64 v[19:20], v[19:20], 32
	v_add_f64 v[19:20], v[19:20], v[21:22]
	s_delay_alu instid0(VALU_DEP_1) | instskip(SKIP_1) | instid1(VALU_DEP_1)
	v_mul_f64 v[14:15], v[14:15], v[19:20]
	v_dual_mov_b32 v20, v6 :: v_dual_mov_b32 v19, v5
	v_fma_f64 v[5:6], v[12:13], v[19:20], -v[14:15]
	v_dual_mov_b32 v14, v19 :: v_dual_mov_b32 v15, v20
	s_cbranch_vccnz .LBB9_75
.LBB9_76:
	s_mov_b32 s10, 0
	s_branch .LBB9_78
.LBB9_77:
	s_mov_b32 s10, -1
.LBB9_78:
	s_delay_alu instid0(SALU_CYCLE_1)
	s_and_not1_b32 vcc_lo, exec_lo, s10
	s_cbranch_vccnz .LBB9_80
; %bb.79:
	s_waitcnt vmcnt(0)
	v_add_f64 v[5:6], v[17:18], v[17:18]
.LBB9_80:
	s_or_b32 exec_lo, exec_lo, s3
	v_or_b32_e32 v12, 0x300, v0
	s_mov_b32 s3, exec_lo
	s_delay_alu instid0(VALU_DEP_1)
	v_cmpx_gt_i32_e64 s14, v12
	s_cbranch_execz .LBB9_91
; %bb.81:
	v_cmp_ne_u32_e32 vcc_lo, 1, v16
	v_mov_b32_e32 v7, 0
	v_mov_b32_e32 v8, 0
	s_cbranch_vccnz .LBB9_91
; %bb.82:
	v_cmp_lt_i64_e64 s10, s[8:9], 1
	v_mov_b32_e32 v7, 0
	v_mov_b32_e32 v8, 0x3ff00000
	s_delay_alu instid0(VALU_DEP_3)
	s_and_b32 vcc_lo, exec_lo, s10
	s_cbranch_vccnz .LBB9_91
; %bb.83:
	s_cmp_lg_u64 s[8:9], 1
	s_cbranch_scc0 .LBB9_88
; %bb.84:
	v_mov_b32_e32 v7, 0
	v_mov_b32_e32 v8, 0x7ff80000
	s_and_not1_b32 vcc_lo, exec_lo, s1
	s_cbranch_vccnz .LBB9_87
; %bb.85:
	s_waitcnt vmcnt(0)
	v_add_f64 v[12:13], v[10:11], v[10:11]
	v_mov_b32_e32 v14, 0
	v_mov_b32_e32 v15, 0x3ff00000
	s_mov_b64 s[8:9], 2
	s_delay_alu instid0(VALU_DEP_3)
	v_dual_mov_b32 v7, v12 :: v_dual_mov_b32 v8, v13
	.p2align	6
.LBB9_86:                               ; =>This Inner Loop Header: Depth=1
	v_cvt_f64_u32_e32 v[16:17], s9
	v_cvt_f64_u32_e32 v[18:19], s8
	s_add_u32 s8, s8, 2
	s_addc_u32 s9, s9, 0
	s_delay_alu instid0(SALU_CYCLE_1) | instskip(NEXT) | instid1(VALU_DEP_1)
	v_cmp_lt_u64_e64 s1, s[8:9], s[4:5]
	s_and_b32 vcc_lo, exec_lo, s1
	s_delay_alu instid0(VALU_DEP_3) | instskip(NEXT) | instid1(VALU_DEP_1)
	v_ldexp_f64 v[16:17], v[16:17], 32
	v_add_f64 v[16:17], v[16:17], v[18:19]
	s_delay_alu instid0(VALU_DEP_1) | instskip(SKIP_1) | instid1(VALU_DEP_1)
	v_mul_f64 v[14:15], v[14:15], v[16:17]
	v_dual_mov_b32 v17, v8 :: v_dual_mov_b32 v16, v7
	v_fma_f64 v[7:8], v[12:13], v[16:17], -v[14:15]
	v_dual_mov_b32 v14, v16 :: v_dual_mov_b32 v15, v17
	s_cbranch_vccnz .LBB9_86
.LBB9_87:
	s_mov_b32 s1, 0
	s_branch .LBB9_89
.LBB9_88:
	s_mov_b32 s1, -1
.LBB9_89:
	s_delay_alu instid0(SALU_CYCLE_1)
	s_and_not1_b32 vcc_lo, exec_lo, s1
	s_cbranch_vccnz .LBB9_91
; %bb.90:
	s_waitcnt vmcnt(0)
	v_add_f64 v[7:8], v[10:11], v[10:11]
.LBB9_91:
	s_or_b32 exec_lo, exec_lo, s3
	s_and_saveexec_b32 s1, s0
	s_delay_alu instid0(SALU_CYCLE_1)
	s_xor_b32 s0, exec_lo, s1
	s_cbranch_execnz .LBB9_97
; %bb.92:
	s_or_b32 exec_lo, exec_lo, s0
	s_delay_alu instid0(SALU_CYCLE_1)
	s_mov_b32 s0, exec_lo
	v_cmpx_gt_i32_e64 s14, v0
	s_cbranch_execnz .LBB9_98
.LBB9_93:
	s_or_b32 exec_lo, exec_lo, s0
	s_delay_alu instid0(SALU_CYCLE_1)
	s_mov_b32 s0, exec_lo
	v_cmpx_gt_i32_e64 s14, v0
	s_cbranch_execnz .LBB9_99
.LBB9_94:
	s_or_b32 exec_lo, exec_lo, s0
	s_delay_alu instid0(SALU_CYCLE_1)
	s_mov_b32 s0, exec_lo
	v_cmpx_gt_i32_e64 s14, v0
	s_cbranch_execz .LBB9_96
.LBB9_95:
	v_dual_mov_b32 v1, 0 :: v_dual_add_nc_u32 v0, s2, v0
	s_delay_alu instid0(VALU_DEP_1) | instskip(NEXT) | instid1(VALU_DEP_1)
	v_lshlrev_b64 v[0:1], 3, v[0:1]
	v_add_co_u32 v0, vcc_lo, s6, v0
	s_delay_alu instid0(VALU_DEP_2)
	v_add_co_ci_u32_e32 v1, vcc_lo, s7, v1, vcc_lo
	global_store_b64 v[0:1], v[7:8], off
.LBB9_96:
	s_nop 0
	s_sendmsg sendmsg(MSG_DEALLOC_VGPRS)
	s_endpgm
.LBB9_97:
	s_waitcnt vmcnt(0)
	v_mov_b32_e32 v10, 0
	v_mov_b32_e32 v0, v23
	s_delay_alu instid0(VALU_DEP_2) | instskip(NEXT) | instid1(VALU_DEP_1)
	v_lshlrev_b64 v[9:10], 3, v[9:10]
	v_add_co_u32 v9, vcc_lo, s6, v9
	s_delay_alu instid0(VALU_DEP_2) | instskip(SKIP_2) | instid1(SALU_CYCLE_1)
	v_add_co_ci_u32_e32 v10, vcc_lo, s7, v10, vcc_lo
	global_store_b64 v[9:10], v[1:2], off
	s_or_b32 exec_lo, exec_lo, s0
	s_mov_b32 s0, exec_lo
	v_cmpx_gt_i32_e64 s14, v0
	s_cbranch_execz .LBB9_93
.LBB9_98:
	v_dual_mov_b32 v2, 0 :: v_dual_add_nc_u32 v1, s2, v0
	v_add_nc_u32_e32 v0, 0x100, v0
	s_delay_alu instid0(VALU_DEP_2) | instskip(NEXT) | instid1(VALU_DEP_1)
	v_lshlrev_b64 v[1:2], 3, v[1:2]
	v_add_co_u32 v1, vcc_lo, s6, v1
	s_delay_alu instid0(VALU_DEP_2) | instskip(SKIP_2) | instid1(SALU_CYCLE_1)
	v_add_co_ci_u32_e32 v2, vcc_lo, s7, v2, vcc_lo
	global_store_b64 v[1:2], v[3:4], off
	s_or_b32 exec_lo, exec_lo, s0
	s_mov_b32 s0, exec_lo
	v_cmpx_gt_i32_e64 s14, v0
	s_cbranch_execz .LBB9_94
.LBB9_99:
	v_dual_mov_b32 v2, 0 :: v_dual_add_nc_u32 v1, s2, v0
	v_add_nc_u32_e32 v0, 0x100, v0
	s_delay_alu instid0(VALU_DEP_2) | instskip(NEXT) | instid1(VALU_DEP_1)
	v_lshlrev_b64 v[1:2], 3, v[1:2]
	v_add_co_u32 v1, vcc_lo, s6, v1
	s_delay_alu instid0(VALU_DEP_2) | instskip(SKIP_2) | instid1(SALU_CYCLE_1)
	v_add_co_ci_u32_e32 v2, vcc_lo, s7, v2, vcc_lo
	global_store_b64 v[1:2], v[5:6], off
	s_or_b32 exec_lo, exec_lo, s0
	s_mov_b32 s0, exec_lo
	v_cmpx_gt_i32_e64 s14, v0
	s_cbranch_execnz .LBB9_95
	s_branch .LBB9_96
	.section	.rodata,"a",@progbits
	.p2align	6, 0x0
	.amdhsa_kernel _ZN2at6native29vectorized_elementwise_kernelILi8ENS0_13BUnaryFunctorIdddZZZNS0_12_GLOBAL__N_132hermite_polynomial_h_kernel_cudaERNS_18TensorIteratorBaseEENKUlvE_clEvENKUlvE_clEvEUlddE_EESt5arrayIPcLm2EEEEviT0_T1_
		.amdhsa_group_segment_fixed_size 0
		.amdhsa_private_segment_fixed_size 0
		.amdhsa_kernarg_size 40
		.amdhsa_user_sgpr_count 15
		.amdhsa_user_sgpr_dispatch_ptr 0
		.amdhsa_user_sgpr_queue_ptr 0
		.amdhsa_user_sgpr_kernarg_segment_ptr 1
		.amdhsa_user_sgpr_dispatch_id 0
		.amdhsa_user_sgpr_private_segment_size 0
		.amdhsa_wavefront_size32 1
		.amdhsa_uses_dynamic_stack 0
		.amdhsa_enable_private_segment 0
		.amdhsa_system_sgpr_workgroup_id_x 1
		.amdhsa_system_sgpr_workgroup_id_y 0
		.amdhsa_system_sgpr_workgroup_id_z 0
		.amdhsa_system_sgpr_workgroup_info 0
		.amdhsa_system_vgpr_workitem_id 0
		.amdhsa_next_free_vgpr 26
		.amdhsa_next_free_sgpr 18
		.amdhsa_reserve_vcc 1
		.amdhsa_float_round_mode_32 0
		.amdhsa_float_round_mode_16_64 0
		.amdhsa_float_denorm_mode_32 3
		.amdhsa_float_denorm_mode_16_64 3
		.amdhsa_dx10_clamp 1
		.amdhsa_ieee_mode 1
		.amdhsa_fp16_overflow 0
		.amdhsa_workgroup_processor_mode 1
		.amdhsa_memory_ordered 1
		.amdhsa_forward_progress 0
		.amdhsa_shared_vgpr_count 0
		.amdhsa_exception_fp_ieee_invalid_op 0
		.amdhsa_exception_fp_denorm_src 0
		.amdhsa_exception_fp_ieee_div_zero 0
		.amdhsa_exception_fp_ieee_overflow 0
		.amdhsa_exception_fp_ieee_underflow 0
		.amdhsa_exception_fp_ieee_inexact 0
		.amdhsa_exception_int_div_zero 0
	.end_amdhsa_kernel
	.section	.text._ZN2at6native29vectorized_elementwise_kernelILi8ENS0_13BUnaryFunctorIdddZZZNS0_12_GLOBAL__N_132hermite_polynomial_h_kernel_cudaERNS_18TensorIteratorBaseEENKUlvE_clEvENKUlvE_clEvEUlddE_EESt5arrayIPcLm2EEEEviT0_T1_,"axG",@progbits,_ZN2at6native29vectorized_elementwise_kernelILi8ENS0_13BUnaryFunctorIdddZZZNS0_12_GLOBAL__N_132hermite_polynomial_h_kernel_cudaERNS_18TensorIteratorBaseEENKUlvE_clEvENKUlvE_clEvEUlddE_EESt5arrayIPcLm2EEEEviT0_T1_,comdat
.Lfunc_end9:
	.size	_ZN2at6native29vectorized_elementwise_kernelILi8ENS0_13BUnaryFunctorIdddZZZNS0_12_GLOBAL__N_132hermite_polynomial_h_kernel_cudaERNS_18TensorIteratorBaseEENKUlvE_clEvENKUlvE_clEvEUlddE_EESt5arrayIPcLm2EEEEviT0_T1_, .Lfunc_end9-_ZN2at6native29vectorized_elementwise_kernelILi8ENS0_13BUnaryFunctorIdddZZZNS0_12_GLOBAL__N_132hermite_polynomial_h_kernel_cudaERNS_18TensorIteratorBaseEENKUlvE_clEvENKUlvE_clEvEUlddE_EESt5arrayIPcLm2EEEEviT0_T1_
                                        ; -- End function
	.section	.AMDGPU.csdata,"",@progbits
; Kernel info:
; codeLenInByte = 3032
; NumSgprs: 20
; NumVgprs: 26
; ScratchSize: 0
; MemoryBound: 0
; FloatMode: 240
; IeeeMode: 1
; LDSByteSize: 0 bytes/workgroup (compile time only)
; SGPRBlocks: 2
; VGPRBlocks: 3
; NumSGPRsForWavesPerEU: 20
; NumVGPRsForWavesPerEU: 26
; Occupancy: 16
; WaveLimiterHint : 0
; COMPUTE_PGM_RSRC2:SCRATCH_EN: 0
; COMPUTE_PGM_RSRC2:USER_SGPR: 15
; COMPUTE_PGM_RSRC2:TRAP_HANDLER: 0
; COMPUTE_PGM_RSRC2:TGID_X_EN: 1
; COMPUTE_PGM_RSRC2:TGID_Y_EN: 0
; COMPUTE_PGM_RSRC2:TGID_Z_EN: 0
; COMPUTE_PGM_RSRC2:TIDIG_COMP_CNT: 0
	.section	.text._ZN2at6native29vectorized_elementwise_kernelILi4ENS0_13BUnaryFunctorIdddZZZNS0_12_GLOBAL__N_132hermite_polynomial_h_kernel_cudaERNS_18TensorIteratorBaseEENKUlvE_clEvENKUlvE_clEvEUlddE_EESt5arrayIPcLm2EEEEviT0_T1_,"axG",@progbits,_ZN2at6native29vectorized_elementwise_kernelILi4ENS0_13BUnaryFunctorIdddZZZNS0_12_GLOBAL__N_132hermite_polynomial_h_kernel_cudaERNS_18TensorIteratorBaseEENKUlvE_clEvENKUlvE_clEvEUlddE_EESt5arrayIPcLm2EEEEviT0_T1_,comdat
	.globl	_ZN2at6native29vectorized_elementwise_kernelILi4ENS0_13BUnaryFunctorIdddZZZNS0_12_GLOBAL__N_132hermite_polynomial_h_kernel_cudaERNS_18TensorIteratorBaseEENKUlvE_clEvENKUlvE_clEvEUlddE_EESt5arrayIPcLm2EEEEviT0_T1_ ; -- Begin function _ZN2at6native29vectorized_elementwise_kernelILi4ENS0_13BUnaryFunctorIdddZZZNS0_12_GLOBAL__N_132hermite_polynomial_h_kernel_cudaERNS_18TensorIteratorBaseEENKUlvE_clEvENKUlvE_clEvEUlddE_EESt5arrayIPcLm2EEEEviT0_T1_
	.p2align	8
	.type	_ZN2at6native29vectorized_elementwise_kernelILi4ENS0_13BUnaryFunctorIdddZZZNS0_12_GLOBAL__N_132hermite_polynomial_h_kernel_cudaERNS_18TensorIteratorBaseEENKUlvE_clEvENKUlvE_clEvEUlddE_EESt5arrayIPcLm2EEEEviT0_T1_,@function
_ZN2at6native29vectorized_elementwise_kernelILi4ENS0_13BUnaryFunctorIdddZZZNS0_12_GLOBAL__N_132hermite_polynomial_h_kernel_cudaERNS_18TensorIteratorBaseEENKUlvE_clEvENKUlvE_clEvEUlddE_EESt5arrayIPcLm2EEEEviT0_T1_: ; @_ZN2at6native29vectorized_elementwise_kernelILi4ENS0_13BUnaryFunctorIdddZZZNS0_12_GLOBAL__N_132hermite_polynomial_h_kernel_cudaERNS_18TensorIteratorBaseEENKUlvE_clEvENKUlvE_clEvEUlddE_EESt5arrayIPcLm2EEEEviT0_T1_
; %bb.0:
	s_load_b128 s[4:7], s[0:1], 0x10
	s_lshl_b32 s2, s15, 10
	s_waitcnt lgkmcnt(0)
	v_trunc_f64_e32 v[13:14], s[4:5]
	v_cmp_class_f64_e64 s16, s[4:5], 0x1f8
	s_clause 0x1
	s_load_b32 s3, s[0:1], 0x0
	s_load_b64 s[4:5], s[0:1], 0x20
	s_mov_b32 s0, -1
	s_waitcnt lgkmcnt(0)
	s_sub_i32 s14, s3, s2
	s_delay_alu instid0(SALU_CYCLE_1) | instskip(NEXT) | instid1(VALU_DEP_2)
	s_cmpk_gt_i32 s14, 0x3ff
	v_ldexp_f64 v[15:16], v[13:14], 0xffffffe0
	s_cbranch_scc0 .LBB10_38
; %bb.1:
	s_ashr_i32 s3, s2, 31
	v_lshlrev_b32_e32 v19, 5, v0
	s_lshl_b64 s[0:1], s[2:3], 3
	s_delay_alu instid0(VALU_DEP_2)
	v_floor_f64_e32 v[5:6], v[15:16]
	s_add_u32 s8, s4, s0
	s_addc_u32 s9, s5, s1
	s_clause 0x1
	global_load_b128 v[1:4], v19, s[8:9] offset:16
	global_load_b128 v[7:10], v19, s[8:9]
	s_and_b32 s9, s16, exec_lo
	v_fma_f64 v[11:12], 0xc1f00000, v[5:6], v[13:14]
	v_cvt_i32_f64_e32 v5, v[5:6]
	s_delay_alu instid0(VALU_DEP_2) | instskip(NEXT) | instid1(VALU_DEP_2)
	v_cvt_u32_f64_e32 v6, v[11:12]
	v_readfirstlane_b32 s3, v5
	s_delay_alu instid0(VALU_DEP_1) | instskip(NEXT) | instid1(VALU_DEP_2)
	s_cselect_b32 s11, s3, -1
	v_readfirstlane_b32 s8, v6
	v_mov_b32_e32 v5, 0
	v_mov_b32_e32 v6, 0
	s_delay_alu instid0(VALU_DEP_3) | instskip(NEXT) | instid1(SALU_CYCLE_1)
	s_cselect_b32 s10, s8, -1
	v_cmp_lt_i64_e64 s8, s[10:11], 0
	v_cmp_gt_i64_e64 s15, s[10:11], -1
	v_cmp_gt_u64_e64 s3, 0x201, s[10:11]
	v_cmp_lt_i64_e64 s12, s[10:11], 1
	s_delay_alu instid0(VALU_DEP_4)
	s_and_b32 vcc_lo, exec_lo, s8
	s_lshl_b64 s[8:9], s[10:11], 1
	s_cbranch_vccnz .LBB10_10
; %bb.2:
	v_mov_b32_e32 v5, 0
	v_mov_b32_e32 v6, 0x3ff00000
	s_and_b32 vcc_lo, exec_lo, s12
	s_cbranch_vccnz .LBB10_10
; %bb.3:
	s_cmp_lg_u64 s[10:11], 1
	s_cbranch_scc0 .LBB10_8
; %bb.4:
	v_mov_b32_e32 v5, 0
	v_mov_b32_e32 v6, 0x7ff80000
	s_and_not1_b32 vcc_lo, exec_lo, s3
	s_cbranch_vccnz .LBB10_7
; %bb.5:
	s_waitcnt vmcnt(0)
	v_add_f64 v[11:12], v[7:8], v[7:8]
	v_mov_b32_e32 v17, 0
	v_mov_b32_e32 v18, 0x3ff00000
	s_mov_b64 s[12:13], 2
	s_delay_alu instid0(VALU_DEP_3)
	v_dual_mov_b32 v5, v11 :: v_dual_mov_b32 v6, v12
	.p2align	6
.LBB10_6:                               ; =>This Inner Loop Header: Depth=1
	v_cvt_f64_u32_e32 v[20:21], s13
	v_cvt_f64_u32_e32 v[22:23], s12
	s_add_u32 s12, s12, 2
	s_addc_u32 s13, s13, 0
	s_delay_alu instid0(SALU_CYCLE_1) | instskip(NEXT) | instid1(VALU_DEP_1)
	v_cmp_lt_u64_e64 s17, s[12:13], s[8:9]
	s_and_b32 vcc_lo, exec_lo, s17
	s_delay_alu instid0(VALU_DEP_3) | instskip(NEXT) | instid1(VALU_DEP_1)
	v_ldexp_f64 v[20:21], v[20:21], 32
	v_add_f64 v[20:21], v[20:21], v[22:23]
	s_delay_alu instid0(VALU_DEP_1) | instskip(SKIP_1) | instid1(VALU_DEP_1)
	v_mul_f64 v[17:18], v[17:18], v[20:21]
	v_dual_mov_b32 v21, v6 :: v_dual_mov_b32 v20, v5
	v_fma_f64 v[5:6], v[11:12], v[20:21], -v[17:18]
	v_dual_mov_b32 v17, v20 :: v_dual_mov_b32 v18, v21
	s_cbranch_vccnz .LBB10_6
.LBB10_7:
	s_cbranch_execz .LBB10_9
	s_branch .LBB10_10
.LBB10_8:
                                        ; implicit-def: $vgpr5_vgpr6
.LBB10_9:
	s_waitcnt vmcnt(0)
	v_add_f64 v[5:6], v[7:8], v[7:8]
.LBB10_10:
	s_waitcnt vmcnt(0)
	v_mov_b32_e32 v7, 0
	v_cndmask_b32_e64 v20, 0, 1, s15
	v_mov_b32_e32 v8, 0
	s_and_not1_b32 vcc_lo, exec_lo, s15
	s_cbranch_vccnz .LBB10_19
; %bb.11:
	v_cmp_lt_i64_e64 s12, s[10:11], 1
	v_mov_b32_e32 v7, 0
	v_mov_b32_e32 v8, 0x3ff00000
	s_delay_alu instid0(VALU_DEP_3)
	s_and_b32 vcc_lo, exec_lo, s12
	s_cbranch_vccnz .LBB10_19
; %bb.12:
	s_cmp_lg_u64 s[10:11], 1
	s_cbranch_scc0 .LBB10_17
; %bb.13:
	v_mov_b32_e32 v7, 0
	v_mov_b32_e32 v8, 0x7ff80000
	s_and_not1_b32 vcc_lo, exec_lo, s3
	s_cbranch_vccnz .LBB10_16
; %bb.14:
	v_add_f64 v[11:12], v[9:10], v[9:10]
	v_mov_b32_e32 v17, 0
	v_mov_b32_e32 v18, 0x3ff00000
	s_mov_b64 s[12:13], 2
	s_delay_alu instid0(VALU_DEP_3)
	v_dual_mov_b32 v7, v11 :: v_dual_mov_b32 v8, v12
	.p2align	6
.LBB10_15:                              ; =>This Inner Loop Header: Depth=1
	v_cvt_f64_u32_e32 v[21:22], s13
	v_cvt_f64_u32_e32 v[23:24], s12
	s_add_u32 s12, s12, 2
	s_addc_u32 s13, s13, 0
	s_delay_alu instid0(SALU_CYCLE_1) | instskip(NEXT) | instid1(VALU_DEP_1)
	v_cmp_lt_u64_e64 s15, s[12:13], s[8:9]
	s_and_b32 vcc_lo, exec_lo, s15
	s_delay_alu instid0(VALU_DEP_3) | instskip(NEXT) | instid1(VALU_DEP_1)
	v_ldexp_f64 v[21:22], v[21:22], 32
	v_add_f64 v[21:22], v[21:22], v[23:24]
	s_delay_alu instid0(VALU_DEP_1) | instskip(SKIP_1) | instid1(VALU_DEP_1)
	v_mul_f64 v[17:18], v[17:18], v[21:22]
	v_dual_mov_b32 v22, v8 :: v_dual_mov_b32 v21, v7
	v_fma_f64 v[7:8], v[11:12], v[21:22], -v[17:18]
	v_dual_mov_b32 v17, v21 :: v_dual_mov_b32 v18, v22
	s_cbranch_vccnz .LBB10_15
.LBB10_16:
	s_cbranch_execz .LBB10_18
	s_branch .LBB10_19
.LBB10_17:
.LBB10_18:
	v_add_f64 v[7:8], v[9:10], v[9:10]
.LBB10_19:
	s_delay_alu instid0(VALU_DEP_2)
	v_cmp_ne_u32_e32 vcc_lo, 1, v20
	v_mov_b32_e32 v9, 0
	v_mov_b32_e32 v10, 0
	s_cbranch_vccnz .LBB10_28
; %bb.20:
	v_cmp_lt_i64_e64 s12, s[10:11], 1
	v_mov_b32_e32 v9, 0
	v_mov_b32_e32 v10, 0x3ff00000
	s_delay_alu instid0(VALU_DEP_3)
	s_and_b32 vcc_lo, exec_lo, s12
	s_cbranch_vccnz .LBB10_28
; %bb.21:
	s_cmp_lg_u64 s[10:11], 1
	s_cbranch_scc0 .LBB10_26
; %bb.22:
	v_mov_b32_e32 v9, 0
	v_mov_b32_e32 v10, 0x7ff80000
	s_and_not1_b32 vcc_lo, exec_lo, s3
	s_cbranch_vccnz .LBB10_25
; %bb.23:
	v_add_f64 v[11:12], v[1:2], v[1:2]
	v_mov_b32_e32 v17, 0
	v_mov_b32_e32 v18, 0x3ff00000
	s_mov_b64 s[12:13], 2
	s_delay_alu instid0(VALU_DEP_3)
	v_dual_mov_b32 v9, v11 :: v_dual_mov_b32 v10, v12
	.p2align	6
.LBB10_24:                              ; =>This Inner Loop Header: Depth=1
	v_cvt_f64_u32_e32 v[21:22], s13
	v_cvt_f64_u32_e32 v[23:24], s12
	s_add_u32 s12, s12, 2
	s_addc_u32 s13, s13, 0
	s_delay_alu instid0(SALU_CYCLE_1) | instskip(NEXT) | instid1(VALU_DEP_1)
	v_cmp_lt_u64_e64 s15, s[12:13], s[8:9]
	s_and_b32 vcc_lo, exec_lo, s15
	s_delay_alu instid0(VALU_DEP_3) | instskip(NEXT) | instid1(VALU_DEP_1)
	v_ldexp_f64 v[21:22], v[21:22], 32
	v_add_f64 v[21:22], v[21:22], v[23:24]
	s_delay_alu instid0(VALU_DEP_1) | instskip(SKIP_1) | instid1(VALU_DEP_1)
	v_mul_f64 v[17:18], v[17:18], v[21:22]
	v_dual_mov_b32 v22, v10 :: v_dual_mov_b32 v21, v9
	v_fma_f64 v[9:10], v[11:12], v[21:22], -v[17:18]
	v_dual_mov_b32 v17, v21 :: v_dual_mov_b32 v18, v22
	s_cbranch_vccnz .LBB10_24
.LBB10_25:
	s_cbranch_execz .LBB10_27
	s_branch .LBB10_28
.LBB10_26:
                                        ; implicit-def: $vgpr9_vgpr10
.LBB10_27:
	v_add_f64 v[9:10], v[1:2], v[1:2]
.LBB10_28:
	v_cmp_ne_u32_e32 vcc_lo, 1, v20
	v_mov_b32_e32 v11, 0
	v_mov_b32_e32 v12, 0
	s_cbranch_vccnz .LBB10_37
; %bb.29:
	v_cmp_lt_i64_e64 s12, s[10:11], 1
	v_mov_b32_e32 v11, 0
	v_mov_b32_e32 v12, 0x3ff00000
	s_delay_alu instid0(VALU_DEP_3)
	s_and_b32 vcc_lo, exec_lo, s12
	s_cbranch_vccnz .LBB10_37
; %bb.30:
	s_cmp_lg_u64 s[10:11], 1
	s_cbranch_scc0 .LBB10_35
; %bb.31:
	v_mov_b32_e32 v11, 0
	v_mov_b32_e32 v12, 0x7ff80000
	s_and_not1_b32 vcc_lo, exec_lo, s3
	s_cbranch_vccnz .LBB10_34
; %bb.32:
	v_add_f64 v[1:2], v[3:4], v[3:4]
	v_mov_b32_e32 v17, 0
	v_mov_b32_e32 v18, 0x3ff00000
	s_mov_b64 s[10:11], 2
	s_delay_alu instid0(VALU_DEP_3)
	v_dual_mov_b32 v12, v2 :: v_dual_mov_b32 v11, v1
	.p2align	6
.LBB10_33:                              ; =>This Inner Loop Header: Depth=1
	v_cvt_f64_u32_e32 v[20:21], s11
	v_cvt_f64_u32_e32 v[22:23], s10
	s_add_u32 s10, s10, 2
	s_addc_u32 s11, s11, 0
	s_delay_alu instid0(SALU_CYCLE_1) | instskip(NEXT) | instid1(VALU_DEP_1)
	v_cmp_lt_u64_e64 s3, s[10:11], s[8:9]
	s_and_b32 vcc_lo, exec_lo, s3
	s_delay_alu instid0(VALU_DEP_3) | instskip(NEXT) | instid1(VALU_DEP_1)
	v_ldexp_f64 v[20:21], v[20:21], 32
	v_add_f64 v[20:21], v[20:21], v[22:23]
	s_delay_alu instid0(VALU_DEP_1) | instskip(SKIP_1) | instid1(VALU_DEP_1)
	v_mul_f64 v[17:18], v[17:18], v[20:21]
	v_dual_mov_b32 v21, v12 :: v_dual_mov_b32 v20, v11
	v_fma_f64 v[11:12], v[1:2], v[20:21], -v[17:18]
	v_dual_mov_b32 v17, v20 :: v_dual_mov_b32 v18, v21
	s_cbranch_vccnz .LBB10_33
.LBB10_34:
	s_cbranch_execz .LBB10_36
	s_branch .LBB10_37
.LBB10_35:
.LBB10_36:
	v_add_f64 v[11:12], v[3:4], v[3:4]
.LBB10_37:
	s_add_u32 s8, s6, s0
	s_addc_u32 s9, s7, s1
	s_mov_b32 s0, 0
	s_clause 0x1
	global_store_b128 v19, v[5:8], s[8:9]
	global_store_b128 v19, v[9:12], s[8:9] offset:16
.LBB10_38:
	s_and_b32 vcc_lo, exec_lo, s0
	s_cbranch_vccz .LBB10_96
; %bb.39:
	v_mov_b32_e32 v19, 0
	v_dual_mov_b32 v20, 0 :: v_dual_mov_b32 v1, v0
	v_cmp_gt_i32_e64 s0, s14, v0
	v_or_b32_e32 v9, s2, v0
	v_or_b32_e32 v23, 0x100, v0
	s_delay_alu instid0(VALU_DEP_4) | instskip(NEXT) | instid1(VALU_DEP_4)
	v_dual_mov_b32 v22, v20 :: v_dual_mov_b32 v21, v19
	s_and_saveexec_b32 s1, s0
	s_cbranch_execz .LBB10_41
; %bb.40:
	v_mov_b32_e32 v10, 0
	s_delay_alu instid0(VALU_DEP_1) | instskip(NEXT) | instid1(VALU_DEP_1)
	v_lshlrev_b64 v[1:2], 3, v[9:10]
	v_add_co_u32 v1, vcc_lo, s4, v1
	s_delay_alu instid0(VALU_DEP_2)
	v_add_co_ci_u32_e32 v2, vcc_lo, s5, v2, vcc_lo
	global_load_b64 v[21:22], v[1:2], off
	v_or_b32_e32 v1, 0x100, v0
.LBB10_41:
	s_or_b32 exec_lo, exec_lo, s1
	s_delay_alu instid0(SALU_CYCLE_1) | instskip(NEXT) | instid1(VALU_DEP_1)
	s_mov_b32 s1, exec_lo
	v_cmpx_gt_i32_e64 s14, v1
	s_cbranch_execz .LBB10_43
; %bb.42:
	v_dual_mov_b32 v3, 0 :: v_dual_add_nc_u32 v2, s2, v1
	v_add_nc_u32_e32 v1, 0x100, v1
	s_delay_alu instid0(VALU_DEP_2) | instskip(NEXT) | instid1(VALU_DEP_1)
	v_lshlrev_b64 v[2:3], 3, v[2:3]
	v_add_co_u32 v2, vcc_lo, s4, v2
	s_delay_alu instid0(VALU_DEP_2)
	v_add_co_ci_u32_e32 v3, vcc_lo, s5, v3, vcc_lo
	global_load_b64 v[19:20], v[2:3], off
.LBB10_43:
	s_or_b32 exec_lo, exec_lo, s1
	v_mov_b32_e32 v10, 0
	v_mov_b32_e32 v11, 0
	s_mov_b32 s1, exec_lo
	s_delay_alu instid0(VALU_DEP_1)
	v_dual_mov_b32 v18, v11 :: v_dual_mov_b32 v17, v10
	v_cmpx_gt_i32_e64 s14, v1
	s_cbranch_execz .LBB10_45
; %bb.44:
	v_dual_mov_b32 v3, 0 :: v_dual_add_nc_u32 v2, s2, v1
	v_add_nc_u32_e32 v1, 0x100, v1
	s_delay_alu instid0(VALU_DEP_2) | instskip(NEXT) | instid1(VALU_DEP_1)
	v_lshlrev_b64 v[2:3], 3, v[2:3]
	v_add_co_u32 v2, vcc_lo, s4, v2
	s_delay_alu instid0(VALU_DEP_2)
	v_add_co_ci_u32_e32 v3, vcc_lo, s5, v3, vcc_lo
	global_load_b64 v[17:18], v[2:3], off
.LBB10_45:
	s_or_b32 exec_lo, exec_lo, s1
	s_delay_alu instid0(SALU_CYCLE_1)
	s_mov_b32 s1, exec_lo
	v_cmpx_gt_i32_e64 s14, v1
	s_cbranch_execz .LBB10_47
; %bb.46:
	v_dual_mov_b32 v2, 0 :: v_dual_add_nc_u32 v1, s2, v1
	s_delay_alu instid0(VALU_DEP_1) | instskip(NEXT) | instid1(VALU_DEP_1)
	v_lshlrev_b64 v[1:2], 3, v[1:2]
	v_add_co_u32 v1, vcc_lo, s4, v1
	s_delay_alu instid0(VALU_DEP_2)
	v_add_co_ci_u32_e32 v2, vcc_lo, s5, v2, vcc_lo
	global_load_b64 v[10:11], v[1:2], off
.LBB10_47:
	s_or_b32 exec_lo, exec_lo, s1
	v_floor_f64_e32 v[1:2], v[15:16]
	s_and_b32 s4, s16, exec_lo
	s_delay_alu instid0(VALU_DEP_1) | instskip(SKIP_1) | instid1(VALU_DEP_2)
	v_fma_f64 v[3:4], 0xc1f00000, v[1:2], v[13:14]
	v_cvt_i32_f64_e32 v1, v[1:2]
	v_cvt_u32_f64_e32 v2, v[3:4]
	s_delay_alu instid0(VALU_DEP_2) | instskip(NEXT) | instid1(VALU_DEP_1)
	v_readfirstlane_b32 s1, v1
	s_cselect_b32 s9, s1, -1
	s_delay_alu instid0(VALU_DEP_2) | instskip(NEXT) | instid1(VALU_DEP_1)
	v_readfirstlane_b32 s3, v2
                                        ; implicit-def: $vgpr1_vgpr2_vgpr3_vgpr4_vgpr5_vgpr6_vgpr7_vgpr8
	s_cselect_b32 s8, s3, -1
	s_delay_alu instid0(SALU_CYCLE_1) | instskip(SKIP_2) | instid1(VALU_DEP_2)
	v_cmp_gt_i64_e64 s10, s[8:9], -1
	v_cmp_gt_u64_e64 s1, 0x201, s[8:9]
	s_lshl_b64 s[4:5], s[8:9], 1
	v_cndmask_b32_e64 v16, 0, 1, s10
	s_and_saveexec_b32 s3, s0
	s_cbranch_execz .LBB10_58
; %bb.48:
	v_mov_b32_e32 v1, 0
	v_mov_b32_e32 v2, 0
	s_and_not1_b32 vcc_lo, exec_lo, s10
	s_cbranch_vccnz .LBB10_58
; %bb.49:
	v_cmp_lt_i64_e64 s10, s[8:9], 1
	v_mov_b32_e32 v1, 0
	v_mov_b32_e32 v2, 0x3ff00000
	s_delay_alu instid0(VALU_DEP_3)
	s_and_b32 vcc_lo, exec_lo, s10
	s_cbranch_vccnz .LBB10_58
; %bb.50:
	s_cmp_lg_u64 s[8:9], 1
	s_cbranch_scc0 .LBB10_55
; %bb.51:
	v_mov_b32_e32 v1, 0
	v_mov_b32_e32 v2, 0x7ff80000
	s_and_not1_b32 vcc_lo, exec_lo, s1
	s_cbranch_vccnz .LBB10_54
; %bb.52:
	s_waitcnt vmcnt(0)
	v_add_f64 v[3:4], v[21:22], v[21:22]
	v_mov_b32_e32 v5, 0
	v_mov_b32_e32 v6, 0x3ff00000
	s_mov_b64 s[10:11], 2
	s_delay_alu instid0(VALU_DEP_3)
	v_dual_mov_b32 v1, v3 :: v_dual_mov_b32 v2, v4
	.p2align	6
.LBB10_53:                              ; =>This Inner Loop Header: Depth=1
	v_cvt_f64_u32_e32 v[7:8], s11
	v_cvt_f64_u32_e32 v[12:13], s10
	s_add_u32 s10, s10, 2
	s_addc_u32 s11, s11, 0
	s_delay_alu instid0(SALU_CYCLE_1) | instskip(NEXT) | instid1(VALU_DEP_1)
	v_cmp_lt_u64_e64 s12, s[10:11], s[4:5]
	s_and_b32 vcc_lo, exec_lo, s12
	s_delay_alu instid0(VALU_DEP_3) | instskip(NEXT) | instid1(VALU_DEP_1)
	v_ldexp_f64 v[7:8], v[7:8], 32
	v_add_f64 v[7:8], v[7:8], v[12:13]
	s_delay_alu instid0(VALU_DEP_1) | instskip(SKIP_1) | instid1(VALU_DEP_1)
	v_mul_f64 v[5:6], v[5:6], v[7:8]
	v_dual_mov_b32 v8, v2 :: v_dual_mov_b32 v7, v1
	v_fma_f64 v[1:2], v[3:4], v[7:8], -v[5:6]
	v_dual_mov_b32 v5, v7 :: v_dual_mov_b32 v6, v8
	s_cbranch_vccnz .LBB10_53
.LBB10_54:
	s_mov_b32 s10, 0
	s_branch .LBB10_56
.LBB10_55:
	s_mov_b32 s10, -1
                                        ; implicit-def: $vgpr1_vgpr2
.LBB10_56:
	s_delay_alu instid0(SALU_CYCLE_1)
	s_and_not1_b32 vcc_lo, exec_lo, s10
	s_cbranch_vccnz .LBB10_58
; %bb.57:
	s_waitcnt vmcnt(0)
	v_add_f64 v[1:2], v[21:22], v[21:22]
.LBB10_58:
	s_or_b32 exec_lo, exec_lo, s3
	s_delay_alu instid0(SALU_CYCLE_1)
	s_mov_b32 s3, exec_lo
	v_cmpx_gt_i32_e64 s14, v23
	s_cbranch_execz .LBB10_69
; %bb.59:
	v_cmp_ne_u32_e32 vcc_lo, 1, v16
	v_mov_b32_e32 v3, 0
	v_mov_b32_e32 v4, 0
	s_cbranch_vccnz .LBB10_69
; %bb.60:
	v_cmp_lt_i64_e64 s10, s[8:9], 1
	v_mov_b32_e32 v3, 0
	v_mov_b32_e32 v4, 0x3ff00000
	s_delay_alu instid0(VALU_DEP_3)
	s_and_b32 vcc_lo, exec_lo, s10
	s_cbranch_vccnz .LBB10_69
; %bb.61:
	s_cmp_lg_u64 s[8:9], 1
	s_cbranch_scc0 .LBB10_66
; %bb.62:
	v_mov_b32_e32 v3, 0
	v_mov_b32_e32 v4, 0x7ff80000
	s_and_not1_b32 vcc_lo, exec_lo, s1
	s_cbranch_vccnz .LBB10_65
; %bb.63:
	s_waitcnt vmcnt(0)
	v_add_f64 v[12:13], v[19:20], v[19:20]
	v_mov_b32_e32 v14, 0
	v_mov_b32_e32 v15, 0x3ff00000
	s_mov_b64 s[10:11], 2
	s_delay_alu instid0(VALU_DEP_3)
	v_dual_mov_b32 v3, v12 :: v_dual_mov_b32 v4, v13
	.p2align	6
.LBB10_64:                              ; =>This Inner Loop Header: Depth=1
	v_cvt_f64_u32_e32 v[21:22], s11
	v_cvt_f64_u32_e32 v[24:25], s10
	s_add_u32 s10, s10, 2
	s_addc_u32 s11, s11, 0
	s_delay_alu instid0(SALU_CYCLE_1) | instskip(NEXT) | instid1(VALU_DEP_1)
	v_cmp_lt_u64_e64 s12, s[10:11], s[4:5]
	s_and_b32 vcc_lo, exec_lo, s12
	s_delay_alu instid0(VALU_DEP_3) | instskip(NEXT) | instid1(VALU_DEP_1)
	v_ldexp_f64 v[21:22], v[21:22], 32
	v_add_f64 v[21:22], v[21:22], v[24:25]
	s_delay_alu instid0(VALU_DEP_1) | instskip(SKIP_1) | instid1(VALU_DEP_1)
	v_mul_f64 v[14:15], v[14:15], v[21:22]
	v_dual_mov_b32 v22, v4 :: v_dual_mov_b32 v21, v3
	v_fma_f64 v[3:4], v[12:13], v[21:22], -v[14:15]
	v_dual_mov_b32 v14, v21 :: v_dual_mov_b32 v15, v22
	s_cbranch_vccnz .LBB10_64
.LBB10_65:
	s_mov_b32 s10, 0
	s_branch .LBB10_67
.LBB10_66:
	s_mov_b32 s10, -1
.LBB10_67:
	s_delay_alu instid0(SALU_CYCLE_1)
	s_and_not1_b32 vcc_lo, exec_lo, s10
	s_cbranch_vccnz .LBB10_69
; %bb.68:
	s_waitcnt vmcnt(0)
	v_add_f64 v[3:4], v[19:20], v[19:20]
.LBB10_69:
	s_or_b32 exec_lo, exec_lo, s3
	v_or_b32_e32 v12, 0x200, v0
	s_mov_b32 s3, exec_lo
	s_delay_alu instid0(VALU_DEP_1)
	v_cmpx_gt_i32_e64 s14, v12
	s_cbranch_execz .LBB10_80
; %bb.70:
	v_cmp_ne_u32_e32 vcc_lo, 1, v16
	v_mov_b32_e32 v5, 0
	v_mov_b32_e32 v6, 0
	s_cbranch_vccnz .LBB10_80
; %bb.71:
	v_cmp_lt_i64_e64 s10, s[8:9], 1
	v_mov_b32_e32 v5, 0
	v_mov_b32_e32 v6, 0x3ff00000
	s_delay_alu instid0(VALU_DEP_3)
	s_and_b32 vcc_lo, exec_lo, s10
	s_cbranch_vccnz .LBB10_80
; %bb.72:
	s_cmp_lg_u64 s[8:9], 1
	s_cbranch_scc0 .LBB10_77
; %bb.73:
	v_mov_b32_e32 v5, 0
	v_mov_b32_e32 v6, 0x7ff80000
	s_and_not1_b32 vcc_lo, exec_lo, s1
	s_cbranch_vccnz .LBB10_76
; %bb.74:
	s_waitcnt vmcnt(0)
	v_add_f64 v[12:13], v[17:18], v[17:18]
	v_mov_b32_e32 v14, 0
	v_mov_b32_e32 v15, 0x3ff00000
	s_mov_b64 s[10:11], 2
	s_delay_alu instid0(VALU_DEP_3)
	v_dual_mov_b32 v5, v12 :: v_dual_mov_b32 v6, v13
	.p2align	6
.LBB10_75:                              ; =>This Inner Loop Header: Depth=1
	v_cvt_f64_u32_e32 v[19:20], s11
	v_cvt_f64_u32_e32 v[21:22], s10
	s_add_u32 s10, s10, 2
	s_addc_u32 s11, s11, 0
	s_delay_alu instid0(SALU_CYCLE_1) | instskip(NEXT) | instid1(VALU_DEP_1)
	v_cmp_lt_u64_e64 s12, s[10:11], s[4:5]
	s_and_b32 vcc_lo, exec_lo, s12
	s_delay_alu instid0(VALU_DEP_3) | instskip(NEXT) | instid1(VALU_DEP_1)
	v_ldexp_f64 v[19:20], v[19:20], 32
	v_add_f64 v[19:20], v[19:20], v[21:22]
	s_delay_alu instid0(VALU_DEP_1) | instskip(SKIP_1) | instid1(VALU_DEP_1)
	v_mul_f64 v[14:15], v[14:15], v[19:20]
	v_dual_mov_b32 v20, v6 :: v_dual_mov_b32 v19, v5
	v_fma_f64 v[5:6], v[12:13], v[19:20], -v[14:15]
	v_dual_mov_b32 v14, v19 :: v_dual_mov_b32 v15, v20
	s_cbranch_vccnz .LBB10_75
.LBB10_76:
	s_mov_b32 s10, 0
	s_branch .LBB10_78
.LBB10_77:
	s_mov_b32 s10, -1
.LBB10_78:
	s_delay_alu instid0(SALU_CYCLE_1)
	s_and_not1_b32 vcc_lo, exec_lo, s10
	s_cbranch_vccnz .LBB10_80
; %bb.79:
	s_waitcnt vmcnt(0)
	v_add_f64 v[5:6], v[17:18], v[17:18]
.LBB10_80:
	s_or_b32 exec_lo, exec_lo, s3
	v_or_b32_e32 v12, 0x300, v0
	s_mov_b32 s3, exec_lo
	s_delay_alu instid0(VALU_DEP_1)
	v_cmpx_gt_i32_e64 s14, v12
	s_cbranch_execz .LBB10_91
; %bb.81:
	v_cmp_ne_u32_e32 vcc_lo, 1, v16
	v_mov_b32_e32 v7, 0
	v_mov_b32_e32 v8, 0
	s_cbranch_vccnz .LBB10_91
; %bb.82:
	v_cmp_lt_i64_e64 s10, s[8:9], 1
	v_mov_b32_e32 v7, 0
	v_mov_b32_e32 v8, 0x3ff00000
	s_delay_alu instid0(VALU_DEP_3)
	s_and_b32 vcc_lo, exec_lo, s10
	s_cbranch_vccnz .LBB10_91
; %bb.83:
	s_cmp_lg_u64 s[8:9], 1
	s_cbranch_scc0 .LBB10_88
; %bb.84:
	v_mov_b32_e32 v7, 0
	v_mov_b32_e32 v8, 0x7ff80000
	s_and_not1_b32 vcc_lo, exec_lo, s1
	s_cbranch_vccnz .LBB10_87
; %bb.85:
	s_waitcnt vmcnt(0)
	v_add_f64 v[12:13], v[10:11], v[10:11]
	v_mov_b32_e32 v14, 0
	v_mov_b32_e32 v15, 0x3ff00000
	s_mov_b64 s[8:9], 2
	s_delay_alu instid0(VALU_DEP_3)
	v_dual_mov_b32 v7, v12 :: v_dual_mov_b32 v8, v13
	.p2align	6
.LBB10_86:                              ; =>This Inner Loop Header: Depth=1
	v_cvt_f64_u32_e32 v[16:17], s9
	v_cvt_f64_u32_e32 v[18:19], s8
	s_add_u32 s8, s8, 2
	s_addc_u32 s9, s9, 0
	s_delay_alu instid0(SALU_CYCLE_1) | instskip(NEXT) | instid1(VALU_DEP_1)
	v_cmp_lt_u64_e64 s1, s[8:9], s[4:5]
	s_and_b32 vcc_lo, exec_lo, s1
	s_delay_alu instid0(VALU_DEP_3) | instskip(NEXT) | instid1(VALU_DEP_1)
	v_ldexp_f64 v[16:17], v[16:17], 32
	v_add_f64 v[16:17], v[16:17], v[18:19]
	s_delay_alu instid0(VALU_DEP_1) | instskip(SKIP_1) | instid1(VALU_DEP_1)
	v_mul_f64 v[14:15], v[14:15], v[16:17]
	v_dual_mov_b32 v17, v8 :: v_dual_mov_b32 v16, v7
	v_fma_f64 v[7:8], v[12:13], v[16:17], -v[14:15]
	v_dual_mov_b32 v14, v16 :: v_dual_mov_b32 v15, v17
	s_cbranch_vccnz .LBB10_86
.LBB10_87:
	s_mov_b32 s1, 0
	s_branch .LBB10_89
.LBB10_88:
	s_mov_b32 s1, -1
.LBB10_89:
	s_delay_alu instid0(SALU_CYCLE_1)
	s_and_not1_b32 vcc_lo, exec_lo, s1
	s_cbranch_vccnz .LBB10_91
; %bb.90:
	s_waitcnt vmcnt(0)
	v_add_f64 v[7:8], v[10:11], v[10:11]
.LBB10_91:
	s_or_b32 exec_lo, exec_lo, s3
	s_and_saveexec_b32 s1, s0
	s_delay_alu instid0(SALU_CYCLE_1)
	s_xor_b32 s0, exec_lo, s1
	s_cbranch_execnz .LBB10_97
; %bb.92:
	s_or_b32 exec_lo, exec_lo, s0
	s_delay_alu instid0(SALU_CYCLE_1)
	s_mov_b32 s0, exec_lo
	v_cmpx_gt_i32_e64 s14, v0
	s_cbranch_execnz .LBB10_98
.LBB10_93:
	s_or_b32 exec_lo, exec_lo, s0
	s_delay_alu instid0(SALU_CYCLE_1)
	s_mov_b32 s0, exec_lo
	v_cmpx_gt_i32_e64 s14, v0
	s_cbranch_execnz .LBB10_99
.LBB10_94:
	s_or_b32 exec_lo, exec_lo, s0
	s_delay_alu instid0(SALU_CYCLE_1)
	s_mov_b32 s0, exec_lo
	v_cmpx_gt_i32_e64 s14, v0
	s_cbranch_execz .LBB10_96
.LBB10_95:
	v_dual_mov_b32 v1, 0 :: v_dual_add_nc_u32 v0, s2, v0
	s_delay_alu instid0(VALU_DEP_1) | instskip(NEXT) | instid1(VALU_DEP_1)
	v_lshlrev_b64 v[0:1], 3, v[0:1]
	v_add_co_u32 v0, vcc_lo, s6, v0
	s_delay_alu instid0(VALU_DEP_2)
	v_add_co_ci_u32_e32 v1, vcc_lo, s7, v1, vcc_lo
	global_store_b64 v[0:1], v[7:8], off
.LBB10_96:
	s_nop 0
	s_sendmsg sendmsg(MSG_DEALLOC_VGPRS)
	s_endpgm
.LBB10_97:
	s_waitcnt vmcnt(0)
	v_mov_b32_e32 v10, 0
	v_mov_b32_e32 v0, v23
	s_delay_alu instid0(VALU_DEP_2) | instskip(NEXT) | instid1(VALU_DEP_1)
	v_lshlrev_b64 v[9:10], 3, v[9:10]
	v_add_co_u32 v9, vcc_lo, s6, v9
	s_delay_alu instid0(VALU_DEP_2) | instskip(SKIP_2) | instid1(SALU_CYCLE_1)
	v_add_co_ci_u32_e32 v10, vcc_lo, s7, v10, vcc_lo
	global_store_b64 v[9:10], v[1:2], off
	s_or_b32 exec_lo, exec_lo, s0
	s_mov_b32 s0, exec_lo
	v_cmpx_gt_i32_e64 s14, v0
	s_cbranch_execz .LBB10_93
.LBB10_98:
	v_dual_mov_b32 v2, 0 :: v_dual_add_nc_u32 v1, s2, v0
	v_add_nc_u32_e32 v0, 0x100, v0
	s_delay_alu instid0(VALU_DEP_2) | instskip(NEXT) | instid1(VALU_DEP_1)
	v_lshlrev_b64 v[1:2], 3, v[1:2]
	v_add_co_u32 v1, vcc_lo, s6, v1
	s_delay_alu instid0(VALU_DEP_2) | instskip(SKIP_2) | instid1(SALU_CYCLE_1)
	v_add_co_ci_u32_e32 v2, vcc_lo, s7, v2, vcc_lo
	global_store_b64 v[1:2], v[3:4], off
	s_or_b32 exec_lo, exec_lo, s0
	s_mov_b32 s0, exec_lo
	v_cmpx_gt_i32_e64 s14, v0
	s_cbranch_execz .LBB10_94
.LBB10_99:
	v_dual_mov_b32 v2, 0 :: v_dual_add_nc_u32 v1, s2, v0
	v_add_nc_u32_e32 v0, 0x100, v0
	s_delay_alu instid0(VALU_DEP_2) | instskip(NEXT) | instid1(VALU_DEP_1)
	v_lshlrev_b64 v[1:2], 3, v[1:2]
	v_add_co_u32 v1, vcc_lo, s6, v1
	s_delay_alu instid0(VALU_DEP_2) | instskip(SKIP_2) | instid1(SALU_CYCLE_1)
	v_add_co_ci_u32_e32 v2, vcc_lo, s7, v2, vcc_lo
	global_store_b64 v[1:2], v[5:6], off
	s_or_b32 exec_lo, exec_lo, s0
	s_mov_b32 s0, exec_lo
	v_cmpx_gt_i32_e64 s14, v0
	s_cbranch_execnz .LBB10_95
	s_branch .LBB10_96
	.section	.rodata,"a",@progbits
	.p2align	6, 0x0
	.amdhsa_kernel _ZN2at6native29vectorized_elementwise_kernelILi4ENS0_13BUnaryFunctorIdddZZZNS0_12_GLOBAL__N_132hermite_polynomial_h_kernel_cudaERNS_18TensorIteratorBaseEENKUlvE_clEvENKUlvE_clEvEUlddE_EESt5arrayIPcLm2EEEEviT0_T1_
		.amdhsa_group_segment_fixed_size 0
		.amdhsa_private_segment_fixed_size 0
		.amdhsa_kernarg_size 40
		.amdhsa_user_sgpr_count 15
		.amdhsa_user_sgpr_dispatch_ptr 0
		.amdhsa_user_sgpr_queue_ptr 0
		.amdhsa_user_sgpr_kernarg_segment_ptr 1
		.amdhsa_user_sgpr_dispatch_id 0
		.amdhsa_user_sgpr_private_segment_size 0
		.amdhsa_wavefront_size32 1
		.amdhsa_uses_dynamic_stack 0
		.amdhsa_enable_private_segment 0
		.amdhsa_system_sgpr_workgroup_id_x 1
		.amdhsa_system_sgpr_workgroup_id_y 0
		.amdhsa_system_sgpr_workgroup_id_z 0
		.amdhsa_system_sgpr_workgroup_info 0
		.amdhsa_system_vgpr_workitem_id 0
		.amdhsa_next_free_vgpr 26
		.amdhsa_next_free_sgpr 18
		.amdhsa_reserve_vcc 1
		.amdhsa_float_round_mode_32 0
		.amdhsa_float_round_mode_16_64 0
		.amdhsa_float_denorm_mode_32 3
		.amdhsa_float_denorm_mode_16_64 3
		.amdhsa_dx10_clamp 1
		.amdhsa_ieee_mode 1
		.amdhsa_fp16_overflow 0
		.amdhsa_workgroup_processor_mode 1
		.amdhsa_memory_ordered 1
		.amdhsa_forward_progress 0
		.amdhsa_shared_vgpr_count 0
		.amdhsa_exception_fp_ieee_invalid_op 0
		.amdhsa_exception_fp_denorm_src 0
		.amdhsa_exception_fp_ieee_div_zero 0
		.amdhsa_exception_fp_ieee_overflow 0
		.amdhsa_exception_fp_ieee_underflow 0
		.amdhsa_exception_fp_ieee_inexact 0
		.amdhsa_exception_int_div_zero 0
	.end_amdhsa_kernel
	.section	.text._ZN2at6native29vectorized_elementwise_kernelILi4ENS0_13BUnaryFunctorIdddZZZNS0_12_GLOBAL__N_132hermite_polynomial_h_kernel_cudaERNS_18TensorIteratorBaseEENKUlvE_clEvENKUlvE_clEvEUlddE_EESt5arrayIPcLm2EEEEviT0_T1_,"axG",@progbits,_ZN2at6native29vectorized_elementwise_kernelILi4ENS0_13BUnaryFunctorIdddZZZNS0_12_GLOBAL__N_132hermite_polynomial_h_kernel_cudaERNS_18TensorIteratorBaseEENKUlvE_clEvENKUlvE_clEvEUlddE_EESt5arrayIPcLm2EEEEviT0_T1_,comdat
.Lfunc_end10:
	.size	_ZN2at6native29vectorized_elementwise_kernelILi4ENS0_13BUnaryFunctorIdddZZZNS0_12_GLOBAL__N_132hermite_polynomial_h_kernel_cudaERNS_18TensorIteratorBaseEENKUlvE_clEvENKUlvE_clEvEUlddE_EESt5arrayIPcLm2EEEEviT0_T1_, .Lfunc_end10-_ZN2at6native29vectorized_elementwise_kernelILi4ENS0_13BUnaryFunctorIdddZZZNS0_12_GLOBAL__N_132hermite_polynomial_h_kernel_cudaERNS_18TensorIteratorBaseEENKUlvE_clEvENKUlvE_clEvEUlddE_EESt5arrayIPcLm2EEEEviT0_T1_
                                        ; -- End function
	.section	.AMDGPU.csdata,"",@progbits
; Kernel info:
; codeLenInByte = 3032
; NumSgprs: 20
; NumVgprs: 26
; ScratchSize: 0
; MemoryBound: 0
; FloatMode: 240
; IeeeMode: 1
; LDSByteSize: 0 bytes/workgroup (compile time only)
; SGPRBlocks: 2
; VGPRBlocks: 3
; NumSGPRsForWavesPerEU: 20
; NumVGPRsForWavesPerEU: 26
; Occupancy: 16
; WaveLimiterHint : 0
; COMPUTE_PGM_RSRC2:SCRATCH_EN: 0
; COMPUTE_PGM_RSRC2:USER_SGPR: 15
; COMPUTE_PGM_RSRC2:TRAP_HANDLER: 0
; COMPUTE_PGM_RSRC2:TGID_X_EN: 1
; COMPUTE_PGM_RSRC2:TGID_Y_EN: 0
; COMPUTE_PGM_RSRC2:TGID_Z_EN: 0
; COMPUTE_PGM_RSRC2:TIDIG_COMP_CNT: 0
	.section	.text._ZN2at6native29vectorized_elementwise_kernelILi2ENS0_13BUnaryFunctorIdddZZZNS0_12_GLOBAL__N_132hermite_polynomial_h_kernel_cudaERNS_18TensorIteratorBaseEENKUlvE_clEvENKUlvE_clEvEUlddE_EESt5arrayIPcLm2EEEEviT0_T1_,"axG",@progbits,_ZN2at6native29vectorized_elementwise_kernelILi2ENS0_13BUnaryFunctorIdddZZZNS0_12_GLOBAL__N_132hermite_polynomial_h_kernel_cudaERNS_18TensorIteratorBaseEENKUlvE_clEvENKUlvE_clEvEUlddE_EESt5arrayIPcLm2EEEEviT0_T1_,comdat
	.globl	_ZN2at6native29vectorized_elementwise_kernelILi2ENS0_13BUnaryFunctorIdddZZZNS0_12_GLOBAL__N_132hermite_polynomial_h_kernel_cudaERNS_18TensorIteratorBaseEENKUlvE_clEvENKUlvE_clEvEUlddE_EESt5arrayIPcLm2EEEEviT0_T1_ ; -- Begin function _ZN2at6native29vectorized_elementwise_kernelILi2ENS0_13BUnaryFunctorIdddZZZNS0_12_GLOBAL__N_132hermite_polynomial_h_kernel_cudaERNS_18TensorIteratorBaseEENKUlvE_clEvENKUlvE_clEvEUlddE_EESt5arrayIPcLm2EEEEviT0_T1_
	.p2align	8
	.type	_ZN2at6native29vectorized_elementwise_kernelILi2ENS0_13BUnaryFunctorIdddZZZNS0_12_GLOBAL__N_132hermite_polynomial_h_kernel_cudaERNS_18TensorIteratorBaseEENKUlvE_clEvENKUlvE_clEvEUlddE_EESt5arrayIPcLm2EEEEviT0_T1_,@function
_ZN2at6native29vectorized_elementwise_kernelILi2ENS0_13BUnaryFunctorIdddZZZNS0_12_GLOBAL__N_132hermite_polynomial_h_kernel_cudaERNS_18TensorIteratorBaseEENKUlvE_clEvENKUlvE_clEvEUlddE_EESt5arrayIPcLm2EEEEviT0_T1_: ; @_ZN2at6native29vectorized_elementwise_kernelILi2ENS0_13BUnaryFunctorIdddZZZNS0_12_GLOBAL__N_132hermite_polynomial_h_kernel_cudaERNS_18TensorIteratorBaseEENKUlvE_clEvENKUlvE_clEvEUlddE_EESt5arrayIPcLm2EEEEviT0_T1_
; %bb.0:
	s_load_b128 s[4:7], s[0:1], 0x10
	s_lshl_b32 s2, s15, 10
	s_waitcnt lgkmcnt(0)
	v_trunc_f64_e32 v[13:14], s[4:5]
	v_cmp_class_f64_e64 s16, s[4:5], 0x1f8
	s_clause 0x1
	s_load_b32 s3, s[0:1], 0x0
	s_load_b64 s[4:5], s[0:1], 0x20
	s_mov_b32 s0, -1
	s_waitcnt lgkmcnt(0)
	s_sub_i32 s14, s3, s2
	s_delay_alu instid0(SALU_CYCLE_1) | instskip(NEXT) | instid1(VALU_DEP_2)
	s_cmpk_gt_i32 s14, 0x3ff
	v_ldexp_f64 v[15:16], v[13:14], 0xffffffe0
	s_cbranch_scc0 .LBB11_38
; %bb.1:
	s_ashr_i32 s3, s2, 31
	v_lshlrev_b32_e32 v19, 4, v0
	s_lshl_b64 s[0:1], s[2:3], 3
	s_delay_alu instid0(VALU_DEP_2) | instskip(SKIP_3) | instid1(VALU_DEP_1)
	v_floor_f64_e32 v[5:6], v[15:16]
	s_add_u32 s8, s4, s0
	s_addc_u32 s9, s5, s1
	v_add_co_u32 v1, s3, s8, v19
	v_add_co_ci_u32_e64 v2, null, s9, 0, s3
	s_delay_alu instid0(VALU_DEP_2) | instskip(NEXT) | instid1(VALU_DEP_2)
	v_add_co_u32 v1, vcc_lo, 0x1000, v1
	v_add_co_ci_u32_e32 v2, vcc_lo, 0, v2, vcc_lo
	s_clause 0x1
	global_load_b128 v[7:10], v19, s[8:9]
	global_load_b128 v[1:4], v[1:2], off
	s_and_b32 s9, s16, exec_lo
	v_fma_f64 v[11:12], 0xc1f00000, v[5:6], v[13:14]
	v_cvt_i32_f64_e32 v5, v[5:6]
	s_delay_alu instid0(VALU_DEP_2) | instskip(NEXT) | instid1(VALU_DEP_2)
	v_cvt_u32_f64_e32 v6, v[11:12]
	v_readfirstlane_b32 s3, v5
	s_delay_alu instid0(VALU_DEP_1) | instskip(NEXT) | instid1(VALU_DEP_2)
	s_cselect_b32 s11, s3, -1
	v_readfirstlane_b32 s8, v6
	v_mov_b32_e32 v5, 0
	v_mov_b32_e32 v6, 0
	s_delay_alu instid0(VALU_DEP_3) | instskip(NEXT) | instid1(SALU_CYCLE_1)
	s_cselect_b32 s10, s8, -1
	v_cmp_lt_i64_e64 s8, s[10:11], 0
	v_cmp_gt_i64_e64 s15, s[10:11], -1
	v_cmp_gt_u64_e64 s3, 0x201, s[10:11]
	v_cmp_lt_i64_e64 s12, s[10:11], 1
	s_delay_alu instid0(VALU_DEP_4)
	s_and_b32 vcc_lo, exec_lo, s8
	s_lshl_b64 s[8:9], s[10:11], 1
	s_cbranch_vccnz .LBB11_10
; %bb.2:
	v_mov_b32_e32 v5, 0
	v_mov_b32_e32 v6, 0x3ff00000
	s_and_b32 vcc_lo, exec_lo, s12
	s_cbranch_vccnz .LBB11_10
; %bb.3:
	s_cmp_lg_u64 s[10:11], 1
	s_cbranch_scc0 .LBB11_8
; %bb.4:
	v_mov_b32_e32 v5, 0
	v_mov_b32_e32 v6, 0x7ff80000
	s_and_not1_b32 vcc_lo, exec_lo, s3
	s_cbranch_vccnz .LBB11_7
; %bb.5:
	s_waitcnt vmcnt(1)
	v_add_f64 v[11:12], v[7:8], v[7:8]
	v_mov_b32_e32 v17, 0
	v_mov_b32_e32 v18, 0x3ff00000
	s_mov_b64 s[12:13], 2
	s_delay_alu instid0(VALU_DEP_3)
	v_dual_mov_b32 v5, v11 :: v_dual_mov_b32 v6, v12
	.p2align	6
.LBB11_6:                               ; =>This Inner Loop Header: Depth=1
	v_cvt_f64_u32_e32 v[20:21], s13
	v_cvt_f64_u32_e32 v[22:23], s12
	s_add_u32 s12, s12, 2
	s_addc_u32 s13, s13, 0
	s_delay_alu instid0(SALU_CYCLE_1) | instskip(NEXT) | instid1(VALU_DEP_1)
	v_cmp_lt_u64_e64 s17, s[12:13], s[8:9]
	s_and_b32 vcc_lo, exec_lo, s17
	s_delay_alu instid0(VALU_DEP_3) | instskip(NEXT) | instid1(VALU_DEP_1)
	v_ldexp_f64 v[20:21], v[20:21], 32
	v_add_f64 v[20:21], v[20:21], v[22:23]
	s_delay_alu instid0(VALU_DEP_1) | instskip(SKIP_1) | instid1(VALU_DEP_1)
	v_mul_f64 v[17:18], v[17:18], v[20:21]
	v_dual_mov_b32 v21, v6 :: v_dual_mov_b32 v20, v5
	v_fma_f64 v[5:6], v[11:12], v[20:21], -v[17:18]
	v_dual_mov_b32 v17, v20 :: v_dual_mov_b32 v18, v21
	s_cbranch_vccnz .LBB11_6
.LBB11_7:
	s_cbranch_execz .LBB11_9
	s_branch .LBB11_10
.LBB11_8:
                                        ; implicit-def: $vgpr5_vgpr6
.LBB11_9:
	s_waitcnt vmcnt(1)
	v_add_f64 v[5:6], v[7:8], v[7:8]
.LBB11_10:
	s_waitcnt vmcnt(1)
	v_mov_b32_e32 v7, 0
	v_cndmask_b32_e64 v20, 0, 1, s15
	v_mov_b32_e32 v8, 0
	s_and_not1_b32 vcc_lo, exec_lo, s15
	s_cbranch_vccnz .LBB11_19
; %bb.11:
	v_cmp_lt_i64_e64 s12, s[10:11], 1
	v_mov_b32_e32 v7, 0
	v_mov_b32_e32 v8, 0x3ff00000
	s_delay_alu instid0(VALU_DEP_3)
	s_and_b32 vcc_lo, exec_lo, s12
	s_cbranch_vccnz .LBB11_19
; %bb.12:
	s_cmp_lg_u64 s[10:11], 1
	s_cbranch_scc0 .LBB11_17
; %bb.13:
	v_mov_b32_e32 v7, 0
	v_mov_b32_e32 v8, 0x7ff80000
	s_and_not1_b32 vcc_lo, exec_lo, s3
	s_cbranch_vccnz .LBB11_16
; %bb.14:
	v_add_f64 v[11:12], v[9:10], v[9:10]
	v_mov_b32_e32 v17, 0
	v_mov_b32_e32 v18, 0x3ff00000
	s_mov_b64 s[12:13], 2
	s_delay_alu instid0(VALU_DEP_3)
	v_dual_mov_b32 v7, v11 :: v_dual_mov_b32 v8, v12
	.p2align	6
.LBB11_15:                              ; =>This Inner Loop Header: Depth=1
	v_cvt_f64_u32_e32 v[21:22], s13
	v_cvt_f64_u32_e32 v[23:24], s12
	s_add_u32 s12, s12, 2
	s_addc_u32 s13, s13, 0
	s_delay_alu instid0(SALU_CYCLE_1) | instskip(NEXT) | instid1(VALU_DEP_1)
	v_cmp_lt_u64_e64 s15, s[12:13], s[8:9]
	s_and_b32 vcc_lo, exec_lo, s15
	s_delay_alu instid0(VALU_DEP_3) | instskip(NEXT) | instid1(VALU_DEP_1)
	v_ldexp_f64 v[21:22], v[21:22], 32
	v_add_f64 v[21:22], v[21:22], v[23:24]
	s_delay_alu instid0(VALU_DEP_1) | instskip(SKIP_1) | instid1(VALU_DEP_1)
	v_mul_f64 v[17:18], v[17:18], v[21:22]
	v_dual_mov_b32 v22, v8 :: v_dual_mov_b32 v21, v7
	v_fma_f64 v[7:8], v[11:12], v[21:22], -v[17:18]
	v_dual_mov_b32 v17, v21 :: v_dual_mov_b32 v18, v22
	s_cbranch_vccnz .LBB11_15
.LBB11_16:
	s_cbranch_execz .LBB11_18
	s_branch .LBB11_19
.LBB11_17:
.LBB11_18:
	v_add_f64 v[7:8], v[9:10], v[9:10]
.LBB11_19:
	s_delay_alu instid0(VALU_DEP_2)
	v_cmp_ne_u32_e32 vcc_lo, 1, v20
	v_mov_b32_e32 v9, 0
	v_mov_b32_e32 v10, 0
	s_cbranch_vccnz .LBB11_28
; %bb.20:
	v_cmp_lt_i64_e64 s12, s[10:11], 1
	v_mov_b32_e32 v9, 0
	v_mov_b32_e32 v10, 0x3ff00000
	s_delay_alu instid0(VALU_DEP_3)
	s_and_b32 vcc_lo, exec_lo, s12
	s_cbranch_vccnz .LBB11_28
; %bb.21:
	s_cmp_lg_u64 s[10:11], 1
	s_cbranch_scc0 .LBB11_26
; %bb.22:
	v_mov_b32_e32 v9, 0
	v_mov_b32_e32 v10, 0x7ff80000
	s_and_not1_b32 vcc_lo, exec_lo, s3
	s_cbranch_vccnz .LBB11_25
; %bb.23:
	s_waitcnt vmcnt(0)
	v_add_f64 v[11:12], v[1:2], v[1:2]
	v_mov_b32_e32 v17, 0
	v_mov_b32_e32 v18, 0x3ff00000
	s_mov_b64 s[12:13], 2
	s_delay_alu instid0(VALU_DEP_3)
	v_dual_mov_b32 v9, v11 :: v_dual_mov_b32 v10, v12
	.p2align	6
.LBB11_24:                              ; =>This Inner Loop Header: Depth=1
	v_cvt_f64_u32_e32 v[21:22], s13
	v_cvt_f64_u32_e32 v[23:24], s12
	s_add_u32 s12, s12, 2
	s_addc_u32 s13, s13, 0
	s_delay_alu instid0(SALU_CYCLE_1) | instskip(NEXT) | instid1(VALU_DEP_1)
	v_cmp_lt_u64_e64 s15, s[12:13], s[8:9]
	s_and_b32 vcc_lo, exec_lo, s15
	s_delay_alu instid0(VALU_DEP_3) | instskip(NEXT) | instid1(VALU_DEP_1)
	v_ldexp_f64 v[21:22], v[21:22], 32
	v_add_f64 v[21:22], v[21:22], v[23:24]
	s_delay_alu instid0(VALU_DEP_1) | instskip(SKIP_1) | instid1(VALU_DEP_1)
	v_mul_f64 v[17:18], v[17:18], v[21:22]
	v_dual_mov_b32 v22, v10 :: v_dual_mov_b32 v21, v9
	v_fma_f64 v[9:10], v[11:12], v[21:22], -v[17:18]
	v_dual_mov_b32 v17, v21 :: v_dual_mov_b32 v18, v22
	s_cbranch_vccnz .LBB11_24
.LBB11_25:
	s_cbranch_execz .LBB11_27
	s_branch .LBB11_28
.LBB11_26:
                                        ; implicit-def: $vgpr9_vgpr10
.LBB11_27:
	s_waitcnt vmcnt(0)
	v_add_f64 v[9:10], v[1:2], v[1:2]
.LBB11_28:
	v_cmp_ne_u32_e32 vcc_lo, 1, v20
	v_mov_b32_e32 v11, 0
	v_mov_b32_e32 v12, 0
	s_cbranch_vccnz .LBB11_37
; %bb.29:
	v_cmp_lt_i64_e64 s12, s[10:11], 1
	v_mov_b32_e32 v11, 0
	v_mov_b32_e32 v12, 0x3ff00000
	s_delay_alu instid0(VALU_DEP_3)
	s_and_b32 vcc_lo, exec_lo, s12
	s_cbranch_vccnz .LBB11_37
; %bb.30:
	s_cmp_lg_u64 s[10:11], 1
	s_cbranch_scc0 .LBB11_35
; %bb.31:
	v_mov_b32_e32 v11, 0
	v_mov_b32_e32 v12, 0x7ff80000
	s_and_not1_b32 vcc_lo, exec_lo, s3
	s_cbranch_vccnz .LBB11_34
; %bb.32:
	s_waitcnt vmcnt(0)
	v_add_f64 v[1:2], v[3:4], v[3:4]
	v_mov_b32_e32 v17, 0
	v_mov_b32_e32 v18, 0x3ff00000
	s_mov_b64 s[10:11], 2
	s_delay_alu instid0(VALU_DEP_3)
	v_dual_mov_b32 v12, v2 :: v_dual_mov_b32 v11, v1
	.p2align	6
.LBB11_33:                              ; =>This Inner Loop Header: Depth=1
	v_cvt_f64_u32_e32 v[20:21], s11
	v_cvt_f64_u32_e32 v[22:23], s10
	s_add_u32 s10, s10, 2
	s_addc_u32 s11, s11, 0
	s_delay_alu instid0(SALU_CYCLE_1) | instskip(NEXT) | instid1(VALU_DEP_1)
	v_cmp_lt_u64_e64 s3, s[10:11], s[8:9]
	s_and_b32 vcc_lo, exec_lo, s3
	s_delay_alu instid0(VALU_DEP_3) | instskip(NEXT) | instid1(VALU_DEP_1)
	v_ldexp_f64 v[20:21], v[20:21], 32
	v_add_f64 v[20:21], v[20:21], v[22:23]
	s_delay_alu instid0(VALU_DEP_1) | instskip(SKIP_1) | instid1(VALU_DEP_1)
	v_mul_f64 v[17:18], v[17:18], v[20:21]
	v_dual_mov_b32 v21, v12 :: v_dual_mov_b32 v20, v11
	v_fma_f64 v[11:12], v[1:2], v[20:21], -v[17:18]
	v_dual_mov_b32 v17, v20 :: v_dual_mov_b32 v18, v21
	s_cbranch_vccnz .LBB11_33
.LBB11_34:
	s_cbranch_execz .LBB11_36
	s_branch .LBB11_37
.LBB11_35:
.LBB11_36:
	s_waitcnt vmcnt(0)
	v_add_f64 v[11:12], v[3:4], v[3:4]
.LBB11_37:
	s_add_u32 s8, s6, s0
	s_addc_u32 s9, s7, s1
	s_waitcnt vmcnt(0)
	v_add_co_u32 v1, s0, s8, v19
	s_delay_alu instid0(VALU_DEP_1) | instskip(SKIP_1) | instid1(VALU_DEP_2)
	v_add_co_ci_u32_e64 v2, null, s9, 0, s0
	s_mov_b32 s0, 0
	v_add_co_u32 v1, vcc_lo, 0x1000, v1
	s_delay_alu instid0(VALU_DEP_2)
	v_add_co_ci_u32_e32 v2, vcc_lo, 0, v2, vcc_lo
	s_clause 0x1
	global_store_b128 v19, v[5:8], s[8:9]
	global_store_b128 v[1:2], v[9:12], off
.LBB11_38:
	s_and_b32 vcc_lo, exec_lo, s0
	s_cbranch_vccz .LBB11_96
; %bb.39:
	v_mov_b32_e32 v19, 0
	v_dual_mov_b32 v20, 0 :: v_dual_mov_b32 v1, v0
	v_cmp_gt_i32_e64 s0, s14, v0
	v_or_b32_e32 v9, s2, v0
	v_or_b32_e32 v23, 0x100, v0
	s_delay_alu instid0(VALU_DEP_4) | instskip(NEXT) | instid1(VALU_DEP_4)
	v_dual_mov_b32 v22, v20 :: v_dual_mov_b32 v21, v19
	s_and_saveexec_b32 s1, s0
	s_cbranch_execz .LBB11_41
; %bb.40:
	v_mov_b32_e32 v10, 0
	s_delay_alu instid0(VALU_DEP_1) | instskip(NEXT) | instid1(VALU_DEP_1)
	v_lshlrev_b64 v[1:2], 3, v[9:10]
	v_add_co_u32 v1, vcc_lo, s4, v1
	s_delay_alu instid0(VALU_DEP_2)
	v_add_co_ci_u32_e32 v2, vcc_lo, s5, v2, vcc_lo
	global_load_b64 v[21:22], v[1:2], off
	v_or_b32_e32 v1, 0x100, v0
.LBB11_41:
	s_or_b32 exec_lo, exec_lo, s1
	s_delay_alu instid0(SALU_CYCLE_1) | instskip(NEXT) | instid1(VALU_DEP_1)
	s_mov_b32 s1, exec_lo
	v_cmpx_gt_i32_e64 s14, v1
	s_cbranch_execz .LBB11_43
; %bb.42:
	v_dual_mov_b32 v3, 0 :: v_dual_add_nc_u32 v2, s2, v1
	v_add_nc_u32_e32 v1, 0x100, v1
	s_delay_alu instid0(VALU_DEP_2) | instskip(NEXT) | instid1(VALU_DEP_1)
	v_lshlrev_b64 v[2:3], 3, v[2:3]
	v_add_co_u32 v2, vcc_lo, s4, v2
	s_delay_alu instid0(VALU_DEP_2)
	v_add_co_ci_u32_e32 v3, vcc_lo, s5, v3, vcc_lo
	global_load_b64 v[19:20], v[2:3], off
.LBB11_43:
	s_or_b32 exec_lo, exec_lo, s1
	v_mov_b32_e32 v10, 0
	v_mov_b32_e32 v11, 0
	s_mov_b32 s1, exec_lo
	s_delay_alu instid0(VALU_DEP_1)
	v_dual_mov_b32 v18, v11 :: v_dual_mov_b32 v17, v10
	v_cmpx_gt_i32_e64 s14, v1
	s_cbranch_execz .LBB11_45
; %bb.44:
	v_dual_mov_b32 v3, 0 :: v_dual_add_nc_u32 v2, s2, v1
	v_add_nc_u32_e32 v1, 0x100, v1
	s_delay_alu instid0(VALU_DEP_2) | instskip(NEXT) | instid1(VALU_DEP_1)
	v_lshlrev_b64 v[2:3], 3, v[2:3]
	v_add_co_u32 v2, vcc_lo, s4, v2
	s_delay_alu instid0(VALU_DEP_2)
	v_add_co_ci_u32_e32 v3, vcc_lo, s5, v3, vcc_lo
	global_load_b64 v[17:18], v[2:3], off
.LBB11_45:
	s_or_b32 exec_lo, exec_lo, s1
	s_delay_alu instid0(SALU_CYCLE_1)
	s_mov_b32 s1, exec_lo
	v_cmpx_gt_i32_e64 s14, v1
	s_cbranch_execz .LBB11_47
; %bb.46:
	v_dual_mov_b32 v2, 0 :: v_dual_add_nc_u32 v1, s2, v1
	s_delay_alu instid0(VALU_DEP_1) | instskip(NEXT) | instid1(VALU_DEP_1)
	v_lshlrev_b64 v[1:2], 3, v[1:2]
	v_add_co_u32 v1, vcc_lo, s4, v1
	s_delay_alu instid0(VALU_DEP_2)
	v_add_co_ci_u32_e32 v2, vcc_lo, s5, v2, vcc_lo
	global_load_b64 v[10:11], v[1:2], off
.LBB11_47:
	s_or_b32 exec_lo, exec_lo, s1
	v_floor_f64_e32 v[1:2], v[15:16]
	s_and_b32 s4, s16, exec_lo
	s_delay_alu instid0(VALU_DEP_1) | instskip(SKIP_1) | instid1(VALU_DEP_2)
	v_fma_f64 v[3:4], 0xc1f00000, v[1:2], v[13:14]
	v_cvt_i32_f64_e32 v1, v[1:2]
	v_cvt_u32_f64_e32 v2, v[3:4]
	s_delay_alu instid0(VALU_DEP_2) | instskip(NEXT) | instid1(VALU_DEP_1)
	v_readfirstlane_b32 s1, v1
	s_cselect_b32 s9, s1, -1
	s_delay_alu instid0(VALU_DEP_2) | instskip(NEXT) | instid1(VALU_DEP_1)
	v_readfirstlane_b32 s3, v2
                                        ; implicit-def: $vgpr1_vgpr2_vgpr3_vgpr4_vgpr5_vgpr6_vgpr7_vgpr8
	s_cselect_b32 s8, s3, -1
	s_delay_alu instid0(SALU_CYCLE_1) | instskip(SKIP_2) | instid1(VALU_DEP_2)
	v_cmp_gt_i64_e64 s10, s[8:9], -1
	v_cmp_gt_u64_e64 s1, 0x201, s[8:9]
	s_lshl_b64 s[4:5], s[8:9], 1
	v_cndmask_b32_e64 v16, 0, 1, s10
	s_and_saveexec_b32 s3, s0
	s_cbranch_execz .LBB11_58
; %bb.48:
	v_mov_b32_e32 v1, 0
	v_mov_b32_e32 v2, 0
	s_and_not1_b32 vcc_lo, exec_lo, s10
	s_cbranch_vccnz .LBB11_58
; %bb.49:
	v_cmp_lt_i64_e64 s10, s[8:9], 1
	v_mov_b32_e32 v1, 0
	v_mov_b32_e32 v2, 0x3ff00000
	s_delay_alu instid0(VALU_DEP_3)
	s_and_b32 vcc_lo, exec_lo, s10
	s_cbranch_vccnz .LBB11_58
; %bb.50:
	s_cmp_lg_u64 s[8:9], 1
	s_cbranch_scc0 .LBB11_55
; %bb.51:
	v_mov_b32_e32 v1, 0
	v_mov_b32_e32 v2, 0x7ff80000
	s_and_not1_b32 vcc_lo, exec_lo, s1
	s_cbranch_vccnz .LBB11_54
; %bb.52:
	s_waitcnt vmcnt(0)
	v_add_f64 v[3:4], v[21:22], v[21:22]
	v_mov_b32_e32 v5, 0
	v_mov_b32_e32 v6, 0x3ff00000
	s_mov_b64 s[10:11], 2
	s_delay_alu instid0(VALU_DEP_3)
	v_dual_mov_b32 v1, v3 :: v_dual_mov_b32 v2, v4
	.p2align	6
.LBB11_53:                              ; =>This Inner Loop Header: Depth=1
	v_cvt_f64_u32_e32 v[7:8], s11
	v_cvt_f64_u32_e32 v[12:13], s10
	s_add_u32 s10, s10, 2
	s_addc_u32 s11, s11, 0
	s_delay_alu instid0(SALU_CYCLE_1) | instskip(NEXT) | instid1(VALU_DEP_1)
	v_cmp_lt_u64_e64 s12, s[10:11], s[4:5]
	s_and_b32 vcc_lo, exec_lo, s12
	s_delay_alu instid0(VALU_DEP_3) | instskip(NEXT) | instid1(VALU_DEP_1)
	v_ldexp_f64 v[7:8], v[7:8], 32
	v_add_f64 v[7:8], v[7:8], v[12:13]
	s_delay_alu instid0(VALU_DEP_1) | instskip(SKIP_1) | instid1(VALU_DEP_1)
	v_mul_f64 v[5:6], v[5:6], v[7:8]
	v_dual_mov_b32 v8, v2 :: v_dual_mov_b32 v7, v1
	v_fma_f64 v[1:2], v[3:4], v[7:8], -v[5:6]
	v_dual_mov_b32 v5, v7 :: v_dual_mov_b32 v6, v8
	s_cbranch_vccnz .LBB11_53
.LBB11_54:
	s_mov_b32 s10, 0
	s_branch .LBB11_56
.LBB11_55:
	s_mov_b32 s10, -1
                                        ; implicit-def: $vgpr1_vgpr2
.LBB11_56:
	s_delay_alu instid0(SALU_CYCLE_1)
	s_and_not1_b32 vcc_lo, exec_lo, s10
	s_cbranch_vccnz .LBB11_58
; %bb.57:
	s_waitcnt vmcnt(0)
	v_add_f64 v[1:2], v[21:22], v[21:22]
.LBB11_58:
	s_or_b32 exec_lo, exec_lo, s3
	s_delay_alu instid0(SALU_CYCLE_1)
	s_mov_b32 s3, exec_lo
	v_cmpx_gt_i32_e64 s14, v23
	s_cbranch_execz .LBB11_69
; %bb.59:
	v_cmp_ne_u32_e32 vcc_lo, 1, v16
	v_mov_b32_e32 v3, 0
	v_mov_b32_e32 v4, 0
	s_cbranch_vccnz .LBB11_69
; %bb.60:
	v_cmp_lt_i64_e64 s10, s[8:9], 1
	v_mov_b32_e32 v3, 0
	v_mov_b32_e32 v4, 0x3ff00000
	s_delay_alu instid0(VALU_DEP_3)
	s_and_b32 vcc_lo, exec_lo, s10
	s_cbranch_vccnz .LBB11_69
; %bb.61:
	s_cmp_lg_u64 s[8:9], 1
	s_cbranch_scc0 .LBB11_66
; %bb.62:
	v_mov_b32_e32 v3, 0
	v_mov_b32_e32 v4, 0x7ff80000
	s_and_not1_b32 vcc_lo, exec_lo, s1
	s_cbranch_vccnz .LBB11_65
; %bb.63:
	s_waitcnt vmcnt(0)
	v_add_f64 v[12:13], v[19:20], v[19:20]
	v_mov_b32_e32 v14, 0
	v_mov_b32_e32 v15, 0x3ff00000
	s_mov_b64 s[10:11], 2
	s_delay_alu instid0(VALU_DEP_3)
	v_dual_mov_b32 v3, v12 :: v_dual_mov_b32 v4, v13
	.p2align	6
.LBB11_64:                              ; =>This Inner Loop Header: Depth=1
	v_cvt_f64_u32_e32 v[21:22], s11
	v_cvt_f64_u32_e32 v[24:25], s10
	s_add_u32 s10, s10, 2
	s_addc_u32 s11, s11, 0
	s_delay_alu instid0(SALU_CYCLE_1) | instskip(NEXT) | instid1(VALU_DEP_1)
	v_cmp_lt_u64_e64 s12, s[10:11], s[4:5]
	s_and_b32 vcc_lo, exec_lo, s12
	s_delay_alu instid0(VALU_DEP_3) | instskip(NEXT) | instid1(VALU_DEP_1)
	v_ldexp_f64 v[21:22], v[21:22], 32
	v_add_f64 v[21:22], v[21:22], v[24:25]
	s_delay_alu instid0(VALU_DEP_1) | instskip(SKIP_1) | instid1(VALU_DEP_1)
	v_mul_f64 v[14:15], v[14:15], v[21:22]
	v_dual_mov_b32 v22, v4 :: v_dual_mov_b32 v21, v3
	v_fma_f64 v[3:4], v[12:13], v[21:22], -v[14:15]
	v_dual_mov_b32 v14, v21 :: v_dual_mov_b32 v15, v22
	s_cbranch_vccnz .LBB11_64
.LBB11_65:
	s_mov_b32 s10, 0
	s_branch .LBB11_67
.LBB11_66:
	s_mov_b32 s10, -1
.LBB11_67:
	s_delay_alu instid0(SALU_CYCLE_1)
	s_and_not1_b32 vcc_lo, exec_lo, s10
	s_cbranch_vccnz .LBB11_69
; %bb.68:
	s_waitcnt vmcnt(0)
	v_add_f64 v[3:4], v[19:20], v[19:20]
.LBB11_69:
	s_or_b32 exec_lo, exec_lo, s3
	v_or_b32_e32 v12, 0x200, v0
	s_mov_b32 s3, exec_lo
	s_delay_alu instid0(VALU_DEP_1)
	v_cmpx_gt_i32_e64 s14, v12
	s_cbranch_execz .LBB11_80
; %bb.70:
	v_cmp_ne_u32_e32 vcc_lo, 1, v16
	v_mov_b32_e32 v5, 0
	v_mov_b32_e32 v6, 0
	s_cbranch_vccnz .LBB11_80
; %bb.71:
	v_cmp_lt_i64_e64 s10, s[8:9], 1
	v_mov_b32_e32 v5, 0
	v_mov_b32_e32 v6, 0x3ff00000
	s_delay_alu instid0(VALU_DEP_3)
	s_and_b32 vcc_lo, exec_lo, s10
	s_cbranch_vccnz .LBB11_80
; %bb.72:
	s_cmp_lg_u64 s[8:9], 1
	s_cbranch_scc0 .LBB11_77
; %bb.73:
	v_mov_b32_e32 v5, 0
	v_mov_b32_e32 v6, 0x7ff80000
	s_and_not1_b32 vcc_lo, exec_lo, s1
	s_cbranch_vccnz .LBB11_76
; %bb.74:
	s_waitcnt vmcnt(0)
	v_add_f64 v[12:13], v[17:18], v[17:18]
	v_mov_b32_e32 v14, 0
	v_mov_b32_e32 v15, 0x3ff00000
	s_mov_b64 s[10:11], 2
	s_delay_alu instid0(VALU_DEP_3)
	v_dual_mov_b32 v5, v12 :: v_dual_mov_b32 v6, v13
	.p2align	6
.LBB11_75:                              ; =>This Inner Loop Header: Depth=1
	v_cvt_f64_u32_e32 v[19:20], s11
	v_cvt_f64_u32_e32 v[21:22], s10
	s_add_u32 s10, s10, 2
	s_addc_u32 s11, s11, 0
	s_delay_alu instid0(SALU_CYCLE_1) | instskip(NEXT) | instid1(VALU_DEP_1)
	v_cmp_lt_u64_e64 s12, s[10:11], s[4:5]
	s_and_b32 vcc_lo, exec_lo, s12
	s_delay_alu instid0(VALU_DEP_3) | instskip(NEXT) | instid1(VALU_DEP_1)
	v_ldexp_f64 v[19:20], v[19:20], 32
	v_add_f64 v[19:20], v[19:20], v[21:22]
	s_delay_alu instid0(VALU_DEP_1) | instskip(SKIP_1) | instid1(VALU_DEP_1)
	v_mul_f64 v[14:15], v[14:15], v[19:20]
	v_dual_mov_b32 v20, v6 :: v_dual_mov_b32 v19, v5
	v_fma_f64 v[5:6], v[12:13], v[19:20], -v[14:15]
	v_dual_mov_b32 v14, v19 :: v_dual_mov_b32 v15, v20
	s_cbranch_vccnz .LBB11_75
.LBB11_76:
	s_mov_b32 s10, 0
	s_branch .LBB11_78
.LBB11_77:
	s_mov_b32 s10, -1
.LBB11_78:
	s_delay_alu instid0(SALU_CYCLE_1)
	s_and_not1_b32 vcc_lo, exec_lo, s10
	s_cbranch_vccnz .LBB11_80
; %bb.79:
	s_waitcnt vmcnt(0)
	v_add_f64 v[5:6], v[17:18], v[17:18]
.LBB11_80:
	s_or_b32 exec_lo, exec_lo, s3
	v_or_b32_e32 v12, 0x300, v0
	s_mov_b32 s3, exec_lo
	s_delay_alu instid0(VALU_DEP_1)
	v_cmpx_gt_i32_e64 s14, v12
	s_cbranch_execz .LBB11_91
; %bb.81:
	v_cmp_ne_u32_e32 vcc_lo, 1, v16
	v_mov_b32_e32 v7, 0
	v_mov_b32_e32 v8, 0
	s_cbranch_vccnz .LBB11_91
; %bb.82:
	v_cmp_lt_i64_e64 s10, s[8:9], 1
	v_mov_b32_e32 v7, 0
	v_mov_b32_e32 v8, 0x3ff00000
	s_delay_alu instid0(VALU_DEP_3)
	s_and_b32 vcc_lo, exec_lo, s10
	s_cbranch_vccnz .LBB11_91
; %bb.83:
	s_cmp_lg_u64 s[8:9], 1
	s_cbranch_scc0 .LBB11_88
; %bb.84:
	v_mov_b32_e32 v7, 0
	v_mov_b32_e32 v8, 0x7ff80000
	s_and_not1_b32 vcc_lo, exec_lo, s1
	s_cbranch_vccnz .LBB11_87
; %bb.85:
	s_waitcnt vmcnt(0)
	v_add_f64 v[12:13], v[10:11], v[10:11]
	v_mov_b32_e32 v14, 0
	v_mov_b32_e32 v15, 0x3ff00000
	s_mov_b64 s[8:9], 2
	s_delay_alu instid0(VALU_DEP_3)
	v_dual_mov_b32 v7, v12 :: v_dual_mov_b32 v8, v13
	.p2align	6
.LBB11_86:                              ; =>This Inner Loop Header: Depth=1
	v_cvt_f64_u32_e32 v[16:17], s9
	v_cvt_f64_u32_e32 v[18:19], s8
	s_add_u32 s8, s8, 2
	s_addc_u32 s9, s9, 0
	s_delay_alu instid0(SALU_CYCLE_1) | instskip(NEXT) | instid1(VALU_DEP_1)
	v_cmp_lt_u64_e64 s1, s[8:9], s[4:5]
	s_and_b32 vcc_lo, exec_lo, s1
	s_delay_alu instid0(VALU_DEP_3) | instskip(NEXT) | instid1(VALU_DEP_1)
	v_ldexp_f64 v[16:17], v[16:17], 32
	v_add_f64 v[16:17], v[16:17], v[18:19]
	s_delay_alu instid0(VALU_DEP_1) | instskip(SKIP_1) | instid1(VALU_DEP_1)
	v_mul_f64 v[14:15], v[14:15], v[16:17]
	v_dual_mov_b32 v17, v8 :: v_dual_mov_b32 v16, v7
	v_fma_f64 v[7:8], v[12:13], v[16:17], -v[14:15]
	v_dual_mov_b32 v14, v16 :: v_dual_mov_b32 v15, v17
	s_cbranch_vccnz .LBB11_86
.LBB11_87:
	s_mov_b32 s1, 0
	s_branch .LBB11_89
.LBB11_88:
	s_mov_b32 s1, -1
.LBB11_89:
	s_delay_alu instid0(SALU_CYCLE_1)
	s_and_not1_b32 vcc_lo, exec_lo, s1
	s_cbranch_vccnz .LBB11_91
; %bb.90:
	s_waitcnt vmcnt(0)
	v_add_f64 v[7:8], v[10:11], v[10:11]
.LBB11_91:
	s_or_b32 exec_lo, exec_lo, s3
	s_and_saveexec_b32 s1, s0
	s_delay_alu instid0(SALU_CYCLE_1)
	s_xor_b32 s0, exec_lo, s1
	s_cbranch_execnz .LBB11_97
; %bb.92:
	s_or_b32 exec_lo, exec_lo, s0
	s_delay_alu instid0(SALU_CYCLE_1)
	s_mov_b32 s0, exec_lo
	v_cmpx_gt_i32_e64 s14, v0
	s_cbranch_execnz .LBB11_98
.LBB11_93:
	s_or_b32 exec_lo, exec_lo, s0
	s_delay_alu instid0(SALU_CYCLE_1)
	s_mov_b32 s0, exec_lo
	v_cmpx_gt_i32_e64 s14, v0
	s_cbranch_execnz .LBB11_99
.LBB11_94:
	s_or_b32 exec_lo, exec_lo, s0
	s_delay_alu instid0(SALU_CYCLE_1)
	s_mov_b32 s0, exec_lo
	v_cmpx_gt_i32_e64 s14, v0
	s_cbranch_execz .LBB11_96
.LBB11_95:
	v_dual_mov_b32 v1, 0 :: v_dual_add_nc_u32 v0, s2, v0
	s_delay_alu instid0(VALU_DEP_1) | instskip(NEXT) | instid1(VALU_DEP_1)
	v_lshlrev_b64 v[0:1], 3, v[0:1]
	v_add_co_u32 v0, vcc_lo, s6, v0
	s_delay_alu instid0(VALU_DEP_2)
	v_add_co_ci_u32_e32 v1, vcc_lo, s7, v1, vcc_lo
	global_store_b64 v[0:1], v[7:8], off
.LBB11_96:
	s_nop 0
	s_sendmsg sendmsg(MSG_DEALLOC_VGPRS)
	s_endpgm
.LBB11_97:
	s_waitcnt vmcnt(0)
	v_mov_b32_e32 v10, 0
	v_mov_b32_e32 v0, v23
	s_delay_alu instid0(VALU_DEP_2) | instskip(NEXT) | instid1(VALU_DEP_1)
	v_lshlrev_b64 v[9:10], 3, v[9:10]
	v_add_co_u32 v9, vcc_lo, s6, v9
	s_delay_alu instid0(VALU_DEP_2) | instskip(SKIP_2) | instid1(SALU_CYCLE_1)
	v_add_co_ci_u32_e32 v10, vcc_lo, s7, v10, vcc_lo
	global_store_b64 v[9:10], v[1:2], off
	s_or_b32 exec_lo, exec_lo, s0
	s_mov_b32 s0, exec_lo
	v_cmpx_gt_i32_e64 s14, v0
	s_cbranch_execz .LBB11_93
.LBB11_98:
	v_dual_mov_b32 v2, 0 :: v_dual_add_nc_u32 v1, s2, v0
	v_add_nc_u32_e32 v0, 0x100, v0
	s_delay_alu instid0(VALU_DEP_2) | instskip(NEXT) | instid1(VALU_DEP_1)
	v_lshlrev_b64 v[1:2], 3, v[1:2]
	v_add_co_u32 v1, vcc_lo, s6, v1
	s_delay_alu instid0(VALU_DEP_2) | instskip(SKIP_2) | instid1(SALU_CYCLE_1)
	v_add_co_ci_u32_e32 v2, vcc_lo, s7, v2, vcc_lo
	global_store_b64 v[1:2], v[3:4], off
	s_or_b32 exec_lo, exec_lo, s0
	s_mov_b32 s0, exec_lo
	v_cmpx_gt_i32_e64 s14, v0
	s_cbranch_execz .LBB11_94
.LBB11_99:
	v_dual_mov_b32 v2, 0 :: v_dual_add_nc_u32 v1, s2, v0
	v_add_nc_u32_e32 v0, 0x100, v0
	s_delay_alu instid0(VALU_DEP_2) | instskip(NEXT) | instid1(VALU_DEP_1)
	v_lshlrev_b64 v[1:2], 3, v[1:2]
	v_add_co_u32 v1, vcc_lo, s6, v1
	s_delay_alu instid0(VALU_DEP_2) | instskip(SKIP_2) | instid1(SALU_CYCLE_1)
	v_add_co_ci_u32_e32 v2, vcc_lo, s7, v2, vcc_lo
	global_store_b64 v[1:2], v[5:6], off
	s_or_b32 exec_lo, exec_lo, s0
	s_mov_b32 s0, exec_lo
	v_cmpx_gt_i32_e64 s14, v0
	s_cbranch_execnz .LBB11_95
	s_branch .LBB11_96
	.section	.rodata,"a",@progbits
	.p2align	6, 0x0
	.amdhsa_kernel _ZN2at6native29vectorized_elementwise_kernelILi2ENS0_13BUnaryFunctorIdddZZZNS0_12_GLOBAL__N_132hermite_polynomial_h_kernel_cudaERNS_18TensorIteratorBaseEENKUlvE_clEvENKUlvE_clEvEUlddE_EESt5arrayIPcLm2EEEEviT0_T1_
		.amdhsa_group_segment_fixed_size 0
		.amdhsa_private_segment_fixed_size 0
		.amdhsa_kernarg_size 40
		.amdhsa_user_sgpr_count 15
		.amdhsa_user_sgpr_dispatch_ptr 0
		.amdhsa_user_sgpr_queue_ptr 0
		.amdhsa_user_sgpr_kernarg_segment_ptr 1
		.amdhsa_user_sgpr_dispatch_id 0
		.amdhsa_user_sgpr_private_segment_size 0
		.amdhsa_wavefront_size32 1
		.amdhsa_uses_dynamic_stack 0
		.amdhsa_enable_private_segment 0
		.amdhsa_system_sgpr_workgroup_id_x 1
		.amdhsa_system_sgpr_workgroup_id_y 0
		.amdhsa_system_sgpr_workgroup_id_z 0
		.amdhsa_system_sgpr_workgroup_info 0
		.amdhsa_system_vgpr_workitem_id 0
		.amdhsa_next_free_vgpr 26
		.amdhsa_next_free_sgpr 18
		.amdhsa_reserve_vcc 1
		.amdhsa_float_round_mode_32 0
		.amdhsa_float_round_mode_16_64 0
		.amdhsa_float_denorm_mode_32 3
		.amdhsa_float_denorm_mode_16_64 3
		.amdhsa_dx10_clamp 1
		.amdhsa_ieee_mode 1
		.amdhsa_fp16_overflow 0
		.amdhsa_workgroup_processor_mode 1
		.amdhsa_memory_ordered 1
		.amdhsa_forward_progress 0
		.amdhsa_shared_vgpr_count 0
		.amdhsa_exception_fp_ieee_invalid_op 0
		.amdhsa_exception_fp_denorm_src 0
		.amdhsa_exception_fp_ieee_div_zero 0
		.amdhsa_exception_fp_ieee_overflow 0
		.amdhsa_exception_fp_ieee_underflow 0
		.amdhsa_exception_fp_ieee_inexact 0
		.amdhsa_exception_int_div_zero 0
	.end_amdhsa_kernel
	.section	.text._ZN2at6native29vectorized_elementwise_kernelILi2ENS0_13BUnaryFunctorIdddZZZNS0_12_GLOBAL__N_132hermite_polynomial_h_kernel_cudaERNS_18TensorIteratorBaseEENKUlvE_clEvENKUlvE_clEvEUlddE_EESt5arrayIPcLm2EEEEviT0_T1_,"axG",@progbits,_ZN2at6native29vectorized_elementwise_kernelILi2ENS0_13BUnaryFunctorIdddZZZNS0_12_GLOBAL__N_132hermite_polynomial_h_kernel_cudaERNS_18TensorIteratorBaseEENKUlvE_clEvENKUlvE_clEvEUlddE_EESt5arrayIPcLm2EEEEviT0_T1_,comdat
.Lfunc_end11:
	.size	_ZN2at6native29vectorized_elementwise_kernelILi2ENS0_13BUnaryFunctorIdddZZZNS0_12_GLOBAL__N_132hermite_polynomial_h_kernel_cudaERNS_18TensorIteratorBaseEENKUlvE_clEvENKUlvE_clEvEUlddE_EESt5arrayIPcLm2EEEEviT0_T1_, .Lfunc_end11-_ZN2at6native29vectorized_elementwise_kernelILi2ENS0_13BUnaryFunctorIdddZZZNS0_12_GLOBAL__N_132hermite_polynomial_h_kernel_cudaERNS_18TensorIteratorBaseEENKUlvE_clEvENKUlvE_clEvEUlddE_EESt5arrayIPcLm2EEEEviT0_T1_
                                        ; -- End function
	.section	.AMDGPU.csdata,"",@progbits
; Kernel info:
; codeLenInByte = 3128
; NumSgprs: 20
; NumVgprs: 26
; ScratchSize: 0
; MemoryBound: 0
; FloatMode: 240
; IeeeMode: 1
; LDSByteSize: 0 bytes/workgroup (compile time only)
; SGPRBlocks: 2
; VGPRBlocks: 3
; NumSGPRsForWavesPerEU: 20
; NumVGPRsForWavesPerEU: 26
; Occupancy: 16
; WaveLimiterHint : 1
; COMPUTE_PGM_RSRC2:SCRATCH_EN: 0
; COMPUTE_PGM_RSRC2:USER_SGPR: 15
; COMPUTE_PGM_RSRC2:TRAP_HANDLER: 0
; COMPUTE_PGM_RSRC2:TGID_X_EN: 1
; COMPUTE_PGM_RSRC2:TGID_Y_EN: 0
; COMPUTE_PGM_RSRC2:TGID_Z_EN: 0
; COMPUTE_PGM_RSRC2:TIDIG_COMP_CNT: 0
	.section	.text._ZN2at6native27unrolled_elementwise_kernelINS0_13BUnaryFunctorIdddZZZNS0_12_GLOBAL__N_132hermite_polynomial_h_kernel_cudaERNS_18TensorIteratorBaseEENKUlvE_clEvENKUlvE_clEvEUlddE_EESt5arrayIPcLm2EELi4E23TrivialOffsetCalculatorILi1EjESE_NS0_6memory15LoadWithoutCastENSF_16StoreWithoutCastEEEviT_T0_T2_T3_T4_T5_,"axG",@progbits,_ZN2at6native27unrolled_elementwise_kernelINS0_13BUnaryFunctorIdddZZZNS0_12_GLOBAL__N_132hermite_polynomial_h_kernel_cudaERNS_18TensorIteratorBaseEENKUlvE_clEvENKUlvE_clEvEUlddE_EESt5arrayIPcLm2EELi4E23TrivialOffsetCalculatorILi1EjESE_NS0_6memory15LoadWithoutCastENSF_16StoreWithoutCastEEEviT_T0_T2_T3_T4_T5_,comdat
	.globl	_ZN2at6native27unrolled_elementwise_kernelINS0_13BUnaryFunctorIdddZZZNS0_12_GLOBAL__N_132hermite_polynomial_h_kernel_cudaERNS_18TensorIteratorBaseEENKUlvE_clEvENKUlvE_clEvEUlddE_EESt5arrayIPcLm2EELi4E23TrivialOffsetCalculatorILi1EjESE_NS0_6memory15LoadWithoutCastENSF_16StoreWithoutCastEEEviT_T0_T2_T3_T4_T5_ ; -- Begin function _ZN2at6native27unrolled_elementwise_kernelINS0_13BUnaryFunctorIdddZZZNS0_12_GLOBAL__N_132hermite_polynomial_h_kernel_cudaERNS_18TensorIteratorBaseEENKUlvE_clEvENKUlvE_clEvEUlddE_EESt5arrayIPcLm2EELi4E23TrivialOffsetCalculatorILi1EjESE_NS0_6memory15LoadWithoutCastENSF_16StoreWithoutCastEEEviT_T0_T2_T3_T4_T5_
	.p2align	8
	.type	_ZN2at6native27unrolled_elementwise_kernelINS0_13BUnaryFunctorIdddZZZNS0_12_GLOBAL__N_132hermite_polynomial_h_kernel_cudaERNS_18TensorIteratorBaseEENKUlvE_clEvENKUlvE_clEvEUlddE_EESt5arrayIPcLm2EELi4E23TrivialOffsetCalculatorILi1EjESE_NS0_6memory15LoadWithoutCastENSF_16StoreWithoutCastEEEviT_T0_T2_T3_T4_T5_,@function
_ZN2at6native27unrolled_elementwise_kernelINS0_13BUnaryFunctorIdddZZZNS0_12_GLOBAL__N_132hermite_polynomial_h_kernel_cudaERNS_18TensorIteratorBaseEENKUlvE_clEvENKUlvE_clEvEUlddE_EESt5arrayIPcLm2EELi4E23TrivialOffsetCalculatorILi1EjESE_NS0_6memory15LoadWithoutCastENSF_16StoreWithoutCastEEEviT_T0_T2_T3_T4_T5_: ; @_ZN2at6native27unrolled_elementwise_kernelINS0_13BUnaryFunctorIdddZZZNS0_12_GLOBAL__N_132hermite_polynomial_h_kernel_cudaERNS_18TensorIteratorBaseEENKUlvE_clEvENKUlvE_clEvEUlddE_EESt5arrayIPcLm2EELi4E23TrivialOffsetCalculatorILi1EjESE_NS0_6memory15LoadWithoutCastENSF_16StoreWithoutCastEEEviT_T0_T2_T3_T4_T5_
; %bb.0:
	s_clause 0x1
	s_load_b32 s2, s[0:1], 0x0
	s_load_b64 s[8:9], s[0:1], 0x20
	v_dual_mov_b32 v14, 0 :: v_dual_mov_b32 v1, v0
	v_mov_b32_e32 v15, 0
	s_lshl_b32 s3, s15, 10
	v_or_b32_e32 v20, 0x100, v0
	v_or_b32_e32 v9, s3, v0
	s_delay_alu instid0(VALU_DEP_3) | instskip(SKIP_2) | instid1(SALU_CYCLE_1)
	v_dual_mov_b32 v17, v15 :: v_dual_mov_b32 v16, v14
	s_waitcnt lgkmcnt(0)
	s_sub_i32 s10, s2, s3
	v_cmp_gt_i32_e64 s2, s10, v0
	s_delay_alu instid0(VALU_DEP_1)
	s_and_saveexec_b32 s4, s2
	s_cbranch_execz .LBB12_2
; %bb.1:
	v_mov_b32_e32 v10, 0
	s_delay_alu instid0(VALU_DEP_1) | instskip(NEXT) | instid1(VALU_DEP_1)
	v_lshlrev_b64 v[1:2], 3, v[9:10]
	v_add_co_u32 v1, vcc_lo, s8, v1
	s_delay_alu instid0(VALU_DEP_2)
	v_add_co_ci_u32_e32 v2, vcc_lo, s9, v2, vcc_lo
	global_load_b64 v[16:17], v[1:2], off
	v_or_b32_e32 v1, 0x100, v0
.LBB12_2:
	s_or_b32 exec_lo, exec_lo, s4
	s_load_b128 s[4:7], s[0:1], 0x10
	s_mov_b32 s0, exec_lo
	s_delay_alu instid0(VALU_DEP_1)
	v_cmpx_gt_i32_e64 s10, v1
	s_cbranch_execz .LBB12_4
; %bb.3:
	v_dual_mov_b32 v3, 0 :: v_dual_add_nc_u32 v2, s3, v1
	v_add_nc_u32_e32 v1, 0x100, v1
	s_delay_alu instid0(VALU_DEP_2) | instskip(NEXT) | instid1(VALU_DEP_1)
	v_lshlrev_b64 v[2:3], 3, v[2:3]
	v_add_co_u32 v2, vcc_lo, s8, v2
	s_delay_alu instid0(VALU_DEP_2)
	v_add_co_ci_u32_e32 v3, vcc_lo, s9, v3, vcc_lo
	global_load_b64 v[14:15], v[2:3], off
.LBB12_4:
	s_or_b32 exec_lo, exec_lo, s0
	v_mov_b32_e32 v10, 0
	v_mov_b32_e32 v11, 0
	s_mov_b32 s0, exec_lo
	s_delay_alu instid0(VALU_DEP_1)
	v_dual_mov_b32 v13, v11 :: v_dual_mov_b32 v12, v10
	v_cmpx_gt_i32_e64 s10, v1
	s_cbranch_execz .LBB12_6
; %bb.5:
	v_dual_mov_b32 v3, 0 :: v_dual_add_nc_u32 v2, s3, v1
	v_add_nc_u32_e32 v1, 0x100, v1
	s_delay_alu instid0(VALU_DEP_2) | instskip(NEXT) | instid1(VALU_DEP_1)
	v_lshlrev_b64 v[2:3], 3, v[2:3]
	v_add_co_u32 v2, vcc_lo, s8, v2
	s_delay_alu instid0(VALU_DEP_2)
	v_add_co_ci_u32_e32 v3, vcc_lo, s9, v3, vcc_lo
	global_load_b64 v[12:13], v[2:3], off
.LBB12_6:
	s_or_b32 exec_lo, exec_lo, s0
	s_delay_alu instid0(SALU_CYCLE_1)
	s_mov_b32 s0, exec_lo
	v_cmpx_gt_i32_e64 s10, v1
	s_cbranch_execz .LBB12_8
; %bb.7:
	v_dual_mov_b32 v2, 0 :: v_dual_add_nc_u32 v1, s3, v1
	s_delay_alu instid0(VALU_DEP_1) | instskip(NEXT) | instid1(VALU_DEP_1)
	v_lshlrev_b64 v[1:2], 3, v[1:2]
	v_add_co_u32 v1, vcc_lo, s8, v1
	s_delay_alu instid0(VALU_DEP_2)
	v_add_co_ci_u32_e32 v2, vcc_lo, s9, v2, vcc_lo
	global_load_b64 v[10:11], v[1:2], off
.LBB12_8:
	s_or_b32 exec_lo, exec_lo, s0
	s_waitcnt lgkmcnt(0)
	v_trunc_f64_e32 v[1:2], s[4:5]
	v_cmp_class_f64_e64 s0, s[4:5], 0x1f8
	s_delay_alu instid0(VALU_DEP_2) | instskip(NEXT) | instid1(VALU_DEP_2)
	v_ldexp_f64 v[3:4], v[1:2], 0xffffffe0
	s_and_b32 s0, s0, exec_lo
	s_delay_alu instid0(VALU_DEP_1) | instskip(NEXT) | instid1(VALU_DEP_1)
	v_floor_f64_e32 v[3:4], v[3:4]
	v_fma_f64 v[1:2], 0xc1f00000, v[3:4], v[1:2]
	v_cvt_i32_f64_e32 v3, v[3:4]
	s_delay_alu instid0(VALU_DEP_2) | instskip(NEXT) | instid1(VALU_DEP_2)
	v_cvt_u32_f64_e32 v1, v[1:2]
	v_readfirstlane_b32 s1, v3
	s_delay_alu instid0(VALU_DEP_1) | instskip(NEXT) | instid1(VALU_DEP_2)
	s_cselect_b32 s5, s1, -1
	v_readfirstlane_b32 s4, v1
                                        ; implicit-def: $vgpr1_vgpr2_vgpr3_vgpr4_vgpr5_vgpr6_vgpr7_vgpr8
	s_delay_alu instid0(VALU_DEP_1) | instskip(NEXT) | instid1(SALU_CYCLE_1)
	s_cselect_b32 s4, s4, -1
	v_cmp_gt_i64_e64 s8, s[4:5], -1
	v_cmp_gt_u64_e64 s11, 0x201, s[4:5]
	s_lshl_b64 s[0:1], s[4:5], 1
	s_delay_alu instid0(VALU_DEP_2)
	v_cndmask_b32_e64 v21, 0, 1, s8
	s_and_saveexec_b32 s12, s2
	s_cbranch_execz .LBB12_18
; %bb.9:
	v_mov_b32_e32 v1, 0
	v_mov_b32_e32 v2, 0
	s_and_not1_b32 vcc_lo, exec_lo, s8
	s_cbranch_vccnz .LBB12_18
; %bb.10:
	v_cmp_lt_i64_e64 s8, s[4:5], 1
	v_mov_b32_e32 v1, 0
	v_mov_b32_e32 v2, 0x3ff00000
	s_delay_alu instid0(VALU_DEP_3)
	s_and_b32 vcc_lo, exec_lo, s8
	s_cbranch_vccnz .LBB12_18
; %bb.11:
	s_cmp_lg_u64 s[4:5], 1
	s_cbranch_scc0 .LBB12_16
; %bb.12:
	v_mov_b32_e32 v1, 0
	v_mov_b32_e32 v2, 0x7ff80000
	s_and_not1_b32 vcc_lo, exec_lo, s11
	s_cbranch_vccnz .LBB12_15
; %bb.13:
	s_waitcnt vmcnt(0)
	v_add_f64 v[3:4], v[16:17], v[16:17]
	v_mov_b32_e32 v5, 0
	v_mov_b32_e32 v6, 0x3ff00000
	s_mov_b64 s[8:9], 2
	s_delay_alu instid0(VALU_DEP_3)
	v_dual_mov_b32 v1, v3 :: v_dual_mov_b32 v2, v4
	.p2align	6
.LBB12_14:                              ; =>This Inner Loop Header: Depth=1
	v_cvt_f64_u32_e32 v[7:8], s9
	v_cvt_f64_u32_e32 v[18:19], s8
	s_add_u32 s8, s8, 2
	s_addc_u32 s9, s9, 0
	s_delay_alu instid0(SALU_CYCLE_1) | instskip(NEXT) | instid1(VALU_DEP_1)
	v_cmp_lt_u64_e64 s13, s[8:9], s[0:1]
	s_and_b32 vcc_lo, exec_lo, s13
	s_delay_alu instid0(VALU_DEP_3) | instskip(NEXT) | instid1(VALU_DEP_1)
	v_ldexp_f64 v[7:8], v[7:8], 32
	v_add_f64 v[7:8], v[7:8], v[18:19]
	s_delay_alu instid0(VALU_DEP_1) | instskip(SKIP_1) | instid1(VALU_DEP_1)
	v_mul_f64 v[5:6], v[5:6], v[7:8]
	v_dual_mov_b32 v8, v2 :: v_dual_mov_b32 v7, v1
	v_fma_f64 v[1:2], v[3:4], v[7:8], -v[5:6]
	v_dual_mov_b32 v5, v7 :: v_dual_mov_b32 v6, v8
	s_cbranch_vccnz .LBB12_14
.LBB12_15:
	s_cbranch_execz .LBB12_17
	s_branch .LBB12_18
.LBB12_16:
                                        ; implicit-def: $vgpr1_vgpr2
.LBB12_17:
	s_waitcnt vmcnt(0)
	v_add_f64 v[1:2], v[16:17], v[16:17]
.LBB12_18:
	s_or_b32 exec_lo, exec_lo, s12
	s_delay_alu instid0(SALU_CYCLE_1)
	s_mov_b32 s12, exec_lo
	v_cmpx_gt_i32_e64 s10, v20
	s_cbranch_execz .LBB12_28
; %bb.19:
	v_cmp_ne_u32_e32 vcc_lo, 1, v21
	v_mov_b32_e32 v3, 0
	v_mov_b32_e32 v4, 0
	s_cbranch_vccnz .LBB12_28
; %bb.20:
	v_cmp_lt_i64_e64 s8, s[4:5], 1
	v_mov_b32_e32 v3, 0
	v_mov_b32_e32 v4, 0x3ff00000
	s_delay_alu instid0(VALU_DEP_3)
	s_and_b32 vcc_lo, exec_lo, s8
	s_cbranch_vccnz .LBB12_28
; %bb.21:
	s_cmp_lg_u64 s[4:5], 1
	s_cbranch_scc0 .LBB12_26
; %bb.22:
	v_mov_b32_e32 v3, 0
	v_mov_b32_e32 v4, 0x7ff80000
	s_and_not1_b32 vcc_lo, exec_lo, s11
	s_cbranch_vccnz .LBB12_25
; %bb.23:
	s_waitcnt vmcnt(0)
	v_add_f64 v[16:17], v[14:15], v[14:15]
	v_mov_b32_e32 v18, 0
	v_mov_b32_e32 v19, 0x3ff00000
	s_mov_b64 s[8:9], 2
	s_delay_alu instid0(VALU_DEP_3)
	v_dual_mov_b32 v3, v16 :: v_dual_mov_b32 v4, v17
	.p2align	6
.LBB12_24:                              ; =>This Inner Loop Header: Depth=1
	v_cvt_f64_u32_e32 v[22:23], s9
	v_cvt_f64_u32_e32 v[24:25], s8
	s_add_u32 s8, s8, 2
	s_addc_u32 s9, s9, 0
	s_delay_alu instid0(SALU_CYCLE_1) | instskip(NEXT) | instid1(VALU_DEP_1)
	v_cmp_lt_u64_e64 s13, s[8:9], s[0:1]
	s_and_b32 vcc_lo, exec_lo, s13
	s_delay_alu instid0(VALU_DEP_3) | instskip(NEXT) | instid1(VALU_DEP_1)
	v_ldexp_f64 v[22:23], v[22:23], 32
	v_add_f64 v[22:23], v[22:23], v[24:25]
	s_delay_alu instid0(VALU_DEP_1) | instskip(SKIP_1) | instid1(VALU_DEP_1)
	v_mul_f64 v[18:19], v[18:19], v[22:23]
	v_dual_mov_b32 v23, v4 :: v_dual_mov_b32 v22, v3
	v_fma_f64 v[3:4], v[16:17], v[22:23], -v[18:19]
	v_dual_mov_b32 v18, v22 :: v_dual_mov_b32 v19, v23
	s_cbranch_vccnz .LBB12_24
.LBB12_25:
	s_cbranch_execz .LBB12_27
	s_branch .LBB12_28
.LBB12_26:
.LBB12_27:
	s_waitcnt vmcnt(0)
	v_add_f64 v[3:4], v[14:15], v[14:15]
.LBB12_28:
	s_or_b32 exec_lo, exec_lo, s12
	s_waitcnt vmcnt(0)
	v_or_b32_e32 v14, 0x200, v0
	s_mov_b32 s12, exec_lo
	s_delay_alu instid0(VALU_DEP_1)
	v_cmpx_gt_i32_e64 s10, v14
	s_cbranch_execz .LBB12_38
; %bb.29:
	v_cmp_ne_u32_e32 vcc_lo, 1, v21
	v_mov_b32_e32 v5, 0
	v_mov_b32_e32 v6, 0
	s_cbranch_vccnz .LBB12_38
; %bb.30:
	v_cmp_lt_i64_e64 s8, s[4:5], 1
	v_mov_b32_e32 v5, 0
	v_mov_b32_e32 v6, 0x3ff00000
	s_delay_alu instid0(VALU_DEP_3)
	s_and_b32 vcc_lo, exec_lo, s8
	s_cbranch_vccnz .LBB12_38
; %bb.31:
	s_cmp_lg_u64 s[4:5], 1
	s_cbranch_scc0 .LBB12_36
; %bb.32:
	v_mov_b32_e32 v5, 0
	v_mov_b32_e32 v6, 0x7ff80000
	s_and_not1_b32 vcc_lo, exec_lo, s11
	s_cbranch_vccnz .LBB12_35
; %bb.33:
	v_add_f64 v[14:15], v[12:13], v[12:13]
	v_mov_b32_e32 v16, 0
	v_mov_b32_e32 v17, 0x3ff00000
	s_mov_b64 s[8:9], 2
	s_delay_alu instid0(VALU_DEP_3)
	v_dual_mov_b32 v5, v14 :: v_dual_mov_b32 v6, v15
	.p2align	6
.LBB12_34:                              ; =>This Inner Loop Header: Depth=1
	v_cvt_f64_u32_e32 v[18:19], s9
	v_cvt_f64_u32_e32 v[22:23], s8
	s_add_u32 s8, s8, 2
	s_addc_u32 s9, s9, 0
	s_delay_alu instid0(SALU_CYCLE_1) | instskip(NEXT) | instid1(VALU_DEP_1)
	v_cmp_lt_u64_e64 s13, s[8:9], s[0:1]
	s_and_b32 vcc_lo, exec_lo, s13
	s_delay_alu instid0(VALU_DEP_3) | instskip(NEXT) | instid1(VALU_DEP_1)
	v_ldexp_f64 v[18:19], v[18:19], 32
	v_add_f64 v[18:19], v[18:19], v[22:23]
	s_delay_alu instid0(VALU_DEP_1) | instskip(SKIP_1) | instid1(VALU_DEP_1)
	v_mul_f64 v[16:17], v[16:17], v[18:19]
	v_dual_mov_b32 v19, v6 :: v_dual_mov_b32 v18, v5
	v_fma_f64 v[5:6], v[14:15], v[18:19], -v[16:17]
	v_dual_mov_b32 v16, v18 :: v_dual_mov_b32 v17, v19
	s_cbranch_vccnz .LBB12_34
.LBB12_35:
	s_cbranch_execz .LBB12_37
	s_branch .LBB12_38
.LBB12_36:
.LBB12_37:
	v_add_f64 v[5:6], v[12:13], v[12:13]
.LBB12_38:
	s_or_b32 exec_lo, exec_lo, s12
	v_or_b32_e32 v12, 0x300, v0
	s_mov_b32 s8, exec_lo
	s_delay_alu instid0(VALU_DEP_1)
	v_cmpx_gt_i32_e64 s10, v12
	s_cbranch_execz .LBB12_48
; %bb.39:
	v_cmp_ne_u32_e32 vcc_lo, 1, v21
	v_mov_b32_e32 v7, 0
	v_mov_b32_e32 v8, 0
	s_cbranch_vccnz .LBB12_48
; %bb.40:
	v_cmp_lt_i64_e64 s9, s[4:5], 1
	v_mov_b32_e32 v7, 0
	v_mov_b32_e32 v8, 0x3ff00000
	s_delay_alu instid0(VALU_DEP_3)
	s_and_b32 vcc_lo, exec_lo, s9
	s_cbranch_vccnz .LBB12_48
; %bb.41:
	s_cmp_lg_u64 s[4:5], 1
	s_cbranch_scc0 .LBB12_46
; %bb.42:
	v_mov_b32_e32 v7, 0
	v_mov_b32_e32 v8, 0x7ff80000
	s_and_not1_b32 vcc_lo, exec_lo, s11
	s_cbranch_vccnz .LBB12_45
; %bb.43:
	v_add_f64 v[12:13], v[10:11], v[10:11]
	v_mov_b32_e32 v14, 0
	v_mov_b32_e32 v15, 0x3ff00000
	s_mov_b64 s[4:5], 2
	s_delay_alu instid0(VALU_DEP_3)
	v_dual_mov_b32 v7, v12 :: v_dual_mov_b32 v8, v13
	.p2align	6
.LBB12_44:                              ; =>This Inner Loop Header: Depth=1
	v_cvt_f64_u32_e32 v[16:17], s5
	v_cvt_f64_u32_e32 v[18:19], s4
	s_add_u32 s4, s4, 2
	s_addc_u32 s5, s5, 0
	s_delay_alu instid0(SALU_CYCLE_1) | instskip(NEXT) | instid1(VALU_DEP_1)
	v_cmp_lt_u64_e64 s9, s[4:5], s[0:1]
	s_and_b32 vcc_lo, exec_lo, s9
	s_delay_alu instid0(VALU_DEP_3) | instskip(NEXT) | instid1(VALU_DEP_1)
	v_ldexp_f64 v[16:17], v[16:17], 32
	v_add_f64 v[16:17], v[16:17], v[18:19]
	s_delay_alu instid0(VALU_DEP_1) | instskip(SKIP_1) | instid1(VALU_DEP_1)
	v_mul_f64 v[14:15], v[14:15], v[16:17]
	v_dual_mov_b32 v17, v8 :: v_dual_mov_b32 v16, v7
	v_fma_f64 v[7:8], v[12:13], v[16:17], -v[14:15]
	v_dual_mov_b32 v14, v16 :: v_dual_mov_b32 v15, v17
	s_cbranch_vccnz .LBB12_44
.LBB12_45:
	s_cbranch_execz .LBB12_47
	s_branch .LBB12_48
.LBB12_46:
.LBB12_47:
	v_add_f64 v[7:8], v[10:11], v[10:11]
.LBB12_48:
	s_or_b32 exec_lo, exec_lo, s8
	s_and_saveexec_b32 s0, s2
	s_delay_alu instid0(SALU_CYCLE_1)
	s_xor_b32 s0, exec_lo, s0
	s_cbranch_execnz .LBB12_53
; %bb.49:
	s_or_b32 exec_lo, exec_lo, s0
	s_delay_alu instid0(SALU_CYCLE_1)
	s_mov_b32 s0, exec_lo
	v_cmpx_gt_i32_e64 s10, v0
	s_cbranch_execnz .LBB12_54
.LBB12_50:
	s_or_b32 exec_lo, exec_lo, s0
	s_delay_alu instid0(SALU_CYCLE_1)
	s_mov_b32 s0, exec_lo
	v_cmpx_gt_i32_e64 s10, v0
	s_cbranch_execnz .LBB12_55
.LBB12_51:
	s_or_b32 exec_lo, exec_lo, s0
	s_delay_alu instid0(SALU_CYCLE_1)
	s_mov_b32 s0, exec_lo
	v_cmpx_gt_i32_e64 s10, v0
	s_cbranch_execnz .LBB12_56
.LBB12_52:
	s_nop 0
	s_sendmsg sendmsg(MSG_DEALLOC_VGPRS)
	s_endpgm
.LBB12_53:
	v_mov_b32_e32 v10, 0
	v_mov_b32_e32 v0, v20
	s_delay_alu instid0(VALU_DEP_2) | instskip(NEXT) | instid1(VALU_DEP_1)
	v_lshlrev_b64 v[9:10], 3, v[9:10]
	v_add_co_u32 v9, vcc_lo, s6, v9
	s_delay_alu instid0(VALU_DEP_2) | instskip(SKIP_2) | instid1(SALU_CYCLE_1)
	v_add_co_ci_u32_e32 v10, vcc_lo, s7, v10, vcc_lo
	global_store_b64 v[9:10], v[1:2], off
	s_or_b32 exec_lo, exec_lo, s0
	s_mov_b32 s0, exec_lo
	v_cmpx_gt_i32_e64 s10, v0
	s_cbranch_execz .LBB12_50
.LBB12_54:
	v_dual_mov_b32 v2, 0 :: v_dual_add_nc_u32 v1, s3, v0
	v_add_nc_u32_e32 v0, 0x100, v0
	s_delay_alu instid0(VALU_DEP_2) | instskip(NEXT) | instid1(VALU_DEP_1)
	v_lshlrev_b64 v[1:2], 3, v[1:2]
	v_add_co_u32 v1, vcc_lo, s6, v1
	s_delay_alu instid0(VALU_DEP_2) | instskip(SKIP_2) | instid1(SALU_CYCLE_1)
	v_add_co_ci_u32_e32 v2, vcc_lo, s7, v2, vcc_lo
	global_store_b64 v[1:2], v[3:4], off
	s_or_b32 exec_lo, exec_lo, s0
	s_mov_b32 s0, exec_lo
	v_cmpx_gt_i32_e64 s10, v0
	s_cbranch_execz .LBB12_51
.LBB12_55:
	v_dual_mov_b32 v2, 0 :: v_dual_add_nc_u32 v1, s3, v0
	v_add_nc_u32_e32 v0, 0x100, v0
	s_delay_alu instid0(VALU_DEP_2) | instskip(NEXT) | instid1(VALU_DEP_1)
	v_lshlrev_b64 v[1:2], 3, v[1:2]
	v_add_co_u32 v1, vcc_lo, s6, v1
	s_delay_alu instid0(VALU_DEP_2) | instskip(SKIP_2) | instid1(SALU_CYCLE_1)
	v_add_co_ci_u32_e32 v2, vcc_lo, s7, v2, vcc_lo
	global_store_b64 v[1:2], v[5:6], off
	s_or_b32 exec_lo, exec_lo, s0
	s_mov_b32 s0, exec_lo
	v_cmpx_gt_i32_e64 s10, v0
	s_cbranch_execz .LBB12_52
.LBB12_56:
	v_dual_mov_b32 v1, 0 :: v_dual_add_nc_u32 v0, s3, v0
	s_delay_alu instid0(VALU_DEP_1) | instskip(NEXT) | instid1(VALU_DEP_1)
	v_lshlrev_b64 v[0:1], 3, v[0:1]
	v_add_co_u32 v0, vcc_lo, s6, v0
	s_delay_alu instid0(VALU_DEP_2)
	v_add_co_ci_u32_e32 v1, vcc_lo, s7, v1, vcc_lo
	global_store_b64 v[0:1], v[7:8], off
	s_nop 0
	s_sendmsg sendmsg(MSG_DEALLOC_VGPRS)
	s_endpgm
	.section	.rodata,"a",@progbits
	.p2align	6, 0x0
	.amdhsa_kernel _ZN2at6native27unrolled_elementwise_kernelINS0_13BUnaryFunctorIdddZZZNS0_12_GLOBAL__N_132hermite_polynomial_h_kernel_cudaERNS_18TensorIteratorBaseEENKUlvE_clEvENKUlvE_clEvEUlddE_EESt5arrayIPcLm2EELi4E23TrivialOffsetCalculatorILi1EjESE_NS0_6memory15LoadWithoutCastENSF_16StoreWithoutCastEEEviT_T0_T2_T3_T4_T5_
		.amdhsa_group_segment_fixed_size 0
		.amdhsa_private_segment_fixed_size 0
		.amdhsa_kernarg_size 44
		.amdhsa_user_sgpr_count 15
		.amdhsa_user_sgpr_dispatch_ptr 0
		.amdhsa_user_sgpr_queue_ptr 0
		.amdhsa_user_sgpr_kernarg_segment_ptr 1
		.amdhsa_user_sgpr_dispatch_id 0
		.amdhsa_user_sgpr_private_segment_size 0
		.amdhsa_wavefront_size32 1
		.amdhsa_uses_dynamic_stack 0
		.amdhsa_enable_private_segment 0
		.amdhsa_system_sgpr_workgroup_id_x 1
		.amdhsa_system_sgpr_workgroup_id_y 0
		.amdhsa_system_sgpr_workgroup_id_z 0
		.amdhsa_system_sgpr_workgroup_info 0
		.amdhsa_system_vgpr_workitem_id 0
		.amdhsa_next_free_vgpr 26
		.amdhsa_next_free_sgpr 16
		.amdhsa_reserve_vcc 1
		.amdhsa_float_round_mode_32 0
		.amdhsa_float_round_mode_16_64 0
		.amdhsa_float_denorm_mode_32 3
		.amdhsa_float_denorm_mode_16_64 3
		.amdhsa_dx10_clamp 1
		.amdhsa_ieee_mode 1
		.amdhsa_fp16_overflow 0
		.amdhsa_workgroup_processor_mode 1
		.amdhsa_memory_ordered 1
		.amdhsa_forward_progress 0
		.amdhsa_shared_vgpr_count 0
		.amdhsa_exception_fp_ieee_invalid_op 0
		.amdhsa_exception_fp_denorm_src 0
		.amdhsa_exception_fp_ieee_div_zero 0
		.amdhsa_exception_fp_ieee_overflow 0
		.amdhsa_exception_fp_ieee_underflow 0
		.amdhsa_exception_fp_ieee_inexact 0
		.amdhsa_exception_int_div_zero 0
	.end_amdhsa_kernel
	.section	.text._ZN2at6native27unrolled_elementwise_kernelINS0_13BUnaryFunctorIdddZZZNS0_12_GLOBAL__N_132hermite_polynomial_h_kernel_cudaERNS_18TensorIteratorBaseEENKUlvE_clEvENKUlvE_clEvEUlddE_EESt5arrayIPcLm2EELi4E23TrivialOffsetCalculatorILi1EjESE_NS0_6memory15LoadWithoutCastENSF_16StoreWithoutCastEEEviT_T0_T2_T3_T4_T5_,"axG",@progbits,_ZN2at6native27unrolled_elementwise_kernelINS0_13BUnaryFunctorIdddZZZNS0_12_GLOBAL__N_132hermite_polynomial_h_kernel_cudaERNS_18TensorIteratorBaseEENKUlvE_clEvENKUlvE_clEvEUlddE_EESt5arrayIPcLm2EELi4E23TrivialOffsetCalculatorILi1EjESE_NS0_6memory15LoadWithoutCastENSF_16StoreWithoutCastEEEviT_T0_T2_T3_T4_T5_,comdat
.Lfunc_end12:
	.size	_ZN2at6native27unrolled_elementwise_kernelINS0_13BUnaryFunctorIdddZZZNS0_12_GLOBAL__N_132hermite_polynomial_h_kernel_cudaERNS_18TensorIteratorBaseEENKUlvE_clEvENKUlvE_clEvEUlddE_EESt5arrayIPcLm2EELi4E23TrivialOffsetCalculatorILi1EjESE_NS0_6memory15LoadWithoutCastENSF_16StoreWithoutCastEEEviT_T0_T2_T3_T4_T5_, .Lfunc_end12-_ZN2at6native27unrolled_elementwise_kernelINS0_13BUnaryFunctorIdddZZZNS0_12_GLOBAL__N_132hermite_polynomial_h_kernel_cudaERNS_18TensorIteratorBaseEENKUlvE_clEvENKUlvE_clEvEUlddE_EESt5arrayIPcLm2EELi4E23TrivialOffsetCalculatorILi1EjESE_NS0_6memory15LoadWithoutCastENSF_16StoreWithoutCastEEEviT_T0_T2_T3_T4_T5_
                                        ; -- End function
	.section	.AMDGPU.csdata,"",@progbits
; Kernel info:
; codeLenInByte = 1880
; NumSgprs: 18
; NumVgprs: 26
; ScratchSize: 0
; MemoryBound: 0
; FloatMode: 240
; IeeeMode: 1
; LDSByteSize: 0 bytes/workgroup (compile time only)
; SGPRBlocks: 2
; VGPRBlocks: 3
; NumSGPRsForWavesPerEU: 18
; NumVGPRsForWavesPerEU: 26
; Occupancy: 16
; WaveLimiterHint : 0
; COMPUTE_PGM_RSRC2:SCRATCH_EN: 0
; COMPUTE_PGM_RSRC2:USER_SGPR: 15
; COMPUTE_PGM_RSRC2:TRAP_HANDLER: 0
; COMPUTE_PGM_RSRC2:TGID_X_EN: 1
; COMPUTE_PGM_RSRC2:TGID_Y_EN: 0
; COMPUTE_PGM_RSRC2:TGID_Z_EN: 0
; COMPUTE_PGM_RSRC2:TIDIG_COMP_CNT: 0
	.section	.text._ZN2at6native32elementwise_kernel_manual_unrollILi128ELi4EZNS0_22gpu_kernel_impl_nocastINS0_13BUnaryFunctorIdddZZZNS0_12_GLOBAL__N_132hermite_polynomial_h_kernel_cudaERNS_18TensorIteratorBaseEENKUlvE_clEvENKUlvE_clEvEUlddE_EEEEvS6_RKT_EUlibE_EEviT1_,"axG",@progbits,_ZN2at6native32elementwise_kernel_manual_unrollILi128ELi4EZNS0_22gpu_kernel_impl_nocastINS0_13BUnaryFunctorIdddZZZNS0_12_GLOBAL__N_132hermite_polynomial_h_kernel_cudaERNS_18TensorIteratorBaseEENKUlvE_clEvENKUlvE_clEvEUlddE_EEEEvS6_RKT_EUlibE_EEviT1_,comdat
	.globl	_ZN2at6native32elementwise_kernel_manual_unrollILi128ELi4EZNS0_22gpu_kernel_impl_nocastINS0_13BUnaryFunctorIdddZZZNS0_12_GLOBAL__N_132hermite_polynomial_h_kernel_cudaERNS_18TensorIteratorBaseEENKUlvE_clEvENKUlvE_clEvEUlddE_EEEEvS6_RKT_EUlibE_EEviT1_ ; -- Begin function _ZN2at6native32elementwise_kernel_manual_unrollILi128ELi4EZNS0_22gpu_kernel_impl_nocastINS0_13BUnaryFunctorIdddZZZNS0_12_GLOBAL__N_132hermite_polynomial_h_kernel_cudaERNS_18TensorIteratorBaseEENKUlvE_clEvENKUlvE_clEvEUlddE_EEEEvS6_RKT_EUlibE_EEviT1_
	.p2align	8
	.type	_ZN2at6native32elementwise_kernel_manual_unrollILi128ELi4EZNS0_22gpu_kernel_impl_nocastINS0_13BUnaryFunctorIdddZZZNS0_12_GLOBAL__N_132hermite_polynomial_h_kernel_cudaERNS_18TensorIteratorBaseEENKUlvE_clEvENKUlvE_clEvEUlddE_EEEEvS6_RKT_EUlibE_EEviT1_,@function
_ZN2at6native32elementwise_kernel_manual_unrollILi128ELi4EZNS0_22gpu_kernel_impl_nocastINS0_13BUnaryFunctorIdddZZZNS0_12_GLOBAL__N_132hermite_polynomial_h_kernel_cudaERNS_18TensorIteratorBaseEENKUlvE_clEvENKUlvE_clEvEUlddE_EEEEvS6_RKT_EUlibE_EEviT1_: ; @_ZN2at6native32elementwise_kernel_manual_unrollILi128ELi4EZNS0_22gpu_kernel_impl_nocastINS0_13BUnaryFunctorIdddZZZNS0_12_GLOBAL__N_132hermite_polynomial_h_kernel_cudaERNS_18TensorIteratorBaseEENKUlvE_clEvENKUlvE_clEvEUlddE_EEEEvS6_RKT_EUlibE_EEviT1_
; %bb.0:
	s_clause 0x1
	s_load_b32 s26, s[0:1], 0x8
	s_load_b32 s34, s[0:1], 0x0
	v_lshl_or_b32 v10, s15, 9, v0
	s_or_b32 s0, s0, 8
	s_mov_b32 s2, exec_lo
	s_delay_alu instid0(VALU_DEP_1) | instskip(SKIP_2) | instid1(SALU_CYCLE_1)
	v_or_b32_e32 v8, 0x180, v10
	s_waitcnt lgkmcnt(0)
	s_add_i32 s27, s26, -1
	s_cmp_gt_u32 s27, 1
	s_cselect_b32 s28, -1, 0
	v_cmpx_le_i32_e64 s34, v8
	s_xor_b32 s29, exec_lo, s2
	s_cbranch_execz .LBB13_7
; %bb.1:
	s_clause 0x4
	s_load_b64 s[2:3], s[0:1], 0x160
	s_load_b128 s[12:15], s[0:1], 0x4
	s_load_b64 s[18:19], s[0:1], 0x14
	s_load_b128 s[8:11], s[0:1], 0xc4
	s_load_b128 s[4:7], s[0:1], 0x148
	s_cmp_lg_u32 s26, 0
	s_mov_b32 s37, exec_lo
	s_cselect_b32 s36, -1, 0
	s_add_u32 s20, s0, 0xc4
	s_addc_u32 s21, s1, 0
	s_min_u32 s35, s27, 15
	s_cmp_gt_u32 s26, 1
	s_cselect_b32 s33, -1, 0
	s_waitcnt lgkmcnt(0)
	v_trunc_f64_e32 v[0:1], s[2:3]
	v_cmp_class_f64_e64 s2, s[2:3], 0x1f8
	s_delay_alu instid0(VALU_DEP_2) | instskip(NEXT) | instid1(VALU_DEP_2)
	v_ldexp_f64 v[2:3], v[0:1], 0xffffffe0
	s_and_b32 s2, s2, exec_lo
	s_delay_alu instid0(VALU_DEP_1) | instskip(NEXT) | instid1(VALU_DEP_1)
	v_floor_f64_e32 v[2:3], v[2:3]
	v_fma_f64 v[0:1], 0xc1f00000, v[2:3], v[0:1]
	v_cvt_i32_f64_e32 v2, v[2:3]
	s_delay_alu instid0(VALU_DEP_2) | instskip(NEXT) | instid1(VALU_DEP_2)
	v_cvt_u32_f64_e32 v0, v[0:1]
	v_readfirstlane_b32 s3, v2
	s_delay_alu instid0(VALU_DEP_1) | instskip(NEXT) | instid1(VALU_DEP_2)
	s_cselect_b32 s17, s3, -1
	v_readfirstlane_b32 s16, v0
	s_delay_alu instid0(VALU_DEP_1) | instskip(NEXT) | instid1(SALU_CYCLE_1)
	s_cselect_b32 s16, s16, -1
	v_cmp_gt_i64_e64 s31, s[16:17], -1
	v_cmp_gt_u64_e64 s30, 0x201, s[16:17]
	s_lshl_b64 s[2:3], s[16:17], 1
	v_cmpx_gt_i32_e64 s34, v10
	s_cbranch_execz .LBB13_14
; %bb.2:
	s_and_not1_b32 vcc_lo, exec_lo, s28
	s_cbranch_vccnz .LBB13_21
; %bb.3:
	v_dual_mov_b32 v0, 0 :: v_dual_mov_b32 v1, 0
	s_and_not1_b32 vcc_lo, exec_lo, s36
	s_mov_b32 s38, 0
	s_cbranch_vccnz .LBB13_109
; %bb.4:
	v_mov_b32_e32 v0, 0
	s_add_i32 s40, s35, 1
	s_cmp_eq_u32 s27, 2
	s_mov_b32 s39, 0
	s_cbranch_scc1 .LBB13_105
; %bb.5:
	v_dual_mov_b32 v1, 0 :: v_dual_mov_b32 v0, 0
	v_mov_b32_e32 v2, v10
	s_and_b32 s39, s40, 28
	s_mov_b32 s41, 0
	s_mov_b64 s[22:23], s[20:21]
	s_mov_b64 s[24:25], s[0:1]
.LBB13_6:                               ; =>This Inner Loop Header: Depth=1
	s_clause 0x1
	s_load_b256 s[44:51], s[24:25], 0x4
	s_load_b128 s[60:63], s[24:25], 0x24
	s_load_b256 s[52:59], s[22:23], 0x0
	s_add_u32 s24, s24, 48
	s_addc_u32 s25, s25, 0
	s_add_i32 s41, s41, 4
	s_add_u32 s22, s22, 32
	s_addc_u32 s23, s23, 0
	s_cmp_lg_u32 s39, s41
	s_waitcnt lgkmcnt(0)
	v_mul_hi_u32 v3, s45, v2
	s_delay_alu instid0(VALU_DEP_1) | instskip(NEXT) | instid1(VALU_DEP_1)
	v_add_nc_u32_e32 v3, v2, v3
	v_lshrrev_b32_e32 v3, s46, v3
	s_delay_alu instid0(VALU_DEP_1) | instskip(SKIP_1) | instid1(VALU_DEP_2)
	v_mul_hi_u32 v4, s48, v3
	v_mul_lo_u32 v6, v3, s44
	v_add_nc_u32_e32 v4, v3, v4
	s_delay_alu instid0(VALU_DEP_2) | instskip(NEXT) | instid1(VALU_DEP_2)
	v_sub_nc_u32_e32 v2, v2, v6
	v_lshrrev_b32_e32 v4, s49, v4
	s_delay_alu instid0(VALU_DEP_2) | instskip(SKIP_1) | instid1(VALU_DEP_3)
	v_mul_lo_u32 v6, v2, s52
	v_mul_lo_u32 v8, v2, s53
	v_mul_hi_u32 v5, s51, v4
	s_delay_alu instid0(VALU_DEP_1) | instskip(NEXT) | instid1(VALU_DEP_1)
	v_add_nc_u32_e32 v5, v4, v5
	v_lshrrev_b32_e32 v5, s60, v5
	s_delay_alu instid0(VALU_DEP_1) | instskip(SKIP_1) | instid1(VALU_DEP_2)
	v_mul_hi_u32 v7, s62, v5
	v_mul_lo_u32 v9, v5, s50
	v_add_nc_u32_e32 v2, v5, v7
	v_mul_lo_u32 v7, v4, s47
	s_delay_alu instid0(VALU_DEP_3) | instskip(NEXT) | instid1(VALU_DEP_3)
	v_sub_nc_u32_e32 v4, v4, v9
	v_lshrrev_b32_e32 v2, s63, v2
	s_delay_alu instid0(VALU_DEP_2) | instskip(SKIP_2) | instid1(VALU_DEP_4)
	v_mul_lo_u32 v9, v4, s56
	v_mul_lo_u32 v4, v4, s57
	v_sub_nc_u32_e32 v3, v3, v7
	v_mul_lo_u32 v11, v2, s61
	s_delay_alu instid0(VALU_DEP_2) | instskip(SKIP_1) | instid1(VALU_DEP_3)
	v_mul_lo_u32 v7, v3, s54
	v_mul_lo_u32 v3, v3, s55
	v_sub_nc_u32_e32 v5, v5, v11
	s_delay_alu instid0(VALU_DEP_3) | instskip(NEXT) | instid1(VALU_DEP_2)
	v_add3_u32 v0, v6, v0, v7
	v_mul_lo_u32 v11, v5, s58
	v_mul_lo_u32 v5, v5, s59
	v_add3_u32 v1, v8, v1, v3
	s_delay_alu instid0(VALU_DEP_3) | instskip(NEXT) | instid1(VALU_DEP_2)
	v_add3_u32 v0, v9, v0, v11
	v_add3_u32 v1, v4, v1, v5
	s_cbranch_scc1 .LBB13_6
	s_branch .LBB13_106
.LBB13_7:
	s_and_not1_saveexec_b32 s2, s29
	s_cbranch_execz .LBB13_164
.LBB13_8:
	v_cndmask_b32_e64 v6, 0, 1, s28
	s_and_not1_b32 vcc_lo, exec_lo, s28
	s_cbranch_vccnz .LBB13_20
; %bb.9:
	v_mov_b32_e32 v0, 0
	v_mov_b32_e32 v2, 0
	s_cmp_lg_u32 s26, 0
	s_mov_b32 s6, 0
	s_cbranch_scc0 .LBB13_26
; %bb.10:
	s_min_u32 s7, s27, 15
	v_mov_b32_e32 v0, 0
	s_add_i32 s7, s7, 1
	s_cmp_eq_u32 s27, 2
	s_mov_b32 s8, 0
	s_cbranch_scc1 .LBB13_23
; %bb.11:
	v_dual_mov_b32 v2, 0 :: v_dual_mov_b32 v1, v10
	v_mov_b32_e32 v0, 0
	s_add_u32 s2, s0, 0xc4
	s_addc_u32 s3, s1, 0
	s_and_b32 s8, s7, 28
	s_mov_b32 s9, 0
	s_mov_b64 s[4:5], s[0:1]
.LBB13_12:                              ; =>This Inner Loop Header: Depth=1
	s_clause 0x1
	s_load_b256 s[12:19], s[4:5], 0x4
	s_load_b128 s[20:23], s[4:5], 0x24
	s_load_b256 s[36:43], s[2:3], 0x0
	s_add_u32 s4, s4, 48
	s_addc_u32 s5, s5, 0
	s_add_i32 s9, s9, 4
	s_add_u32 s2, s2, 32
	s_addc_u32 s3, s3, 0
	s_cmp_lg_u32 s8, s9
	s_waitcnt lgkmcnt(0)
	v_mul_hi_u32 v3, s13, v1
	s_delay_alu instid0(VALU_DEP_1) | instskip(NEXT) | instid1(VALU_DEP_1)
	v_add_nc_u32_e32 v3, v1, v3
	v_lshrrev_b32_e32 v3, s14, v3
	s_waitcnt vmcnt(0)
	s_delay_alu instid0(VALU_DEP_1) | instskip(SKIP_1) | instid1(VALU_DEP_2)
	v_mul_hi_u32 v4, s16, v3
	v_mul_lo_u32 v7, v3, s12
	v_add_nc_u32_e32 v4, v3, v4
	s_delay_alu instid0(VALU_DEP_2) | instskip(NEXT) | instid1(VALU_DEP_2)
	v_sub_nc_u32_e32 v1, v1, v7
	v_lshrrev_b32_e32 v4, s17, v4
	s_delay_alu instid0(VALU_DEP_2) | instskip(SKIP_1) | instid1(VALU_DEP_3)
	v_mul_lo_u32 v7, v1, s36
	v_mul_lo_u32 v11, v1, s37
	v_mul_hi_u32 v5, s19, v4
	s_delay_alu instid0(VALU_DEP_1) | instskip(NEXT) | instid1(VALU_DEP_1)
	v_add_nc_u32_e32 v5, v4, v5
	v_lshrrev_b32_e32 v5, s20, v5
	s_delay_alu instid0(VALU_DEP_1) | instskip(SKIP_1) | instid1(VALU_DEP_2)
	v_mul_hi_u32 v9, s22, v5
	v_mul_lo_u32 v12, v5, s18
	v_add_nc_u32_e32 v1, v5, v9
	v_mul_lo_u32 v9, v4, s15
	s_delay_alu instid0(VALU_DEP_3) | instskip(NEXT) | instid1(VALU_DEP_3)
	v_sub_nc_u32_e32 v4, v4, v12
	v_lshrrev_b32_e32 v1, s23, v1
	s_delay_alu instid0(VALU_DEP_2) | instskip(SKIP_2) | instid1(VALU_DEP_4)
	v_mul_lo_u32 v12, v4, s40
	v_mul_lo_u32 v4, v4, s41
	v_sub_nc_u32_e32 v3, v3, v9
	v_mul_lo_u32 v13, v1, s21
	s_delay_alu instid0(VALU_DEP_2) | instskip(SKIP_1) | instid1(VALU_DEP_3)
	v_mul_lo_u32 v9, v3, s38
	v_mul_lo_u32 v3, v3, s39
	v_sub_nc_u32_e32 v5, v5, v13
	s_delay_alu instid0(VALU_DEP_3) | instskip(NEXT) | instid1(VALU_DEP_2)
	v_add3_u32 v0, v7, v0, v9
	v_mul_lo_u32 v13, v5, s42
	v_mul_lo_u32 v5, v5, s43
	v_add3_u32 v2, v11, v2, v3
	s_delay_alu instid0(VALU_DEP_3) | instskip(NEXT) | instid1(VALU_DEP_2)
	v_add3_u32 v0, v12, v0, v13
	v_add3_u32 v2, v4, v2, v5
	s_cbranch_scc1 .LBB13_12
; %bb.13:
	s_and_b32 s7, s7, 3
	s_delay_alu instid0(SALU_CYCLE_1)
	s_cmp_eq_u32 s7, 0
	s_cbranch_scc0 .LBB13_24
	s_branch .LBB13_26
.LBB13_14:
	s_or_b32 exec_lo, exec_lo, s37
	s_delay_alu instid0(SALU_CYCLE_1)
	s_mov_b32 s37, exec_lo
	v_cmpx_gt_i32_e64 s34, v10
	s_cbranch_execz .LBB13_137
.LBB13_15:
	s_and_not1_b32 vcc_lo, exec_lo, s28
	s_cbranch_vccnz .LBB13_22
; %bb.16:
	v_dual_mov_b32 v0, 0 :: v_dual_mov_b32 v1, 0
	s_and_not1_b32 vcc_lo, exec_lo, s36
	s_mov_b32 s38, 0
	s_cbranch_vccnz .LBB13_123
; %bb.17:
	v_mov_b32_e32 v0, 0
	s_add_i32 s40, s35, 1
	s_cmp_eq_u32 s27, 2
	s_mov_b32 s39, 0
	s_cbranch_scc1 .LBB13_119
; %bb.18:
	v_dual_mov_b32 v1, 0 :: v_dual_mov_b32 v0, 0
	v_mov_b32_e32 v2, v10
	s_and_b32 s39, s40, 28
	s_mov_b32 s41, 0
	s_mov_b64 s[22:23], s[20:21]
	s_mov_b64 s[24:25], s[0:1]
.LBB13_19:                              ; =>This Inner Loop Header: Depth=1
	s_clause 0x1
	s_load_b256 s[44:51], s[24:25], 0x4
	s_load_b128 s[60:63], s[24:25], 0x24
	s_load_b256 s[52:59], s[22:23], 0x0
	s_add_u32 s24, s24, 48
	s_addc_u32 s25, s25, 0
	s_add_i32 s41, s41, 4
	s_add_u32 s22, s22, 32
	s_addc_u32 s23, s23, 0
	s_cmp_eq_u32 s39, s41
	s_waitcnt lgkmcnt(0)
	v_mul_hi_u32 v3, s45, v2
	s_delay_alu instid0(VALU_DEP_1) | instskip(NEXT) | instid1(VALU_DEP_1)
	v_add_nc_u32_e32 v3, v2, v3
	v_lshrrev_b32_e32 v3, s46, v3
	s_waitcnt vmcnt(0)
	s_delay_alu instid0(VALU_DEP_1) | instskip(SKIP_1) | instid1(VALU_DEP_2)
	v_mul_hi_u32 v4, s48, v3
	v_mul_lo_u32 v6, v3, s44
	v_add_nc_u32_e32 v4, v3, v4
	s_delay_alu instid0(VALU_DEP_2) | instskip(NEXT) | instid1(VALU_DEP_2)
	v_sub_nc_u32_e32 v2, v2, v6
	v_lshrrev_b32_e32 v4, s49, v4
	s_delay_alu instid0(VALU_DEP_2) | instskip(SKIP_1) | instid1(VALU_DEP_3)
	v_mul_lo_u32 v6, v2, s52
	v_mul_lo_u32 v8, v2, s53
	v_mul_hi_u32 v5, s51, v4
	s_delay_alu instid0(VALU_DEP_1) | instskip(NEXT) | instid1(VALU_DEP_1)
	v_add_nc_u32_e32 v5, v4, v5
	v_lshrrev_b32_e32 v5, s60, v5
	s_delay_alu instid0(VALU_DEP_1) | instskip(SKIP_1) | instid1(VALU_DEP_2)
	v_mul_hi_u32 v7, s62, v5
	v_mul_lo_u32 v9, v5, s50
	v_add_nc_u32_e32 v2, v5, v7
	v_mul_lo_u32 v7, v4, s47
	s_delay_alu instid0(VALU_DEP_3) | instskip(NEXT) | instid1(VALU_DEP_3)
	v_sub_nc_u32_e32 v4, v4, v9
	v_lshrrev_b32_e32 v2, s63, v2
	s_delay_alu instid0(VALU_DEP_2) | instskip(SKIP_2) | instid1(VALU_DEP_4)
	v_mul_lo_u32 v9, v4, s56
	v_mul_lo_u32 v4, v4, s57
	v_sub_nc_u32_e32 v3, v3, v7
	v_mul_lo_u32 v11, v2, s61
	s_delay_alu instid0(VALU_DEP_2) | instskip(SKIP_1) | instid1(VALU_DEP_3)
	v_mul_lo_u32 v7, v3, s54
	v_mul_lo_u32 v3, v3, s55
	v_sub_nc_u32_e32 v5, v5, v11
	s_delay_alu instid0(VALU_DEP_3) | instskip(NEXT) | instid1(VALU_DEP_2)
	v_add3_u32 v0, v6, v0, v7
	v_mul_lo_u32 v11, v5, s58
	v_mul_lo_u32 v5, v5, s59
	v_add3_u32 v1, v8, v1, v3
	s_delay_alu instid0(VALU_DEP_3) | instskip(NEXT) | instid1(VALU_DEP_2)
	v_add3_u32 v0, v9, v0, v11
	v_add3_u32 v1, v4, v1, v5
	s_cbranch_scc0 .LBB13_19
	s_branch .LBB13_120
.LBB13_20:
	s_mov_b32 s6, -1
                                        ; implicit-def: $vgpr0
                                        ; implicit-def: $vgpr2
	s_branch .LBB13_26
.LBB13_21:
	s_mov_b32 s38, -1
                                        ; implicit-def: $vgpr0
                                        ; implicit-def: $vgpr1
	s_branch .LBB13_109
.LBB13_22:
	s_mov_b32 s38, -1
                                        ; implicit-def: $vgpr0
                                        ; implicit-def: $vgpr1
	s_branch .LBB13_123
.LBB13_23:
	v_dual_mov_b32 v1, v10 :: v_dual_mov_b32 v2, 0
	s_and_b32 s7, s7, 3
	s_delay_alu instid0(SALU_CYCLE_1)
	s_cmp_eq_u32 s7, 0
	s_cbranch_scc1 .LBB13_26
.LBB13_24:
	s_lshl_b32 s2, s8, 3
	s_mul_i32 s4, s8, 12
	s_add_u32 s2, s2, s0
	s_addc_u32 s3, 0, s1
	s_add_u32 s2, s2, 0xc4
	s_addc_u32 s3, s3, 0
	;; [unrolled: 2-line block ×3, first 2 shown]
	.p2align	6
.LBB13_25:                              ; =>This Inner Loop Header: Depth=1
	s_clause 0x1
	s_load_b64 s[8:9], s[4:5], 0x4
	s_load_b32 s12, s[4:5], 0xc
	s_load_b64 s[10:11], s[2:3], 0x0
	s_add_u32 s4, s4, 12
	s_addc_u32 s5, s5, 0
	s_add_u32 s2, s2, 8
	s_addc_u32 s3, s3, 0
	s_add_i32 s7, s7, -1
	s_delay_alu instid0(SALU_CYCLE_1) | instskip(SKIP_2) | instid1(VALU_DEP_1)
	s_cmp_lg_u32 s7, 0
	s_waitcnt lgkmcnt(0)
	v_mul_hi_u32 v3, s9, v1
	v_add_nc_u32_e32 v3, v1, v3
	s_delay_alu instid0(VALU_DEP_1) | instskip(NEXT) | instid1(VALU_DEP_1)
	v_lshrrev_b32_e32 v7, s12, v3
	v_mul_lo_u32 v3, v7, s8
	s_delay_alu instid0(VALU_DEP_1) | instskip(SKIP_1) | instid1(VALU_DEP_1)
	v_sub_nc_u32_e32 v1, v1, v3
	s_waitcnt vmcnt(0)
	v_mad_u64_u32 v[3:4], null, v1, s10, v[0:1]
	s_delay_alu instid0(VALU_DEP_1) | instskip(SKIP_2) | instid1(VALU_DEP_3)
	v_mad_u64_u32 v[4:5], null, v1, s11, v[2:3]
	v_mov_b32_e32 v1, v7
	v_mov_b32_e32 v0, v3
	;; [unrolled: 1-line block ×3, first 2 shown]
	s_cbranch_scc1 .LBB13_25
.LBB13_26:
	s_and_not1_b32 vcc_lo, exec_lo, s6
	s_cbranch_vccnz .LBB13_29
; %bb.27:
	s_clause 0x1
	s_load_b128 s[4:7], s[0:1], 0x4
	s_load_b64 s[2:3], s[0:1], 0xc4
	s_cmp_lt_u32 s26, 2
	s_waitcnt lgkmcnt(0)
	v_mul_hi_u32 v0, s5, v10
	s_delay_alu instid0(VALU_DEP_1) | instskip(NEXT) | instid1(VALU_DEP_1)
	v_add_nc_u32_e32 v0, v10, v0
	v_lshrrev_b32_e32 v1, s6, v0
	s_delay_alu instid0(VALU_DEP_1) | instskip(NEXT) | instid1(VALU_DEP_1)
	v_mul_lo_u32 v0, v1, s4
	v_sub_nc_u32_e32 v2, v10, v0
	s_delay_alu instid0(VALU_DEP_1)
	v_mul_lo_u32 v0, v2, s2
	v_mul_lo_u32 v2, v2, s3
	s_cbranch_scc1 .LBB13_29
; %bb.28:
	s_clause 0x1
	s_load_b128 s[4:7], s[0:1], 0x10
	s_load_b64 s[2:3], s[0:1], 0xcc
	s_waitcnt lgkmcnt(0)
	v_mul_hi_u32 v3, s5, v1
	s_delay_alu instid0(VALU_DEP_1) | instskip(NEXT) | instid1(VALU_DEP_1)
	v_add_nc_u32_e32 v3, v1, v3
	v_lshrrev_b32_e32 v3, s6, v3
	s_delay_alu instid0(VALU_DEP_1) | instskip(NEXT) | instid1(VALU_DEP_1)
	v_mul_lo_u32 v3, v3, s4
	v_sub_nc_u32_e32 v1, v1, v3
	s_waitcnt vmcnt(0)
	s_delay_alu instid0(VALU_DEP_1) | instskip(NEXT) | instid1(VALU_DEP_1)
	v_mad_u64_u32 v[3:4], null, v1, s2, v[0:1]
	v_mad_u64_u32 v[4:5], null, v1, s3, v[2:3]
	v_mov_b32_e32 v0, v3
	s_delay_alu instid0(VALU_DEP_2)
	v_mov_b32_e32 v2, v4
.LBB13_29:
	v_cmp_ne_u32_e32 vcc_lo, 1, v6
	s_waitcnt vmcnt(0)
	v_add_nc_u32_e32 v4, 0x80, v10
	s_cbranch_vccnz .LBB13_35
; %bb.30:
	v_mov_b32_e32 v1, 0
	v_mov_b32_e32 v3, 0
	s_cmp_lg_u32 s26, 0
	s_mov_b32 s6, 0
	s_cbranch_scc0 .LBB13_39
; %bb.31:
	s_min_u32 s7, s27, 15
	v_mov_b32_e32 v1, 0
	s_add_i32 s7, s7, 1
	s_cmp_eq_u32 s27, 2
	s_mov_b32 s8, 0
	s_cbranch_scc1 .LBB13_36
; %bb.32:
	v_mov_b32_e32 v3, 0
	v_mov_b32_e32 v1, 0
	;; [unrolled: 1-line block ×3, first 2 shown]
	s_add_u32 s2, s0, 0xc4
	s_addc_u32 s3, s1, 0
	s_and_b32 s8, s7, 28
	s_mov_b32 s9, 0
	s_mov_b64 s[4:5], s[0:1]
.LBB13_33:                              ; =>This Inner Loop Header: Depth=1
	s_clause 0x1
	s_load_b256 s[12:19], s[4:5], 0x4
	s_load_b128 s[20:23], s[4:5], 0x24
	s_load_b256 s[36:43], s[2:3], 0x0
	s_add_u32 s4, s4, 48
	s_addc_u32 s5, s5, 0
	s_add_i32 s9, s9, 4
	s_add_u32 s2, s2, 32
	s_addc_u32 s3, s3, 0
	s_cmp_lg_u32 s8, s9
	s_waitcnt lgkmcnt(0)
	v_mul_hi_u32 v7, s13, v5
	s_delay_alu instid0(VALU_DEP_1) | instskip(NEXT) | instid1(VALU_DEP_1)
	v_add_nc_u32_e32 v7, v5, v7
	v_lshrrev_b32_e32 v7, s14, v7
	s_delay_alu instid0(VALU_DEP_1) | instskip(SKIP_1) | instid1(VALU_DEP_2)
	v_mul_hi_u32 v9, s16, v7
	v_mul_lo_u32 v12, v7, s12
	v_add_nc_u32_e32 v9, v7, v9
	s_delay_alu instid0(VALU_DEP_2) | instskip(NEXT) | instid1(VALU_DEP_2)
	v_sub_nc_u32_e32 v5, v5, v12
	v_lshrrev_b32_e32 v9, s17, v9
	s_delay_alu instid0(VALU_DEP_2) | instskip(SKIP_1) | instid1(VALU_DEP_3)
	v_mul_lo_u32 v12, v5, s36
	v_mul_lo_u32 v14, v5, s37
	v_mul_hi_u32 v11, s19, v9
	s_delay_alu instid0(VALU_DEP_1) | instskip(NEXT) | instid1(VALU_DEP_1)
	v_add_nc_u32_e32 v11, v9, v11
	v_lshrrev_b32_e32 v11, s20, v11
	s_delay_alu instid0(VALU_DEP_1) | instskip(SKIP_1) | instid1(VALU_DEP_2)
	v_mul_hi_u32 v13, s22, v11
	v_mul_lo_u32 v15, v11, s18
	v_add_nc_u32_e32 v5, v11, v13
	v_mul_lo_u32 v13, v9, s15
	s_delay_alu instid0(VALU_DEP_3) | instskip(NEXT) | instid1(VALU_DEP_3)
	v_sub_nc_u32_e32 v9, v9, v15
	v_lshrrev_b32_e32 v5, s23, v5
	s_delay_alu instid0(VALU_DEP_2) | instskip(SKIP_2) | instid1(VALU_DEP_4)
	v_mul_lo_u32 v15, v9, s40
	v_mul_lo_u32 v9, v9, s41
	v_sub_nc_u32_e32 v7, v7, v13
	v_mul_lo_u32 v16, v5, s21
	s_delay_alu instid0(VALU_DEP_2) | instskip(SKIP_1) | instid1(VALU_DEP_3)
	v_mul_lo_u32 v13, v7, s38
	v_mul_lo_u32 v7, v7, s39
	v_sub_nc_u32_e32 v11, v11, v16
	s_delay_alu instid0(VALU_DEP_3) | instskip(NEXT) | instid1(VALU_DEP_2)
	v_add3_u32 v1, v12, v1, v13
	v_mul_lo_u32 v16, v11, s42
	v_mul_lo_u32 v11, v11, s43
	v_add3_u32 v3, v14, v3, v7
	s_delay_alu instid0(VALU_DEP_3) | instskip(NEXT) | instid1(VALU_DEP_2)
	v_add3_u32 v1, v15, v1, v16
	v_add3_u32 v3, v9, v3, v11
	s_cbranch_scc1 .LBB13_33
; %bb.34:
	s_and_b32 s7, s7, 3
	s_delay_alu instid0(SALU_CYCLE_1)
	s_cmp_eq_u32 s7, 0
	s_cbranch_scc0 .LBB13_37
	s_branch .LBB13_39
.LBB13_35:
	s_mov_b32 s6, -1
                                        ; implicit-def: $vgpr1
                                        ; implicit-def: $vgpr3
	s_branch .LBB13_39
.LBB13_36:
	v_mov_b32_e32 v5, v4
	v_mov_b32_e32 v3, 0
	s_and_b32 s7, s7, 3
	s_delay_alu instid0(SALU_CYCLE_1)
	s_cmp_eq_u32 s7, 0
	s_cbranch_scc1 .LBB13_39
.LBB13_37:
	s_lshl_b32 s2, s8, 3
	s_mul_i32 s4, s8, 12
	s_add_u32 s2, s2, s0
	s_addc_u32 s3, 0, s1
	s_add_u32 s2, s2, 0xc4
	s_addc_u32 s3, s3, 0
	;; [unrolled: 2-line block ×3, first 2 shown]
	.p2align	6
.LBB13_38:                              ; =>This Inner Loop Header: Depth=1
	s_clause 0x1
	s_load_b64 s[8:9], s[4:5], 0x4
	s_load_b32 s12, s[4:5], 0xc
	s_load_b64 s[10:11], s[2:3], 0x0
	s_add_u32 s4, s4, 12
	s_addc_u32 s5, s5, 0
	s_add_u32 s2, s2, 8
	s_addc_u32 s3, s3, 0
	s_add_i32 s7, s7, -1
	s_delay_alu instid0(SALU_CYCLE_1) | instskip(SKIP_2) | instid1(VALU_DEP_1)
	s_cmp_lg_u32 s7, 0
	s_waitcnt lgkmcnt(0)
	v_mul_hi_u32 v7, s9, v5
	v_add_nc_u32_e32 v7, v5, v7
	s_delay_alu instid0(VALU_DEP_1) | instskip(NEXT) | instid1(VALU_DEP_1)
	v_lshrrev_b32_e32 v7, s12, v7
	v_mul_lo_u32 v9, v7, s8
	s_delay_alu instid0(VALU_DEP_1) | instskip(NEXT) | instid1(VALU_DEP_1)
	v_sub_nc_u32_e32 v5, v5, v9
	v_mad_u64_u32 v[11:12], null, v5, s10, v[1:2]
	v_mad_u64_u32 v[12:13], null, v5, s11, v[3:4]
	v_mov_b32_e32 v5, v7
	s_delay_alu instid0(VALU_DEP_3) | instskip(NEXT) | instid1(VALU_DEP_3)
	v_mov_b32_e32 v1, v11
	v_mov_b32_e32 v3, v12
	s_cbranch_scc1 .LBB13_38
.LBB13_39:
	s_and_not1_b32 vcc_lo, exec_lo, s6
	s_cbranch_vccnz .LBB13_42
; %bb.40:
	s_clause 0x1
	s_load_b128 s[4:7], s[0:1], 0x4
	s_load_b64 s[2:3], s[0:1], 0xc4
	s_cmp_lt_u32 s26, 2
	s_waitcnt lgkmcnt(0)
	v_mul_hi_u32 v1, s5, v4
	s_delay_alu instid0(VALU_DEP_1) | instskip(NEXT) | instid1(VALU_DEP_1)
	v_add_nc_u32_e32 v1, v4, v1
	v_lshrrev_b32_e32 v5, s6, v1
	s_delay_alu instid0(VALU_DEP_1) | instskip(NEXT) | instid1(VALU_DEP_1)
	v_mul_lo_u32 v1, v5, s4
	v_sub_nc_u32_e32 v3, v4, v1
	s_delay_alu instid0(VALU_DEP_1)
	v_mul_lo_u32 v1, v3, s2
	v_mul_lo_u32 v3, v3, s3
	s_cbranch_scc1 .LBB13_42
; %bb.41:
	s_clause 0x1
	s_load_b128 s[4:7], s[0:1], 0x10
	s_load_b64 s[2:3], s[0:1], 0xcc
	s_waitcnt lgkmcnt(0)
	v_mul_hi_u32 v4, s5, v5
	s_delay_alu instid0(VALU_DEP_1) | instskip(NEXT) | instid1(VALU_DEP_1)
	v_add_nc_u32_e32 v4, v5, v4
	v_lshrrev_b32_e32 v4, s6, v4
	s_delay_alu instid0(VALU_DEP_1) | instskip(NEXT) | instid1(VALU_DEP_1)
	v_mul_lo_u32 v4, v4, s4
	v_sub_nc_u32_e32 v7, v5, v4
	s_delay_alu instid0(VALU_DEP_1) | instskip(NEXT) | instid1(VALU_DEP_1)
	v_mad_u64_u32 v[4:5], null, v7, s2, v[1:2]
	v_mad_u64_u32 v[11:12], null, v7, s3, v[3:4]
	v_mov_b32_e32 v1, v4
	s_delay_alu instid0(VALU_DEP_2)
	v_mov_b32_e32 v3, v11
.LBB13_42:
	v_cmp_ne_u32_e32 vcc_lo, 1, v6
	v_add_nc_u32_e32 v7, 0x100, v10
	s_cbranch_vccnz .LBB13_48
; %bb.43:
	v_dual_mov_b32 v4, 0 :: v_dual_mov_b32 v5, 0
	s_cmp_lg_u32 s26, 0
	s_mov_b32 s6, 0
	s_cbranch_scc0 .LBB13_52
; %bb.44:
	s_min_u32 s7, s27, 15
	v_mov_b32_e32 v4, 0
	s_add_i32 s7, s7, 1
	s_cmp_eq_u32 s27, 2
	s_mov_b32 s8, 0
	s_cbranch_scc1 .LBB13_49
; %bb.45:
	v_dual_mov_b32 v5, 0 :: v_dual_mov_b32 v4, 0
	v_mov_b32_e32 v9, v7
	s_add_u32 s2, s0, 0xc4
	s_addc_u32 s3, s1, 0
	s_and_b32 s8, s7, 28
	s_mov_b32 s9, 0
	s_mov_b64 s[4:5], s[0:1]
.LBB13_46:                              ; =>This Inner Loop Header: Depth=1
	s_clause 0x1
	s_load_b256 s[12:19], s[4:5], 0x4
	s_load_b128 s[20:23], s[4:5], 0x24
	s_load_b256 s[36:43], s[2:3], 0x0
	s_add_u32 s4, s4, 48
	s_addc_u32 s5, s5, 0
	s_add_i32 s9, s9, 4
	s_add_u32 s2, s2, 32
	s_addc_u32 s3, s3, 0
	s_cmp_lg_u32 s8, s9
	s_waitcnt lgkmcnt(0)
	v_mul_hi_u32 v10, s13, v9
	s_delay_alu instid0(VALU_DEP_1) | instskip(NEXT) | instid1(VALU_DEP_1)
	v_add_nc_u32_e32 v10, v9, v10
	v_lshrrev_b32_e32 v10, s14, v10
	s_delay_alu instid0(VALU_DEP_1) | instskip(SKIP_1) | instid1(VALU_DEP_2)
	v_mul_hi_u32 v11, s16, v10
	v_mul_lo_u32 v13, v10, s12
	v_add_nc_u32_e32 v11, v10, v11
	s_delay_alu instid0(VALU_DEP_2) | instskip(NEXT) | instid1(VALU_DEP_2)
	v_sub_nc_u32_e32 v9, v9, v13
	v_lshrrev_b32_e32 v11, s17, v11
	s_delay_alu instid0(VALU_DEP_2) | instskip(SKIP_1) | instid1(VALU_DEP_3)
	v_mul_lo_u32 v13, v9, s36
	v_mul_lo_u32 v15, v9, s37
	v_mul_hi_u32 v12, s19, v11
	s_delay_alu instid0(VALU_DEP_1) | instskip(NEXT) | instid1(VALU_DEP_1)
	v_add_nc_u32_e32 v12, v11, v12
	v_lshrrev_b32_e32 v12, s20, v12
	s_delay_alu instid0(VALU_DEP_1) | instskip(SKIP_1) | instid1(VALU_DEP_2)
	v_mul_hi_u32 v14, s22, v12
	v_mul_lo_u32 v16, v12, s18
	v_add_nc_u32_e32 v9, v12, v14
	v_mul_lo_u32 v14, v11, s15
	s_delay_alu instid0(VALU_DEP_3) | instskip(NEXT) | instid1(VALU_DEP_3)
	v_sub_nc_u32_e32 v11, v11, v16
	v_lshrrev_b32_e32 v9, s23, v9
	s_delay_alu instid0(VALU_DEP_2) | instskip(SKIP_2) | instid1(VALU_DEP_4)
	v_mul_lo_u32 v16, v11, s40
	v_mul_lo_u32 v11, v11, s41
	v_sub_nc_u32_e32 v10, v10, v14
	v_mul_lo_u32 v17, v9, s21
	s_delay_alu instid0(VALU_DEP_2) | instskip(SKIP_1) | instid1(VALU_DEP_3)
	v_mul_lo_u32 v14, v10, s38
	v_mul_lo_u32 v10, v10, s39
	v_sub_nc_u32_e32 v12, v12, v17
	s_delay_alu instid0(VALU_DEP_3) | instskip(NEXT) | instid1(VALU_DEP_2)
	v_add3_u32 v4, v13, v4, v14
	v_mul_lo_u32 v17, v12, s42
	v_mul_lo_u32 v12, v12, s43
	v_add3_u32 v5, v15, v5, v10
	s_delay_alu instid0(VALU_DEP_3) | instskip(NEXT) | instid1(VALU_DEP_2)
	v_add3_u32 v4, v16, v4, v17
	v_add3_u32 v5, v11, v5, v12
	s_cbranch_scc1 .LBB13_46
; %bb.47:
	s_and_b32 s7, s7, 3
	s_delay_alu instid0(SALU_CYCLE_1)
	s_cmp_eq_u32 s7, 0
	s_cbranch_scc0 .LBB13_50
	s_branch .LBB13_52
.LBB13_48:
	s_mov_b32 s6, -1
                                        ; implicit-def: $vgpr4
                                        ; implicit-def: $vgpr5
	s_branch .LBB13_52
.LBB13_49:
	v_mov_b32_e32 v9, v7
	v_mov_b32_e32 v5, 0
	s_and_b32 s7, s7, 3
	s_delay_alu instid0(SALU_CYCLE_1)
	s_cmp_eq_u32 s7, 0
	s_cbranch_scc1 .LBB13_52
.LBB13_50:
	s_lshl_b32 s2, s8, 3
	s_mul_i32 s4, s8, 12
	s_add_u32 s2, s2, s0
	s_addc_u32 s3, 0, s1
	s_add_u32 s2, s2, 0xc4
	s_addc_u32 s3, s3, 0
	;; [unrolled: 2-line block ×3, first 2 shown]
	.p2align	6
.LBB13_51:                              ; =>This Inner Loop Header: Depth=1
	s_clause 0x1
	s_load_b64 s[8:9], s[4:5], 0x4
	s_load_b32 s12, s[4:5], 0xc
	s_load_b64 s[10:11], s[2:3], 0x0
	s_add_u32 s4, s4, 12
	s_addc_u32 s5, s5, 0
	s_add_u32 s2, s2, 8
	s_addc_u32 s3, s3, 0
	s_add_i32 s7, s7, -1
	s_delay_alu instid0(SALU_CYCLE_1) | instskip(SKIP_2) | instid1(VALU_DEP_1)
	s_cmp_lg_u32 s7, 0
	s_waitcnt lgkmcnt(0)
	v_mul_hi_u32 v10, s9, v9
	v_add_nc_u32_e32 v10, v9, v10
	s_delay_alu instid0(VALU_DEP_1) | instskip(NEXT) | instid1(VALU_DEP_1)
	v_lshrrev_b32_e32 v13, s12, v10
	v_mul_lo_u32 v10, v13, s8
	s_delay_alu instid0(VALU_DEP_1) | instskip(NEXT) | instid1(VALU_DEP_1)
	v_sub_nc_u32_e32 v9, v9, v10
	v_mad_u64_u32 v[10:11], null, v9, s10, v[4:5]
	v_mad_u64_u32 v[11:12], null, v9, s11, v[5:6]
	s_delay_alu instid0(VALU_DEP_2) | instskip(NEXT) | instid1(VALU_DEP_2)
	v_dual_mov_b32 v9, v13 :: v_dual_mov_b32 v4, v10
	v_mov_b32_e32 v5, v11
	s_cbranch_scc1 .LBB13_51
.LBB13_52:
	s_and_not1_b32 vcc_lo, exec_lo, s6
	s_cbranch_vccnz .LBB13_55
; %bb.53:
	s_clause 0x1
	s_load_b128 s[4:7], s[0:1], 0x4
	s_load_b64 s[2:3], s[0:1], 0xc4
	s_cmp_lt_u32 s26, 2
	s_waitcnt lgkmcnt(0)
	v_mul_hi_u32 v4, s5, v7
	s_delay_alu instid0(VALU_DEP_1) | instskip(NEXT) | instid1(VALU_DEP_1)
	v_add_nc_u32_e32 v4, v7, v4
	v_lshrrev_b32_e32 v9, s6, v4
	s_delay_alu instid0(VALU_DEP_1) | instskip(NEXT) | instid1(VALU_DEP_1)
	v_mul_lo_u32 v4, v9, s4
	v_sub_nc_u32_e32 v5, v7, v4
	s_delay_alu instid0(VALU_DEP_1)
	v_mul_lo_u32 v4, v5, s2
	v_mul_lo_u32 v5, v5, s3
	s_cbranch_scc1 .LBB13_55
; %bb.54:
	s_clause 0x1
	s_load_b128 s[4:7], s[0:1], 0x10
	s_load_b64 s[2:3], s[0:1], 0xcc
	s_waitcnt lgkmcnt(0)
	v_mul_hi_u32 v7, s5, v9
	s_delay_alu instid0(VALU_DEP_1) | instskip(NEXT) | instid1(VALU_DEP_1)
	v_add_nc_u32_e32 v7, v9, v7
	v_lshrrev_b32_e32 v7, s6, v7
	s_delay_alu instid0(VALU_DEP_1) | instskip(NEXT) | instid1(VALU_DEP_1)
	v_mul_lo_u32 v7, v7, s4
	v_sub_nc_u32_e32 v7, v9, v7
	s_delay_alu instid0(VALU_DEP_1) | instskip(SKIP_1) | instid1(VALU_DEP_1)
	v_mad_u64_u32 v[9:10], null, v7, s2, v[4:5]
	v_mad_u64_u32 v[10:11], null, v7, s3, v[5:6]
	v_dual_mov_b32 v4, v9 :: v_dual_mov_b32 v5, v10
.LBB13_55:
	v_cmp_ne_u32_e32 vcc_lo, 1, v6
	s_cbranch_vccnz .LBB13_61
; %bb.56:
	v_dual_mov_b32 v6, 0 :: v_dual_mov_b32 v7, 0
	s_cmp_lg_u32 s26, 0
	s_mov_b32 s6, 0
	s_cbranch_scc0 .LBB13_65
; %bb.57:
	s_min_u32 s7, s27, 15
	v_mov_b32_e32 v6, 0
	s_add_i32 s7, s7, 1
	s_cmp_eq_u32 s27, 2
	s_mov_b32 s8, 0
	s_cbranch_scc1 .LBB13_62
; %bb.58:
	v_dual_mov_b32 v7, 0 :: v_dual_mov_b32 v6, 0
	v_mov_b32_e32 v9, v8
	s_add_u32 s2, s0, 0xc4
	s_addc_u32 s3, s1, 0
	s_and_b32 s8, s7, 28
	s_mov_b32 s9, 0
	s_mov_b64 s[4:5], s[0:1]
.LBB13_59:                              ; =>This Inner Loop Header: Depth=1
	s_clause 0x1
	s_load_b256 s[12:19], s[4:5], 0x4
	s_load_b128 s[20:23], s[4:5], 0x24
	s_load_b256 s[36:43], s[2:3], 0x0
	s_add_u32 s4, s4, 48
	s_addc_u32 s5, s5, 0
	s_add_i32 s9, s9, 4
	s_add_u32 s2, s2, 32
	s_addc_u32 s3, s3, 0
	s_cmp_lg_u32 s8, s9
	s_waitcnt lgkmcnt(0)
	v_mul_hi_u32 v10, s13, v9
	s_delay_alu instid0(VALU_DEP_1) | instskip(NEXT) | instid1(VALU_DEP_1)
	v_add_nc_u32_e32 v10, v9, v10
	v_lshrrev_b32_e32 v10, s14, v10
	s_delay_alu instid0(VALU_DEP_1) | instskip(SKIP_1) | instid1(VALU_DEP_2)
	v_mul_hi_u32 v11, s16, v10
	v_mul_lo_u32 v13, v10, s12
	v_add_nc_u32_e32 v11, v10, v11
	s_delay_alu instid0(VALU_DEP_2) | instskip(NEXT) | instid1(VALU_DEP_2)
	v_sub_nc_u32_e32 v9, v9, v13
	v_lshrrev_b32_e32 v11, s17, v11
	s_delay_alu instid0(VALU_DEP_2) | instskip(SKIP_1) | instid1(VALU_DEP_3)
	v_mul_lo_u32 v13, v9, s36
	v_mul_lo_u32 v15, v9, s37
	v_mul_hi_u32 v12, s19, v11
	s_delay_alu instid0(VALU_DEP_1) | instskip(NEXT) | instid1(VALU_DEP_1)
	v_add_nc_u32_e32 v12, v11, v12
	v_lshrrev_b32_e32 v12, s20, v12
	s_delay_alu instid0(VALU_DEP_1) | instskip(SKIP_1) | instid1(VALU_DEP_2)
	v_mul_hi_u32 v14, s22, v12
	v_mul_lo_u32 v16, v12, s18
	v_add_nc_u32_e32 v9, v12, v14
	v_mul_lo_u32 v14, v11, s15
	s_delay_alu instid0(VALU_DEP_3) | instskip(NEXT) | instid1(VALU_DEP_3)
	v_sub_nc_u32_e32 v11, v11, v16
	v_lshrrev_b32_e32 v9, s23, v9
	s_delay_alu instid0(VALU_DEP_2) | instskip(SKIP_2) | instid1(VALU_DEP_4)
	v_mul_lo_u32 v16, v11, s40
	v_mul_lo_u32 v11, v11, s41
	v_sub_nc_u32_e32 v10, v10, v14
	v_mul_lo_u32 v17, v9, s21
	s_delay_alu instid0(VALU_DEP_2) | instskip(SKIP_1) | instid1(VALU_DEP_3)
	v_mul_lo_u32 v14, v10, s38
	v_mul_lo_u32 v10, v10, s39
	v_sub_nc_u32_e32 v12, v12, v17
	s_delay_alu instid0(VALU_DEP_3) | instskip(NEXT) | instid1(VALU_DEP_2)
	v_add3_u32 v6, v13, v6, v14
	v_mul_lo_u32 v17, v12, s42
	v_mul_lo_u32 v12, v12, s43
	v_add3_u32 v7, v15, v7, v10
	s_delay_alu instid0(VALU_DEP_3) | instskip(NEXT) | instid1(VALU_DEP_2)
	v_add3_u32 v6, v16, v6, v17
	v_add3_u32 v7, v11, v7, v12
	s_cbranch_scc1 .LBB13_59
; %bb.60:
	s_and_b32 s7, s7, 3
	s_delay_alu instid0(SALU_CYCLE_1)
	s_cmp_eq_u32 s7, 0
	s_cbranch_scc0 .LBB13_63
	s_branch .LBB13_65
.LBB13_61:
	s_mov_b32 s6, -1
                                        ; implicit-def: $vgpr6
                                        ; implicit-def: $vgpr7
	s_branch .LBB13_65
.LBB13_62:
	v_mov_b32_e32 v9, v8
	v_mov_b32_e32 v7, 0
	s_and_b32 s7, s7, 3
	s_delay_alu instid0(SALU_CYCLE_1)
	s_cmp_eq_u32 s7, 0
	s_cbranch_scc1 .LBB13_65
.LBB13_63:
	s_lshl_b32 s2, s8, 3
	s_mul_i32 s4, s8, 12
	s_add_u32 s2, s2, s0
	s_addc_u32 s3, 0, s1
	s_add_u32 s2, s2, 0xc4
	s_addc_u32 s3, s3, 0
	;; [unrolled: 2-line block ×3, first 2 shown]
	.p2align	6
.LBB13_64:                              ; =>This Inner Loop Header: Depth=1
	s_clause 0x1
	s_load_b64 s[8:9], s[4:5], 0x4
	s_load_b32 s12, s[4:5], 0xc
	s_load_b64 s[10:11], s[2:3], 0x0
	s_add_u32 s4, s4, 12
	s_addc_u32 s5, s5, 0
	s_add_u32 s2, s2, 8
	s_addc_u32 s3, s3, 0
	s_add_i32 s7, s7, -1
	s_delay_alu instid0(SALU_CYCLE_1) | instskip(SKIP_2) | instid1(VALU_DEP_1)
	s_cmp_lg_u32 s7, 0
	s_waitcnt lgkmcnt(0)
	v_mul_hi_u32 v10, s9, v9
	v_add_nc_u32_e32 v10, v9, v10
	s_delay_alu instid0(VALU_DEP_1) | instskip(NEXT) | instid1(VALU_DEP_1)
	v_lshrrev_b32_e32 v13, s12, v10
	v_mul_lo_u32 v10, v13, s8
	s_delay_alu instid0(VALU_DEP_1) | instskip(NEXT) | instid1(VALU_DEP_1)
	v_sub_nc_u32_e32 v9, v9, v10
	v_mad_u64_u32 v[10:11], null, v9, s10, v[6:7]
	v_mad_u64_u32 v[11:12], null, v9, s11, v[7:8]
	s_delay_alu instid0(VALU_DEP_2) | instskip(NEXT) | instid1(VALU_DEP_2)
	v_dual_mov_b32 v9, v13 :: v_dual_mov_b32 v6, v10
	v_mov_b32_e32 v7, v11
	s_cbranch_scc1 .LBB13_64
.LBB13_65:
	s_and_not1_b32 vcc_lo, exec_lo, s6
	s_cbranch_vccnz .LBB13_68
; %bb.66:
	s_clause 0x1
	s_load_b128 s[4:7], s[0:1], 0x4
	s_load_b64 s[2:3], s[0:1], 0xc4
	s_cmp_lt_u32 s26, 2
	s_waitcnt lgkmcnt(0)
	v_mul_hi_u32 v6, s5, v8
	s_delay_alu instid0(VALU_DEP_1) | instskip(NEXT) | instid1(VALU_DEP_1)
	v_add_nc_u32_e32 v6, v8, v6
	v_lshrrev_b32_e32 v9, s6, v6
	s_delay_alu instid0(VALU_DEP_1) | instskip(NEXT) | instid1(VALU_DEP_1)
	v_mul_lo_u32 v6, v9, s4
	v_sub_nc_u32_e32 v7, v8, v6
	s_delay_alu instid0(VALU_DEP_1)
	v_mul_lo_u32 v6, v7, s2
	v_mul_lo_u32 v7, v7, s3
	s_cbranch_scc1 .LBB13_68
; %bb.67:
	s_clause 0x1
	s_load_b128 s[4:7], s[0:1], 0x10
	s_load_b64 s[2:3], s[0:1], 0xcc
	s_waitcnt lgkmcnt(0)
	v_mul_hi_u32 v8, s5, v9
	s_delay_alu instid0(VALU_DEP_1) | instskip(NEXT) | instid1(VALU_DEP_1)
	v_add_nc_u32_e32 v8, v9, v8
	v_lshrrev_b32_e32 v8, s6, v8
	s_delay_alu instid0(VALU_DEP_1) | instskip(NEXT) | instid1(VALU_DEP_1)
	v_mul_lo_u32 v8, v8, s4
	v_sub_nc_u32_e32 v11, v9, v8
	s_delay_alu instid0(VALU_DEP_1) | instskip(NEXT) | instid1(VALU_DEP_1)
	v_mad_u64_u32 v[8:9], null, v11, s2, v[6:7]
	v_mad_u64_u32 v[9:10], null, v11, s3, v[7:8]
	s_delay_alu instid0(VALU_DEP_1)
	v_dual_mov_b32 v6, v8 :: v_dual_mov_b32 v7, v9
.LBB13_68:
	s_load_b64 s[2:3], s[0:1], 0x160
	s_waitcnt lgkmcnt(0)
	v_trunc_f64_e32 v[8:9], s[2:3]
	v_cmp_class_f64_e64 s4, s[2:3], 0x1f8
	s_load_b128 s[0:3], s[0:1], 0x148
	s_delay_alu instid0(VALU_DEP_2) | instskip(NEXT) | instid1(VALU_DEP_2)
	v_ldexp_f64 v[10:11], v[8:9], 0xffffffe0
	s_and_b32 s4, s4, exec_lo
	s_delay_alu instid0(VALU_DEP_1) | instskip(NEXT) | instid1(VALU_DEP_1)
	v_floor_f64_e32 v[10:11], v[10:11]
	v_fma_f64 v[8:9], 0xc1f00000, v[10:11], v[8:9]
	v_cvt_i32_f64_e32 v10, v[10:11]
	s_delay_alu instid0(VALU_DEP_2) | instskip(NEXT) | instid1(VALU_DEP_2)
	v_cvt_u32_f64_e32 v8, v[8:9]
	v_readfirstlane_b32 s5, v10
	s_delay_alu instid0(VALU_DEP_1) | instskip(NEXT) | instid1(VALU_DEP_2)
	s_cselect_b32 s5, s5, -1
	v_readfirstlane_b32 s6, v8
	v_mov_b32_e32 v8, 0
	v_mov_b32_e32 v9, 0
	s_delay_alu instid0(VALU_DEP_3) | instskip(NEXT) | instid1(SALU_CYCLE_1)
	s_cselect_b32 s4, s6, -1
	v_cmp_lt_i64_e64 s6, s[4:5], 0
	v_cmp_gt_i64_e64 s10, s[4:5], -1
	s_delay_alu instid0(VALU_DEP_2)
	s_and_b32 vcc_lo, exec_lo, s6
	s_cbranch_vccnz .LBB13_77
; %bb.69:
	v_cmp_lt_i64_e64 s6, s[4:5], 1
	v_mov_b32_e32 v8, 0
	v_mov_b32_e32 v9, 0x3ff00000
	s_delay_alu instid0(VALU_DEP_3)
	s_and_b32 vcc_lo, exec_lo, s6
	s_cbranch_vccnz .LBB13_77
; %bb.70:
	s_waitcnt lgkmcnt(0)
	global_load_b64 v[10:11], v2, s[2:3]
	s_cmp_lg_u64 s[4:5], 1
	s_cbranch_scc0 .LBB13_75
; %bb.71:
	v_cmp_lt_u64_e64 s6, 0x200, s[4:5]
	v_mov_b32_e32 v8, 0
	v_mov_b32_e32 v9, 0x7ff80000
	s_delay_alu instid0(VALU_DEP_3)
	s_and_b32 vcc_lo, exec_lo, s6
	s_cbranch_vccnz .LBB13_74
; %bb.72:
	s_waitcnt vmcnt(0)
	v_add_f64 v[12:13], v[10:11], v[10:11]
	v_mov_b32_e32 v14, 0
	v_mov_b32_e32 v15, 0x3ff00000
	s_lshl_b64 s[6:7], s[4:5], 1
	s_mov_b64 s[8:9], 2
	s_delay_alu instid0(VALU_DEP_3)
	v_dual_mov_b32 v8, v12 :: v_dual_mov_b32 v9, v13
	.p2align	6
.LBB13_73:                              ; =>This Inner Loop Header: Depth=1
	v_cvt_f64_u32_e32 v[16:17], s9
	v_cvt_f64_u32_e32 v[18:19], s8
	s_add_u32 s8, s8, 2
	s_addc_u32 s9, s9, 0
	s_delay_alu instid0(SALU_CYCLE_1) | instskip(NEXT) | instid1(VALU_DEP_1)
	v_cmp_lt_u64_e64 s11, s[8:9], s[6:7]
	s_and_b32 vcc_lo, exec_lo, s11
	s_delay_alu instid0(VALU_DEP_3) | instskip(NEXT) | instid1(VALU_DEP_1)
	v_ldexp_f64 v[16:17], v[16:17], 32
	v_add_f64 v[16:17], v[16:17], v[18:19]
	s_delay_alu instid0(VALU_DEP_1) | instskip(SKIP_1) | instid1(VALU_DEP_1)
	v_mul_f64 v[14:15], v[14:15], v[16:17]
	v_dual_mov_b32 v17, v9 :: v_dual_mov_b32 v16, v8
	v_fma_f64 v[8:9], v[12:13], v[16:17], -v[14:15]
	v_dual_mov_b32 v14, v16 :: v_dual_mov_b32 v15, v17
	s_cbranch_vccnz .LBB13_73
.LBB13_74:
	s_cbranch_execz .LBB13_76
	s_branch .LBB13_77
.LBB13_75:
                                        ; implicit-def: $vgpr8_vgpr9
.LBB13_76:
	s_waitcnt vmcnt(0)
	v_add_f64 v[8:9], v[10:11], v[10:11]
.LBB13_77:
	s_waitcnt vmcnt(0)
	v_mov_b32_e32 v10, 0
	s_delay_alu instid0(VALU_DEP_2)
	v_cndmask_b32_e64 v18, 0, 1, s10
	v_mov_b32_e32 v11, 0
	s_and_not1_b32 vcc_lo, exec_lo, s10
	s_cbranch_vccnz .LBB13_86
; %bb.78:
	v_cmp_lt_i64_e64 s6, s[4:5], 1
	v_mov_b32_e32 v10, 0
	v_mov_b32_e32 v11, 0x3ff00000
	s_delay_alu instid0(VALU_DEP_3)
	s_and_b32 vcc_lo, exec_lo, s6
	s_cbranch_vccnz .LBB13_86
; %bb.79:
	s_waitcnt lgkmcnt(0)
	global_load_b64 v[2:3], v3, s[2:3]
	s_cmp_lg_u64 s[4:5], 1
	s_cbranch_scc0 .LBB13_84
; %bb.80:
	v_cmp_lt_u64_e64 s6, 0x200, s[4:5]
	v_mov_b32_e32 v10, 0
	v_mov_b32_e32 v11, 0x7ff80000
	s_delay_alu instid0(VALU_DEP_3)
	s_and_b32 vcc_lo, exec_lo, s6
	s_cbranch_vccnz .LBB13_83
; %bb.81:
	s_waitcnt vmcnt(0)
	v_add_f64 v[12:13], v[2:3], v[2:3]
	v_mov_b32_e32 v14, 0
	v_mov_b32_e32 v15, 0x3ff00000
	s_lshl_b64 s[6:7], s[4:5], 1
	s_mov_b64 s[8:9], 2
	s_delay_alu instid0(VALU_DEP_3)
	v_dual_mov_b32 v10, v12 :: v_dual_mov_b32 v11, v13
	.p2align	6
.LBB13_82:                              ; =>This Inner Loop Header: Depth=1
	v_cvt_f64_u32_e32 v[16:17], s9
	v_cvt_f64_u32_e32 v[19:20], s8
	s_add_u32 s8, s8, 2
	s_addc_u32 s9, s9, 0
	s_delay_alu instid0(SALU_CYCLE_1) | instskip(NEXT) | instid1(VALU_DEP_1)
	v_cmp_lt_u64_e64 s10, s[8:9], s[6:7]
	s_and_b32 vcc_lo, exec_lo, s10
	s_delay_alu instid0(VALU_DEP_3) | instskip(NEXT) | instid1(VALU_DEP_1)
	v_ldexp_f64 v[16:17], v[16:17], 32
	v_add_f64 v[16:17], v[16:17], v[19:20]
	s_delay_alu instid0(VALU_DEP_1) | instskip(SKIP_1) | instid1(VALU_DEP_1)
	v_mul_f64 v[14:15], v[14:15], v[16:17]
	v_dual_mov_b32 v17, v11 :: v_dual_mov_b32 v16, v10
	v_fma_f64 v[10:11], v[12:13], v[16:17], -v[14:15]
	v_dual_mov_b32 v14, v16 :: v_dual_mov_b32 v15, v17
	s_cbranch_vccnz .LBB13_82
.LBB13_83:
	s_cbranch_execz .LBB13_85
	s_branch .LBB13_86
.LBB13_84:
                                        ; implicit-def: $vgpr10_vgpr11
.LBB13_85:
	s_waitcnt vmcnt(0)
	v_add_f64 v[10:11], v[2:3], v[2:3]
.LBB13_86:
	s_delay_alu instid0(VALU_DEP_2)
	v_cmp_ne_u32_e32 vcc_lo, 1, v18
	s_waitcnt vmcnt(0)
	v_mov_b32_e32 v2, 0
	v_mov_b32_e32 v3, 0
	s_cbranch_vccnz .LBB13_95
; %bb.87:
	v_cmp_lt_i64_e64 s6, s[4:5], 1
	v_mov_b32_e32 v2, 0
	v_mov_b32_e32 v3, 0x3ff00000
	s_delay_alu instid0(VALU_DEP_3)
	s_and_b32 vcc_lo, exec_lo, s6
	s_cbranch_vccnz .LBB13_95
; %bb.88:
	s_waitcnt lgkmcnt(0)
	global_load_b64 v[12:13], v5, s[2:3]
	s_cmp_lg_u64 s[4:5], 1
	s_cbranch_scc0 .LBB13_93
; %bb.89:
	v_cmp_lt_u64_e64 s6, 0x200, s[4:5]
	v_mov_b32_e32 v2, 0
	v_mov_b32_e32 v3, 0x7ff80000
	s_delay_alu instid0(VALU_DEP_3)
	s_and_b32 vcc_lo, exec_lo, s6
	s_cbranch_vccnz .LBB13_92
; %bb.90:
	s_waitcnt vmcnt(0)
	v_add_f64 v[14:15], v[12:13], v[12:13]
	v_mov_b32_e32 v16, 0
	v_mov_b32_e32 v17, 0x3ff00000
	s_lshl_b64 s[6:7], s[4:5], 1
	s_mov_b64 s[8:9], 2
	s_delay_alu instid0(VALU_DEP_3)
	v_dual_mov_b32 v2, v14 :: v_dual_mov_b32 v3, v15
	.p2align	6
.LBB13_91:                              ; =>This Inner Loop Header: Depth=1
	v_cvt_f64_u32_e32 v[19:20], s9
	v_cvt_f64_u32_e32 v[21:22], s8
	s_add_u32 s8, s8, 2
	s_addc_u32 s9, s9, 0
	s_delay_alu instid0(SALU_CYCLE_1) | instskip(NEXT) | instid1(VALU_DEP_1)
	v_cmp_lt_u64_e64 s10, s[8:9], s[6:7]
	s_and_b32 vcc_lo, exec_lo, s10
	s_delay_alu instid0(VALU_DEP_3) | instskip(NEXT) | instid1(VALU_DEP_1)
	v_ldexp_f64 v[19:20], v[19:20], 32
	v_add_f64 v[19:20], v[19:20], v[21:22]
	s_delay_alu instid0(VALU_DEP_1) | instskip(SKIP_1) | instid1(VALU_DEP_1)
	v_mul_f64 v[16:17], v[16:17], v[19:20]
	v_dual_mov_b32 v20, v3 :: v_dual_mov_b32 v19, v2
	v_fma_f64 v[2:3], v[14:15], v[19:20], -v[16:17]
	v_dual_mov_b32 v16, v19 :: v_dual_mov_b32 v17, v20
	s_cbranch_vccnz .LBB13_91
.LBB13_92:
	s_cbranch_execz .LBB13_94
	s_branch .LBB13_95
.LBB13_93:
                                        ; implicit-def: $vgpr2_vgpr3
.LBB13_94:
	s_waitcnt vmcnt(0)
	v_add_f64 v[2:3], v[12:13], v[12:13]
.LBB13_95:
	v_cmp_ne_u32_e32 vcc_lo, 1, v18
	s_waitcnt vmcnt(0)
	v_mov_b32_e32 v12, 0
	v_mov_b32_e32 v13, 0
	s_cbranch_vccnz .LBB13_104
; %bb.96:
	v_cmp_lt_i64_e64 s6, s[4:5], 1
	v_mov_b32_e32 v12, 0
	v_mov_b32_e32 v13, 0x3ff00000
	s_delay_alu instid0(VALU_DEP_3)
	s_and_b32 vcc_lo, exec_lo, s6
	s_cbranch_vccnz .LBB13_104
; %bb.97:
	s_waitcnt lgkmcnt(0)
	global_load_b64 v[14:15], v7, s[2:3]
	s_cmp_lg_u64 s[4:5], 1
	s_cbranch_scc0 .LBB13_102
; %bb.98:
	v_cmp_lt_u64_e64 s2, 0x200, s[4:5]
	v_mov_b32_e32 v12, 0
	v_mov_b32_e32 v13, 0x7ff80000
	s_delay_alu instid0(VALU_DEP_3)
	s_and_b32 vcc_lo, exec_lo, s2
	s_cbranch_vccnz .LBB13_101
; %bb.99:
	s_waitcnt vmcnt(0)
	v_add_f64 v[16:17], v[14:15], v[14:15]
	v_mov_b32_e32 v18, 0
	v_mov_b32_e32 v19, 0x3ff00000
	s_lshl_b64 s[2:3], s[4:5], 1
	s_mov_b64 s[4:5], 2
	s_delay_alu instid0(VALU_DEP_3)
	v_dual_mov_b32 v12, v16 :: v_dual_mov_b32 v13, v17
	.p2align	6
.LBB13_100:                             ; =>This Inner Loop Header: Depth=1
	v_cvt_f64_u32_e32 v[20:21], s5
	v_cvt_f64_u32_e32 v[22:23], s4
	s_add_u32 s4, s4, 2
	s_addc_u32 s5, s5, 0
	s_delay_alu instid0(SALU_CYCLE_1) | instskip(NEXT) | instid1(VALU_DEP_1)
	v_cmp_lt_u64_e64 s6, s[4:5], s[2:3]
	s_and_b32 vcc_lo, exec_lo, s6
	s_delay_alu instid0(VALU_DEP_3) | instskip(NEXT) | instid1(VALU_DEP_1)
	v_ldexp_f64 v[20:21], v[20:21], 32
	v_add_f64 v[20:21], v[20:21], v[22:23]
	s_delay_alu instid0(VALU_DEP_1) | instskip(SKIP_1) | instid1(VALU_DEP_1)
	v_mul_f64 v[18:19], v[18:19], v[20:21]
	v_dual_mov_b32 v21, v13 :: v_dual_mov_b32 v20, v12
	v_fma_f64 v[12:13], v[16:17], v[20:21], -v[18:19]
	v_dual_mov_b32 v18, v20 :: v_dual_mov_b32 v19, v21
	s_cbranch_vccnz .LBB13_100
.LBB13_101:
	s_cbranch_execz .LBB13_103
	s_branch .LBB13_104
.LBB13_102:
                                        ; implicit-def: $vgpr12_vgpr13
.LBB13_103:
	s_waitcnt vmcnt(0)
	v_add_f64 v[12:13], v[14:15], v[14:15]
.LBB13_104:
	s_waitcnt lgkmcnt(0)
	s_clause 0x3
	global_store_b64 v0, v[8:9], s[0:1]
	global_store_b64 v1, v[10:11], s[0:1]
	global_store_b64 v4, v[2:3], s[0:1]
	global_store_b64 v6, v[12:13], s[0:1]
	s_nop 0
	s_sendmsg sendmsg(MSG_DEALLOC_VGPRS)
	s_endpgm
.LBB13_105:
	v_dual_mov_b32 v2, v10 :: v_dual_mov_b32 v1, 0
.LBB13_106:
	s_and_b32 s40, s40, 3
	s_delay_alu instid0(SALU_CYCLE_1)
	s_cmp_eq_u32 s40, 0
	s_cbranch_scc1 .LBB13_109
; %bb.107:
	s_lshl_b32 s22, s39, 3
	s_mul_i32 s24, s39, 12
	s_add_u32 s22, s22, s0
	s_addc_u32 s23, s1, 0
	s_add_u32 s22, s22, 0xc4
	s_addc_u32 s23, s23, 0
	;; [unrolled: 2-line block ×3, first 2 shown]
	.p2align	6
.LBB13_108:                             ; =>This Inner Loop Header: Depth=1
	s_clause 0x1
	s_load_b64 s[42:43], s[24:25], 0x4
	s_load_b32 s39, s[24:25], 0xc
	s_load_b64 s[44:45], s[22:23], 0x0
	s_add_u32 s24, s24, 12
	s_addc_u32 s25, s25, 0
	s_add_u32 s22, s22, 8
	s_addc_u32 s23, s23, 0
	s_add_i32 s40, s40, -1
	s_delay_alu instid0(SALU_CYCLE_1) | instskip(SKIP_2) | instid1(VALU_DEP_1)
	s_cmp_lg_u32 s40, 0
	s_waitcnt lgkmcnt(0)
	v_mul_hi_u32 v3, s43, v2
	v_add_nc_u32_e32 v3, v2, v3
	s_delay_alu instid0(VALU_DEP_1) | instskip(NEXT) | instid1(VALU_DEP_1)
	v_lshrrev_b32_e32 v6, s39, v3
	v_mul_lo_u32 v3, v6, s42
	s_delay_alu instid0(VALU_DEP_1) | instskip(NEXT) | instid1(VALU_DEP_1)
	v_sub_nc_u32_e32 v2, v2, v3
	v_mad_u64_u32 v[3:4], null, v2, s44, v[0:1]
	v_mad_u64_u32 v[4:5], null, v2, s45, v[1:2]
	v_mov_b32_e32 v2, v6
	s_delay_alu instid0(VALU_DEP_2)
	v_dual_mov_b32 v0, v3 :: v_dual_mov_b32 v1, v4
	s_cbranch_scc1 .LBB13_108
.LBB13_109:
	s_and_not1_b32 vcc_lo, exec_lo, s38
	s_cbranch_vccnz .LBB13_112
; %bb.110:
	v_mul_hi_u32 v0, s13, v10
	s_and_not1_b32 vcc_lo, exec_lo, s33
	s_delay_alu instid0(VALU_DEP_1) | instskip(NEXT) | instid1(VALU_DEP_1)
	v_add_nc_u32_e32 v0, v10, v0
	v_lshrrev_b32_e32 v2, s14, v0
	s_delay_alu instid0(VALU_DEP_1) | instskip(NEXT) | instid1(VALU_DEP_1)
	v_mul_lo_u32 v0, v2, s12
	v_sub_nc_u32_e32 v1, v10, v0
	s_delay_alu instid0(VALU_DEP_1)
	v_mul_lo_u32 v0, v1, s8
	v_mul_lo_u32 v1, v1, s9
	s_cbranch_vccnz .LBB13_112
; %bb.111:
	v_mul_hi_u32 v3, s18, v2
	s_delay_alu instid0(VALU_DEP_1) | instskip(NEXT) | instid1(VALU_DEP_1)
	v_add_nc_u32_e32 v3, v2, v3
	v_lshrrev_b32_e32 v3, s19, v3
	s_delay_alu instid0(VALU_DEP_1) | instskip(NEXT) | instid1(VALU_DEP_1)
	v_mul_lo_u32 v3, v3, s15
	v_sub_nc_u32_e32 v5, v2, v3
	s_delay_alu instid0(VALU_DEP_1) | instskip(NEXT) | instid1(VALU_DEP_1)
	v_mad_u64_u32 v[2:3], null, v5, s10, v[0:1]
	v_mad_u64_u32 v[3:4], null, v5, s11, v[1:2]
	s_delay_alu instid0(VALU_DEP_1)
	v_dual_mov_b32 v0, v2 :: v_dual_mov_b32 v1, v3
.LBB13_112:
	v_mov_b32_e32 v2, 0
	v_mov_b32_e32 v3, 0
	s_and_not1_b32 vcc_lo, exec_lo, s31
	s_cbranch_vccnz .LBB13_136
; %bb.113:
	v_cmp_lt_i64_e64 s22, s[16:17], 1
	v_mov_b32_e32 v2, 0
	v_mov_b32_e32 v3, 0x3ff00000
	s_delay_alu instid0(VALU_DEP_3)
	s_and_b32 vcc_lo, exec_lo, s22
	s_cbranch_vccnz .LBB13_136
; %bb.114:
	global_load_b64 v[4:5], v1, s[6:7]
	s_cmp_lg_u64 s[16:17], 1
	s_cbranch_scc0 .LBB13_133
; %bb.115:
	v_mov_b32_e32 v2, 0
	v_mov_b32_e32 v3, 0x7ff80000
	s_and_not1_b32 vcc_lo, exec_lo, s30
	s_cbranch_vccnz .LBB13_118
; %bb.116:
	s_waitcnt vmcnt(0)
	v_add_f64 v[6:7], v[4:5], v[4:5]
	v_mov_b32_e32 v8, 0
	v_mov_b32_e32 v9, 0x3ff00000
	s_mov_b64 s[22:23], 2
	s_delay_alu instid0(VALU_DEP_3)
	v_dual_mov_b32 v2, v6 :: v_dual_mov_b32 v3, v7
	.p2align	6
.LBB13_117:                             ; =>This Inner Loop Header: Depth=1
	v_cvt_f64_u32_e32 v[11:12], s23
	v_cvt_f64_u32_e32 v[13:14], s22
	s_add_u32 s22, s22, 2
	s_addc_u32 s23, s23, 0
	s_delay_alu instid0(SALU_CYCLE_1) | instskip(NEXT) | instid1(VALU_DEP_1)
	v_cmp_lt_u64_e64 s24, s[22:23], s[2:3]
	s_and_b32 vcc_lo, exec_lo, s24
	s_delay_alu instid0(VALU_DEP_3) | instskip(NEXT) | instid1(VALU_DEP_1)
	v_ldexp_f64 v[11:12], v[11:12], 32
	v_add_f64 v[11:12], v[11:12], v[13:14]
	s_delay_alu instid0(VALU_DEP_1) | instskip(SKIP_1) | instid1(VALU_DEP_1)
	v_mul_f64 v[8:9], v[8:9], v[11:12]
	v_dual_mov_b32 v12, v3 :: v_dual_mov_b32 v11, v2
	v_fma_f64 v[2:3], v[6:7], v[11:12], -v[8:9]
	v_dual_mov_b32 v8, v11 :: v_dual_mov_b32 v9, v12
	s_cbranch_vccnz .LBB13_117
.LBB13_118:
	s_mov_b32 s22, 0
	s_branch .LBB13_134
.LBB13_119:
	v_dual_mov_b32 v2, v10 :: v_dual_mov_b32 v1, 0
.LBB13_120:
	s_and_b32 s40, s40, 3
	s_delay_alu instid0(SALU_CYCLE_1)
	s_cmp_eq_u32 s40, 0
	s_cbranch_scc1 .LBB13_123
; %bb.121:
	s_lshl_b32 s22, s39, 3
	s_mul_i32 s24, s39, 12
	s_add_u32 s22, s22, s0
	s_addc_u32 s23, s1, 0
	s_add_u32 s22, s22, 0xc4
	s_addc_u32 s23, s23, 0
	;; [unrolled: 2-line block ×3, first 2 shown]
	.p2align	6
.LBB13_122:                             ; =>This Inner Loop Header: Depth=1
	s_clause 0x1
	s_load_b64 s[42:43], s[24:25], 0x4
	s_load_b32 s39, s[24:25], 0xc
	s_load_b64 s[44:45], s[22:23], 0x0
	s_add_u32 s24, s24, 12
	s_addc_u32 s25, s25, 0
	s_add_u32 s22, s22, 8
	s_addc_u32 s23, s23, 0
	s_add_i32 s40, s40, -1
	s_delay_alu instid0(SALU_CYCLE_1) | instskip(SKIP_2) | instid1(VALU_DEP_1)
	s_cmp_lg_u32 s40, 0
	s_waitcnt lgkmcnt(0)
	v_mul_hi_u32 v3, s43, v2
	v_add_nc_u32_e32 v3, v2, v3
	s_delay_alu instid0(VALU_DEP_1) | instskip(NEXT) | instid1(VALU_DEP_1)
	v_lshrrev_b32_e32 v6, s39, v3
	v_mul_lo_u32 v3, v6, s42
	s_delay_alu instid0(VALU_DEP_1) | instskip(SKIP_1) | instid1(VALU_DEP_1)
	v_sub_nc_u32_e32 v2, v2, v3
	s_waitcnt vmcnt(0)
	v_mad_u64_u32 v[3:4], null, v2, s44, v[0:1]
	v_mad_u64_u32 v[4:5], null, v2, s45, v[1:2]
	v_mov_b32_e32 v2, v6
	s_delay_alu instid0(VALU_DEP_2)
	v_dual_mov_b32 v0, v3 :: v_dual_mov_b32 v1, v4
	s_cbranch_scc1 .LBB13_122
.LBB13_123:
	s_and_not1_b32 vcc_lo, exec_lo, s38
	s_cbranch_vccnz .LBB13_126
; %bb.124:
	v_mul_hi_u32 v0, s13, v10
	s_and_not1_b32 vcc_lo, exec_lo, s33
	s_delay_alu instid0(VALU_DEP_1) | instskip(NEXT) | instid1(VALU_DEP_1)
	v_add_nc_u32_e32 v0, v10, v0
	v_lshrrev_b32_e32 v2, s14, v0
	s_delay_alu instid0(VALU_DEP_1) | instskip(NEXT) | instid1(VALU_DEP_1)
	v_mul_lo_u32 v0, v2, s12
	v_sub_nc_u32_e32 v1, v10, v0
	s_delay_alu instid0(VALU_DEP_1)
	v_mul_lo_u32 v0, v1, s8
	v_mul_lo_u32 v1, v1, s9
	s_cbranch_vccnz .LBB13_126
; %bb.125:
	v_mul_hi_u32 v3, s18, v2
	s_delay_alu instid0(VALU_DEP_1) | instskip(NEXT) | instid1(VALU_DEP_1)
	v_add_nc_u32_e32 v3, v2, v3
	v_lshrrev_b32_e32 v3, s19, v3
	s_delay_alu instid0(VALU_DEP_1) | instskip(SKIP_1) | instid1(VALU_DEP_1)
	v_mul_lo_u32 v3, v3, s15
	s_waitcnt vmcnt(0)
	v_sub_nc_u32_e32 v5, v2, v3
	s_delay_alu instid0(VALU_DEP_1) | instskip(NEXT) | instid1(VALU_DEP_1)
	v_mad_u64_u32 v[2:3], null, v5, s10, v[0:1]
	v_mad_u64_u32 v[3:4], null, v5, s11, v[1:2]
	s_delay_alu instid0(VALU_DEP_1)
	v_dual_mov_b32 v0, v2 :: v_dual_mov_b32 v1, v3
.LBB13_126:
	v_mov_b32_e32 v2, 0
	v_mov_b32_e32 v3, 0
	s_and_not1_b32 vcc_lo, exec_lo, s31
	s_cbranch_vccnz .LBB13_161
; %bb.127:
	v_cmp_lt_i64_e64 s22, s[16:17], 1
	v_mov_b32_e32 v2, 0
	v_mov_b32_e32 v3, 0x3ff00000
	s_delay_alu instid0(VALU_DEP_3)
	s_and_b32 vcc_lo, exec_lo, s22
	s_cbranch_vccnz .LBB13_161
; %bb.128:
	global_load_b64 v[4:5], v1, s[6:7]
	s_cmp_lg_u64 s[16:17], 1
	s_cbranch_scc0 .LBB13_158
; %bb.129:
	v_mov_b32_e32 v2, 0
	v_mov_b32_e32 v3, 0x7ff80000
	s_and_not1_b32 vcc_lo, exec_lo, s30
	s_cbranch_vccnz .LBB13_132
; %bb.130:
	s_waitcnt vmcnt(0)
	v_add_f64 v[6:7], v[4:5], v[4:5]
	v_mov_b32_e32 v8, 0
	v_mov_b32_e32 v9, 0x3ff00000
	s_mov_b64 s[22:23], 2
	s_delay_alu instid0(VALU_DEP_3)
	v_dual_mov_b32 v2, v6 :: v_dual_mov_b32 v3, v7
	.p2align	6
.LBB13_131:                             ; =>This Inner Loop Header: Depth=1
	v_cvt_f64_u32_e32 v[11:12], s23
	v_cvt_f64_u32_e32 v[13:14], s22
	s_add_u32 s22, s22, 2
	s_addc_u32 s23, s23, 0
	s_delay_alu instid0(SALU_CYCLE_1) | instskip(NEXT) | instid1(VALU_DEP_1)
	v_cmp_lt_u64_e64 s24, s[22:23], s[2:3]
	s_and_b32 vcc_lo, exec_lo, s24
	s_delay_alu instid0(VALU_DEP_3) | instskip(NEXT) | instid1(VALU_DEP_1)
	v_ldexp_f64 v[11:12], v[11:12], 32
	v_add_f64 v[11:12], v[11:12], v[13:14]
	s_delay_alu instid0(VALU_DEP_1) | instskip(SKIP_1) | instid1(VALU_DEP_1)
	v_mul_f64 v[8:9], v[8:9], v[11:12]
	v_dual_mov_b32 v12, v3 :: v_dual_mov_b32 v11, v2
	v_fma_f64 v[2:3], v[6:7], v[11:12], -v[8:9]
	v_dual_mov_b32 v8, v11 :: v_dual_mov_b32 v9, v12
	s_cbranch_vccnz .LBB13_131
.LBB13_132:
	s_mov_b32 s22, 0
	s_branch .LBB13_159
.LBB13_133:
	s_mov_b32 s22, -1
                                        ; implicit-def: $vgpr2_vgpr3
.LBB13_134:
	s_delay_alu instid0(SALU_CYCLE_1)
	s_and_not1_b32 vcc_lo, exec_lo, s22
	s_cbranch_vccnz .LBB13_136
; %bb.135:
	s_waitcnt vmcnt(0)
	v_add_f64 v[2:3], v[4:5], v[4:5]
.LBB13_136:
	v_add_nc_u32_e32 v10, 0x80, v10
	global_store_b64 v0, v[2:3], s[4:5]
	s_or_b32 exec_lo, exec_lo, s37
	s_delay_alu instid0(SALU_CYCLE_1)
	s_mov_b32 s37, exec_lo
	v_cmpx_gt_i32_e64 s34, v10
	s_cbranch_execnz .LBB13_15
.LBB13_137:
	s_or_b32 exec_lo, exec_lo, s37
	s_delay_alu instid0(SALU_CYCLE_1)
	s_mov_b32 s37, exec_lo
	v_cmpx_gt_i32_e64 s34, v10
	s_cbranch_execz .LBB13_162
.LBB13_138:
	s_and_not1_b32 vcc_lo, exec_lo, s28
	s_cbranch_vccnz .LBB13_143
; %bb.139:
	v_dual_mov_b32 v0, 0 :: v_dual_mov_b32 v1, 0
	s_and_not1_b32 vcc_lo, exec_lo, s36
	s_mov_b32 s38, 0
	s_cbranch_vccnz .LBB13_148
; %bb.140:
	v_mov_b32_e32 v0, 0
	s_add_i32 s40, s35, 1
	s_cmp_eq_u32 s27, 2
	s_mov_b32 s39, 0
	s_cbranch_scc1 .LBB13_144
; %bb.141:
	v_dual_mov_b32 v1, 0 :: v_dual_mov_b32 v0, 0
	v_mov_b32_e32 v2, v10
	s_and_b32 s39, s40, 28
	s_mov_b32 s41, 0
	s_mov_b64 s[22:23], s[20:21]
	s_mov_b64 s[24:25], s[0:1]
.LBB13_142:                             ; =>This Inner Loop Header: Depth=1
	s_clause 0x1
	s_load_b256 s[44:51], s[24:25], 0x4
	s_load_b128 s[60:63], s[24:25], 0x24
	s_load_b256 s[52:59], s[22:23], 0x0
	s_add_u32 s24, s24, 48
	s_addc_u32 s25, s25, 0
	s_add_i32 s41, s41, 4
	s_add_u32 s22, s22, 32
	s_addc_u32 s23, s23, 0
	s_cmp_eq_u32 s39, s41
	s_waitcnt lgkmcnt(0)
	v_mul_hi_u32 v3, s45, v2
	s_delay_alu instid0(VALU_DEP_1) | instskip(NEXT) | instid1(VALU_DEP_1)
	v_add_nc_u32_e32 v3, v2, v3
	v_lshrrev_b32_e32 v3, s46, v3
	s_waitcnt vmcnt(0)
	s_delay_alu instid0(VALU_DEP_1) | instskip(SKIP_1) | instid1(VALU_DEP_2)
	v_mul_hi_u32 v4, s48, v3
	v_mul_lo_u32 v6, v3, s44
	v_add_nc_u32_e32 v4, v3, v4
	s_delay_alu instid0(VALU_DEP_2) | instskip(NEXT) | instid1(VALU_DEP_2)
	v_sub_nc_u32_e32 v2, v2, v6
	v_lshrrev_b32_e32 v4, s49, v4
	s_delay_alu instid0(VALU_DEP_2) | instskip(SKIP_1) | instid1(VALU_DEP_3)
	v_mul_lo_u32 v6, v2, s52
	v_mul_lo_u32 v8, v2, s53
	v_mul_hi_u32 v5, s51, v4
	s_delay_alu instid0(VALU_DEP_1) | instskip(NEXT) | instid1(VALU_DEP_1)
	v_add_nc_u32_e32 v5, v4, v5
	v_lshrrev_b32_e32 v5, s60, v5
	s_delay_alu instid0(VALU_DEP_1) | instskip(SKIP_1) | instid1(VALU_DEP_2)
	v_mul_hi_u32 v7, s62, v5
	v_mul_lo_u32 v9, v5, s50
	v_add_nc_u32_e32 v2, v5, v7
	v_mul_lo_u32 v7, v4, s47
	s_delay_alu instid0(VALU_DEP_3) | instskip(NEXT) | instid1(VALU_DEP_3)
	v_sub_nc_u32_e32 v4, v4, v9
	v_lshrrev_b32_e32 v2, s63, v2
	s_delay_alu instid0(VALU_DEP_2) | instskip(SKIP_2) | instid1(VALU_DEP_4)
	v_mul_lo_u32 v9, v4, s56
	v_mul_lo_u32 v4, v4, s57
	v_sub_nc_u32_e32 v3, v3, v7
	v_mul_lo_u32 v11, v2, s61
	s_delay_alu instid0(VALU_DEP_2) | instskip(SKIP_1) | instid1(VALU_DEP_3)
	v_mul_lo_u32 v7, v3, s54
	v_mul_lo_u32 v3, v3, s55
	v_sub_nc_u32_e32 v5, v5, v11
	s_delay_alu instid0(VALU_DEP_3) | instskip(NEXT) | instid1(VALU_DEP_2)
	v_add3_u32 v0, v6, v0, v7
	v_mul_lo_u32 v11, v5, s58
	v_mul_lo_u32 v5, v5, s59
	v_add3_u32 v1, v8, v1, v3
	s_delay_alu instid0(VALU_DEP_3) | instskip(NEXT) | instid1(VALU_DEP_2)
	v_add3_u32 v0, v9, v0, v11
	v_add3_u32 v1, v4, v1, v5
	s_cbranch_scc0 .LBB13_142
	s_branch .LBB13_145
.LBB13_143:
	s_mov_b32 s38, -1
                                        ; implicit-def: $vgpr0
                                        ; implicit-def: $vgpr1
	s_branch .LBB13_148
.LBB13_144:
	v_dual_mov_b32 v2, v10 :: v_dual_mov_b32 v1, 0
.LBB13_145:
	s_and_b32 s40, s40, 3
	s_delay_alu instid0(SALU_CYCLE_1)
	s_cmp_eq_u32 s40, 0
	s_cbranch_scc1 .LBB13_148
; %bb.146:
	s_lshl_b32 s22, s39, 3
	s_mul_i32 s24, s39, 12
	s_add_u32 s22, s22, s0
	s_addc_u32 s23, s1, 0
	s_add_u32 s22, s22, 0xc4
	s_addc_u32 s23, s23, 0
	;; [unrolled: 2-line block ×3, first 2 shown]
	.p2align	6
.LBB13_147:                             ; =>This Inner Loop Header: Depth=1
	s_clause 0x1
	s_load_b64 s[42:43], s[24:25], 0x4
	s_load_b32 s39, s[24:25], 0xc
	s_load_b64 s[44:45], s[22:23], 0x0
	s_add_u32 s24, s24, 12
	s_addc_u32 s25, s25, 0
	s_add_u32 s22, s22, 8
	s_addc_u32 s23, s23, 0
	s_add_i32 s40, s40, -1
	s_delay_alu instid0(SALU_CYCLE_1) | instskip(SKIP_2) | instid1(VALU_DEP_1)
	s_cmp_lg_u32 s40, 0
	s_waitcnt lgkmcnt(0)
	v_mul_hi_u32 v3, s43, v2
	v_add_nc_u32_e32 v3, v2, v3
	s_delay_alu instid0(VALU_DEP_1) | instskip(NEXT) | instid1(VALU_DEP_1)
	v_lshrrev_b32_e32 v6, s39, v3
	v_mul_lo_u32 v3, v6, s42
	s_delay_alu instid0(VALU_DEP_1) | instskip(SKIP_1) | instid1(VALU_DEP_1)
	v_sub_nc_u32_e32 v2, v2, v3
	s_waitcnt vmcnt(0)
	v_mad_u64_u32 v[3:4], null, v2, s44, v[0:1]
	v_mad_u64_u32 v[4:5], null, v2, s45, v[1:2]
	v_mov_b32_e32 v2, v6
	s_delay_alu instid0(VALU_DEP_2)
	v_dual_mov_b32 v0, v3 :: v_dual_mov_b32 v1, v4
	s_cbranch_scc1 .LBB13_147
.LBB13_148:
	s_and_not1_b32 vcc_lo, exec_lo, s38
	s_cbranch_vccnz .LBB13_151
; %bb.149:
	v_mul_hi_u32 v0, s13, v10
	s_and_not1_b32 vcc_lo, exec_lo, s33
	s_delay_alu instid0(VALU_DEP_1) | instskip(NEXT) | instid1(VALU_DEP_1)
	v_add_nc_u32_e32 v0, v10, v0
	v_lshrrev_b32_e32 v2, s14, v0
	s_delay_alu instid0(VALU_DEP_1) | instskip(NEXT) | instid1(VALU_DEP_1)
	v_mul_lo_u32 v0, v2, s12
	v_sub_nc_u32_e32 v1, v10, v0
	s_delay_alu instid0(VALU_DEP_1)
	v_mul_lo_u32 v0, v1, s8
	v_mul_lo_u32 v1, v1, s9
	s_cbranch_vccnz .LBB13_151
; %bb.150:
	v_mul_hi_u32 v3, s18, v2
	s_delay_alu instid0(VALU_DEP_1) | instskip(NEXT) | instid1(VALU_DEP_1)
	v_add_nc_u32_e32 v3, v2, v3
	v_lshrrev_b32_e32 v3, s19, v3
	s_delay_alu instid0(VALU_DEP_1) | instskip(SKIP_1) | instid1(VALU_DEP_1)
	v_mul_lo_u32 v3, v3, s15
	s_waitcnt vmcnt(0)
	v_sub_nc_u32_e32 v5, v2, v3
	s_delay_alu instid0(VALU_DEP_1) | instskip(NEXT) | instid1(VALU_DEP_1)
	v_mad_u64_u32 v[2:3], null, v5, s10, v[0:1]
	v_mad_u64_u32 v[3:4], null, v5, s11, v[1:2]
	s_delay_alu instid0(VALU_DEP_1)
	v_dual_mov_b32 v0, v2 :: v_dual_mov_b32 v1, v3
.LBB13_151:
	v_mov_b32_e32 v2, 0
	v_mov_b32_e32 v3, 0
	s_and_not1_b32 vcc_lo, exec_lo, s31
	s_cbranch_vccnz .LBB13_168
; %bb.152:
	v_cmp_lt_i64_e64 s22, s[16:17], 1
	v_mov_b32_e32 v2, 0
	v_mov_b32_e32 v3, 0x3ff00000
	s_delay_alu instid0(VALU_DEP_3)
	s_and_b32 vcc_lo, exec_lo, s22
	s_cbranch_vccnz .LBB13_168
; %bb.153:
	global_load_b64 v[4:5], v1, s[6:7]
	s_cmp_lg_u64 s[16:17], 1
	s_cbranch_scc0 .LBB13_165
; %bb.154:
	v_mov_b32_e32 v2, 0
	v_mov_b32_e32 v3, 0x7ff80000
	s_and_not1_b32 vcc_lo, exec_lo, s30
	s_cbranch_vccnz .LBB13_157
; %bb.155:
	s_waitcnt vmcnt(0)
	v_add_f64 v[6:7], v[4:5], v[4:5]
	v_mov_b32_e32 v8, 0
	v_mov_b32_e32 v9, 0x3ff00000
	s_mov_b64 s[22:23], 2
	s_delay_alu instid0(VALU_DEP_3)
	v_dual_mov_b32 v2, v6 :: v_dual_mov_b32 v3, v7
	.p2align	6
.LBB13_156:                             ; =>This Inner Loop Header: Depth=1
	v_cvt_f64_u32_e32 v[11:12], s23
	v_cvt_f64_u32_e32 v[13:14], s22
	s_add_u32 s22, s22, 2
	s_addc_u32 s23, s23, 0
	s_delay_alu instid0(SALU_CYCLE_1) | instskip(NEXT) | instid1(VALU_DEP_1)
	v_cmp_lt_u64_e64 s24, s[22:23], s[2:3]
	s_and_b32 vcc_lo, exec_lo, s24
	s_delay_alu instid0(VALU_DEP_3) | instskip(NEXT) | instid1(VALU_DEP_1)
	v_ldexp_f64 v[11:12], v[11:12], 32
	v_add_f64 v[11:12], v[11:12], v[13:14]
	s_delay_alu instid0(VALU_DEP_1) | instskip(SKIP_1) | instid1(VALU_DEP_1)
	v_mul_f64 v[8:9], v[8:9], v[11:12]
	v_dual_mov_b32 v12, v3 :: v_dual_mov_b32 v11, v2
	v_fma_f64 v[2:3], v[6:7], v[11:12], -v[8:9]
	v_dual_mov_b32 v8, v11 :: v_dual_mov_b32 v9, v12
	s_cbranch_vccnz .LBB13_156
.LBB13_157:
	s_mov_b32 s22, 0
	s_branch .LBB13_166
.LBB13_158:
	s_mov_b32 s22, -1
                                        ; implicit-def: $vgpr2_vgpr3
.LBB13_159:
	s_delay_alu instid0(SALU_CYCLE_1)
	s_and_not1_b32 vcc_lo, exec_lo, s22
	s_cbranch_vccnz .LBB13_161
; %bb.160:
	s_waitcnt vmcnt(0)
	v_add_f64 v[2:3], v[4:5], v[4:5]
.LBB13_161:
	v_add_nc_u32_e32 v10, 0x80, v10
	global_store_b64 v0, v[2:3], s[4:5]
	s_or_b32 exec_lo, exec_lo, s37
	s_delay_alu instid0(SALU_CYCLE_1)
	s_mov_b32 s37, exec_lo
	v_cmpx_gt_i32_e64 s34, v10
	s_cbranch_execnz .LBB13_138
.LBB13_162:
	s_or_b32 exec_lo, exec_lo, s37
	s_delay_alu instid0(SALU_CYCLE_1)
	s_mov_b32 s24, exec_lo
	v_cmpx_gt_i32_e64 s34, v10
	s_cbranch_execnz .LBB13_169
.LBB13_163:
	s_or_b32 exec_lo, exec_lo, s24
                                        ; implicit-def: $vgpr8
                                        ; implicit-def: $vgpr10
	s_and_not1_saveexec_b32 s2, s29
	s_cbranch_execnz .LBB13_8
.LBB13_164:
	s_nop 0
	s_sendmsg sendmsg(MSG_DEALLOC_VGPRS)
	s_endpgm
.LBB13_165:
	s_mov_b32 s22, -1
                                        ; implicit-def: $vgpr2_vgpr3
.LBB13_166:
	s_delay_alu instid0(SALU_CYCLE_1)
	s_and_not1_b32 vcc_lo, exec_lo, s22
	s_cbranch_vccnz .LBB13_168
; %bb.167:
	s_waitcnt vmcnt(0)
	v_add_f64 v[2:3], v[4:5], v[4:5]
.LBB13_168:
	v_add_nc_u32_e32 v10, 0x80, v10
	global_store_b64 v0, v[2:3], s[4:5]
	s_or_b32 exec_lo, exec_lo, s37
	s_delay_alu instid0(SALU_CYCLE_1)
	s_mov_b32 s24, exec_lo
	v_cmpx_gt_i32_e64 s34, v10
	s_cbranch_execz .LBB13_163
.LBB13_169:
	s_and_not1_b32 vcc_lo, exec_lo, s28
	s_cbranch_vccnz .LBB13_174
; %bb.170:
	v_dual_mov_b32 v0, 0 :: v_dual_mov_b32 v1, 0
	s_and_not1_b32 vcc_lo, exec_lo, s36
	s_mov_b32 s25, 0
	s_cbranch_vccnz .LBB13_179
; %bb.171:
	v_mov_b32_e32 v0, 0
	s_add_i32 s35, s35, 1
	s_cmp_eq_u32 s27, 2
	s_mov_b32 s34, 0
	s_cbranch_scc1 .LBB13_175
; %bb.172:
	v_dual_mov_b32 v1, 0 :: v_dual_mov_b32 v0, 0
	v_mov_b32_e32 v2, v10
	s_and_b32 s34, s35, 28
	s_mov_b32 s36, 0
	s_mov_b64 s[22:23], s[0:1]
.LBB13_173:                             ; =>This Inner Loop Header: Depth=1
	s_clause 0x1
	s_load_b256 s[40:47], s[22:23], 0x4
	s_load_b128 s[56:59], s[22:23], 0x24
	s_load_b256 s[48:55], s[20:21], 0x0
	s_add_u32 s22, s22, 48
	s_addc_u32 s23, s23, 0
	s_add_i32 s36, s36, 4
	s_add_u32 s20, s20, 32
	s_addc_u32 s21, s21, 0
	s_cmp_eq_u32 s34, s36
	s_waitcnt lgkmcnt(0)
	v_mul_hi_u32 v3, s41, v2
	s_delay_alu instid0(VALU_DEP_1) | instskip(NEXT) | instid1(VALU_DEP_1)
	v_add_nc_u32_e32 v3, v2, v3
	v_lshrrev_b32_e32 v3, s42, v3
	s_waitcnt vmcnt(0)
	s_delay_alu instid0(VALU_DEP_1) | instskip(SKIP_1) | instid1(VALU_DEP_2)
	v_mul_hi_u32 v4, s44, v3
	v_mul_lo_u32 v6, v3, s40
	v_add_nc_u32_e32 v4, v3, v4
	s_delay_alu instid0(VALU_DEP_2) | instskip(NEXT) | instid1(VALU_DEP_2)
	v_sub_nc_u32_e32 v2, v2, v6
	v_lshrrev_b32_e32 v4, s45, v4
	s_delay_alu instid0(VALU_DEP_2) | instskip(SKIP_1) | instid1(VALU_DEP_3)
	v_mul_lo_u32 v6, v2, s48
	v_mul_lo_u32 v8, v2, s49
	v_mul_hi_u32 v5, s47, v4
	s_delay_alu instid0(VALU_DEP_1) | instskip(NEXT) | instid1(VALU_DEP_1)
	v_add_nc_u32_e32 v5, v4, v5
	v_lshrrev_b32_e32 v5, s56, v5
	s_delay_alu instid0(VALU_DEP_1) | instskip(SKIP_1) | instid1(VALU_DEP_2)
	v_mul_hi_u32 v7, s58, v5
	v_mul_lo_u32 v9, v5, s46
	v_add_nc_u32_e32 v2, v5, v7
	v_mul_lo_u32 v7, v4, s43
	s_delay_alu instid0(VALU_DEP_3) | instskip(NEXT) | instid1(VALU_DEP_3)
	v_sub_nc_u32_e32 v4, v4, v9
	v_lshrrev_b32_e32 v2, s59, v2
	s_delay_alu instid0(VALU_DEP_2) | instskip(SKIP_2) | instid1(VALU_DEP_4)
	v_mul_lo_u32 v9, v4, s52
	v_mul_lo_u32 v4, v4, s53
	v_sub_nc_u32_e32 v3, v3, v7
	v_mul_lo_u32 v11, v2, s57
	s_delay_alu instid0(VALU_DEP_2) | instskip(SKIP_1) | instid1(VALU_DEP_3)
	v_mul_lo_u32 v7, v3, s50
	v_mul_lo_u32 v3, v3, s51
	v_sub_nc_u32_e32 v5, v5, v11
	s_delay_alu instid0(VALU_DEP_3) | instskip(NEXT) | instid1(VALU_DEP_2)
	v_add3_u32 v0, v6, v0, v7
	v_mul_lo_u32 v11, v5, s54
	v_mul_lo_u32 v5, v5, s55
	v_add3_u32 v1, v8, v1, v3
	s_delay_alu instid0(VALU_DEP_3) | instskip(NEXT) | instid1(VALU_DEP_2)
	v_add3_u32 v0, v9, v0, v11
	v_add3_u32 v1, v4, v1, v5
	s_cbranch_scc0 .LBB13_173
	s_branch .LBB13_176
.LBB13_174:
	s_mov_b32 s25, -1
                                        ; implicit-def: $vgpr0
                                        ; implicit-def: $vgpr1
	s_branch .LBB13_179
.LBB13_175:
	v_dual_mov_b32 v2, v10 :: v_dual_mov_b32 v1, 0
.LBB13_176:
	s_and_b32 s35, s35, 3
	s_delay_alu instid0(SALU_CYCLE_1)
	s_cmp_eq_u32 s35, 0
	s_cbranch_scc1 .LBB13_179
; %bb.177:
	s_lshl_b32 s20, s34, 3
	s_mul_i32 s22, s34, 12
	s_add_u32 s20, s20, s0
	s_addc_u32 s21, s1, 0
	s_add_u32 s20, s20, 0xc4
	s_addc_u32 s21, s21, 0
	s_add_u32 s22, s0, s22
	s_addc_u32 s23, s1, 0
	.p2align	6
.LBB13_178:                             ; =>This Inner Loop Header: Depth=1
	s_clause 0x1
	s_load_b64 s[36:37], s[22:23], 0x4
	s_load_b32 s34, s[22:23], 0xc
	s_load_b64 s[38:39], s[20:21], 0x0
	s_add_u32 s22, s22, 12
	s_addc_u32 s23, s23, 0
	s_add_u32 s20, s20, 8
	s_addc_u32 s21, s21, 0
	s_add_i32 s35, s35, -1
	s_delay_alu instid0(SALU_CYCLE_1) | instskip(SKIP_2) | instid1(VALU_DEP_1)
	s_cmp_lg_u32 s35, 0
	s_waitcnt lgkmcnt(0)
	v_mul_hi_u32 v3, s37, v2
	v_add_nc_u32_e32 v3, v2, v3
	s_delay_alu instid0(VALU_DEP_1) | instskip(NEXT) | instid1(VALU_DEP_1)
	v_lshrrev_b32_e32 v6, s34, v3
	v_mul_lo_u32 v3, v6, s36
	s_delay_alu instid0(VALU_DEP_1) | instskip(SKIP_1) | instid1(VALU_DEP_1)
	v_sub_nc_u32_e32 v2, v2, v3
	s_waitcnt vmcnt(0)
	v_mad_u64_u32 v[3:4], null, v2, s38, v[0:1]
	v_mad_u64_u32 v[4:5], null, v2, s39, v[1:2]
	v_mov_b32_e32 v2, v6
	s_delay_alu instid0(VALU_DEP_2)
	v_dual_mov_b32 v0, v3 :: v_dual_mov_b32 v1, v4
	s_cbranch_scc1 .LBB13_178
.LBB13_179:
	s_and_not1_b32 vcc_lo, exec_lo, s25
	s_cbranch_vccnz .LBB13_182
; %bb.180:
	v_mul_hi_u32 v0, s13, v10
	s_and_not1_b32 vcc_lo, exec_lo, s33
	s_delay_alu instid0(VALU_DEP_1) | instskip(NEXT) | instid1(VALU_DEP_1)
	v_add_nc_u32_e32 v0, v10, v0
	v_lshrrev_b32_e32 v2, s14, v0
	s_delay_alu instid0(VALU_DEP_1) | instskip(NEXT) | instid1(VALU_DEP_1)
	v_mul_lo_u32 v0, v2, s12
	v_sub_nc_u32_e32 v1, v10, v0
	s_delay_alu instid0(VALU_DEP_1)
	v_mul_lo_u32 v0, v1, s8
	v_mul_lo_u32 v1, v1, s9
	s_cbranch_vccnz .LBB13_182
; %bb.181:
	v_mul_hi_u32 v3, s18, v2
	s_delay_alu instid0(VALU_DEP_1) | instskip(NEXT) | instid1(VALU_DEP_1)
	v_add_nc_u32_e32 v3, v2, v3
	v_lshrrev_b32_e32 v3, s19, v3
	s_delay_alu instid0(VALU_DEP_1) | instskip(SKIP_1) | instid1(VALU_DEP_1)
	v_mul_lo_u32 v3, v3, s15
	s_waitcnt vmcnt(0)
	v_sub_nc_u32_e32 v5, v2, v3
	s_delay_alu instid0(VALU_DEP_1) | instskip(NEXT) | instid1(VALU_DEP_1)
	v_mad_u64_u32 v[2:3], null, v5, s10, v[0:1]
	v_mad_u64_u32 v[3:4], null, v5, s11, v[1:2]
	s_delay_alu instid0(VALU_DEP_1)
	v_dual_mov_b32 v0, v2 :: v_dual_mov_b32 v1, v3
.LBB13_182:
	v_mov_b32_e32 v2, 0
	v_mov_b32_e32 v3, 0
	s_and_not1_b32 vcc_lo, exec_lo, s31
	s_cbranch_vccnz .LBB13_192
; %bb.183:
	v_cmp_lt_i64_e64 s8, s[16:17], 1
	v_mov_b32_e32 v2, 0
	v_mov_b32_e32 v3, 0x3ff00000
	s_delay_alu instid0(VALU_DEP_3)
	s_and_b32 vcc_lo, exec_lo, s8
	s_cbranch_vccnz .LBB13_192
; %bb.184:
	global_load_b64 v[4:5], v1, s[6:7]
	s_cmp_lg_u64 s[16:17], 1
	s_cbranch_scc0 .LBB13_189
; %bb.185:
	v_mov_b32_e32 v2, 0
	v_mov_b32_e32 v3, 0x7ff80000
	s_and_not1_b32 vcc_lo, exec_lo, s30
	s_cbranch_vccnz .LBB13_188
; %bb.186:
	s_waitcnt vmcnt(0)
	v_add_f64 v[6:7], v[4:5], v[4:5]
	v_mov_b32_e32 v8, 0
	v_mov_b32_e32 v9, 0x3ff00000
	s_mov_b64 s[6:7], 2
	s_delay_alu instid0(VALU_DEP_3)
	v_dual_mov_b32 v2, v6 :: v_dual_mov_b32 v3, v7
	.p2align	6
.LBB13_187:                             ; =>This Inner Loop Header: Depth=1
	v_cvt_f64_u32_e32 v[10:11], s7
	v_cvt_f64_u32_e32 v[12:13], s6
	s_add_u32 s6, s6, 2
	s_addc_u32 s7, s7, 0
	s_delay_alu instid0(SALU_CYCLE_1) | instskip(NEXT) | instid1(VALU_DEP_1)
	v_cmp_lt_u64_e64 s8, s[6:7], s[2:3]
	s_and_b32 vcc_lo, exec_lo, s8
	s_delay_alu instid0(VALU_DEP_3) | instskip(NEXT) | instid1(VALU_DEP_1)
	v_ldexp_f64 v[10:11], v[10:11], 32
	v_add_f64 v[10:11], v[10:11], v[12:13]
	s_delay_alu instid0(VALU_DEP_1) | instskip(SKIP_1) | instid1(VALU_DEP_1)
	v_mul_f64 v[8:9], v[8:9], v[10:11]
	v_dual_mov_b32 v11, v3 :: v_dual_mov_b32 v10, v2
	v_fma_f64 v[2:3], v[6:7], v[10:11], -v[8:9]
	v_dual_mov_b32 v8, v10 :: v_dual_mov_b32 v9, v11
	s_cbranch_vccnz .LBB13_187
.LBB13_188:
	s_mov_b32 s2, 0
	s_branch .LBB13_190
.LBB13_189:
	s_mov_b32 s2, -1
                                        ; implicit-def: $vgpr2_vgpr3
.LBB13_190:
	s_delay_alu instid0(SALU_CYCLE_1)
	s_and_not1_b32 vcc_lo, exec_lo, s2
	s_cbranch_vccnz .LBB13_192
; %bb.191:
	s_waitcnt vmcnt(0)
	v_add_f64 v[2:3], v[4:5], v[4:5]
.LBB13_192:
	global_store_b64 v0, v[2:3], s[4:5]
	s_or_b32 exec_lo, exec_lo, s24
                                        ; implicit-def: $vgpr8
                                        ; implicit-def: $vgpr10
	s_and_not1_saveexec_b32 s2, s29
	s_cbranch_execz .LBB13_164
	s_branch .LBB13_8
	.section	.rodata,"a",@progbits
	.p2align	6, 0x0
	.amdhsa_kernel _ZN2at6native32elementwise_kernel_manual_unrollILi128ELi4EZNS0_22gpu_kernel_impl_nocastINS0_13BUnaryFunctorIdddZZZNS0_12_GLOBAL__N_132hermite_polynomial_h_kernel_cudaERNS_18TensorIteratorBaseEENKUlvE_clEvENKUlvE_clEvEUlddE_EEEEvS6_RKT_EUlibE_EEviT1_
		.amdhsa_group_segment_fixed_size 0
		.amdhsa_private_segment_fixed_size 0
		.amdhsa_kernarg_size 368
		.amdhsa_user_sgpr_count 15
		.amdhsa_user_sgpr_dispatch_ptr 0
		.amdhsa_user_sgpr_queue_ptr 0
		.amdhsa_user_sgpr_kernarg_segment_ptr 1
		.amdhsa_user_sgpr_dispatch_id 0
		.amdhsa_user_sgpr_private_segment_size 0
		.amdhsa_wavefront_size32 1
		.amdhsa_uses_dynamic_stack 0
		.amdhsa_enable_private_segment 0
		.amdhsa_system_sgpr_workgroup_id_x 1
		.amdhsa_system_sgpr_workgroup_id_y 0
		.amdhsa_system_sgpr_workgroup_id_z 0
		.amdhsa_system_sgpr_workgroup_info 0
		.amdhsa_system_vgpr_workitem_id 0
		.amdhsa_next_free_vgpr 24
		.amdhsa_next_free_sgpr 64
		.amdhsa_reserve_vcc 1
		.amdhsa_float_round_mode_32 0
		.amdhsa_float_round_mode_16_64 0
		.amdhsa_float_denorm_mode_32 3
		.amdhsa_float_denorm_mode_16_64 3
		.amdhsa_dx10_clamp 1
		.amdhsa_ieee_mode 1
		.amdhsa_fp16_overflow 0
		.amdhsa_workgroup_processor_mode 1
		.amdhsa_memory_ordered 1
		.amdhsa_forward_progress 0
		.amdhsa_shared_vgpr_count 0
		.amdhsa_exception_fp_ieee_invalid_op 0
		.amdhsa_exception_fp_denorm_src 0
		.amdhsa_exception_fp_ieee_div_zero 0
		.amdhsa_exception_fp_ieee_overflow 0
		.amdhsa_exception_fp_ieee_underflow 0
		.amdhsa_exception_fp_ieee_inexact 0
		.amdhsa_exception_int_div_zero 0
	.end_amdhsa_kernel
	.section	.text._ZN2at6native32elementwise_kernel_manual_unrollILi128ELi4EZNS0_22gpu_kernel_impl_nocastINS0_13BUnaryFunctorIdddZZZNS0_12_GLOBAL__N_132hermite_polynomial_h_kernel_cudaERNS_18TensorIteratorBaseEENKUlvE_clEvENKUlvE_clEvEUlddE_EEEEvS6_RKT_EUlibE_EEviT1_,"axG",@progbits,_ZN2at6native32elementwise_kernel_manual_unrollILi128ELi4EZNS0_22gpu_kernel_impl_nocastINS0_13BUnaryFunctorIdddZZZNS0_12_GLOBAL__N_132hermite_polynomial_h_kernel_cudaERNS_18TensorIteratorBaseEENKUlvE_clEvENKUlvE_clEvEUlddE_EEEEvS6_RKT_EUlibE_EEviT1_,comdat
.Lfunc_end13:
	.size	_ZN2at6native32elementwise_kernel_manual_unrollILi128ELi4EZNS0_22gpu_kernel_impl_nocastINS0_13BUnaryFunctorIdddZZZNS0_12_GLOBAL__N_132hermite_polynomial_h_kernel_cudaERNS_18TensorIteratorBaseEENKUlvE_clEvENKUlvE_clEvEUlddE_EEEEvS6_RKT_EUlibE_EEviT1_, .Lfunc_end13-_ZN2at6native32elementwise_kernel_manual_unrollILi128ELi4EZNS0_22gpu_kernel_impl_nocastINS0_13BUnaryFunctorIdddZZZNS0_12_GLOBAL__N_132hermite_polynomial_h_kernel_cudaERNS_18TensorIteratorBaseEENKUlvE_clEvENKUlvE_clEvEUlddE_EEEEvS6_RKT_EUlibE_EEviT1_
                                        ; -- End function
	.section	.AMDGPU.csdata,"",@progbits
; Kernel info:
; codeLenInByte = 9028
; NumSgprs: 66
; NumVgprs: 24
; ScratchSize: 0
; MemoryBound: 0
; FloatMode: 240
; IeeeMode: 1
; LDSByteSize: 0 bytes/workgroup (compile time only)
; SGPRBlocks: 8
; VGPRBlocks: 2
; NumSGPRsForWavesPerEU: 66
; NumVGPRsForWavesPerEU: 24
; Occupancy: 16
; WaveLimiterHint : 1
; COMPUTE_PGM_RSRC2:SCRATCH_EN: 0
; COMPUTE_PGM_RSRC2:USER_SGPR: 15
; COMPUTE_PGM_RSRC2:TRAP_HANDLER: 0
; COMPUTE_PGM_RSRC2:TGID_X_EN: 1
; COMPUTE_PGM_RSRC2:TGID_Y_EN: 0
; COMPUTE_PGM_RSRC2:TGID_Z_EN: 0
; COMPUTE_PGM_RSRC2:TIDIG_COMP_CNT: 0
	.section	.text._ZN2at6native32elementwise_kernel_manual_unrollILi128ELi4EZNS0_15gpu_kernel_implINS0_13BUnaryFunctorIdddZZZNS0_12_GLOBAL__N_132hermite_polynomial_h_kernel_cudaERNS_18TensorIteratorBaseEENKUlvE_clEvENKUlvE_clEvEUlddE_EEEEvS6_RKT_EUlibE_EEviT1_,"axG",@progbits,_ZN2at6native32elementwise_kernel_manual_unrollILi128ELi4EZNS0_15gpu_kernel_implINS0_13BUnaryFunctorIdddZZZNS0_12_GLOBAL__N_132hermite_polynomial_h_kernel_cudaERNS_18TensorIteratorBaseEENKUlvE_clEvENKUlvE_clEvEUlddE_EEEEvS6_RKT_EUlibE_EEviT1_,comdat
	.globl	_ZN2at6native32elementwise_kernel_manual_unrollILi128ELi4EZNS0_15gpu_kernel_implINS0_13BUnaryFunctorIdddZZZNS0_12_GLOBAL__N_132hermite_polynomial_h_kernel_cudaERNS_18TensorIteratorBaseEENKUlvE_clEvENKUlvE_clEvEUlddE_EEEEvS6_RKT_EUlibE_EEviT1_ ; -- Begin function _ZN2at6native32elementwise_kernel_manual_unrollILi128ELi4EZNS0_15gpu_kernel_implINS0_13BUnaryFunctorIdddZZZNS0_12_GLOBAL__N_132hermite_polynomial_h_kernel_cudaERNS_18TensorIteratorBaseEENKUlvE_clEvENKUlvE_clEvEUlddE_EEEEvS6_RKT_EUlibE_EEviT1_
	.p2align	8
	.type	_ZN2at6native32elementwise_kernel_manual_unrollILi128ELi4EZNS0_15gpu_kernel_implINS0_13BUnaryFunctorIdddZZZNS0_12_GLOBAL__N_132hermite_polynomial_h_kernel_cudaERNS_18TensorIteratorBaseEENKUlvE_clEvENKUlvE_clEvEUlddE_EEEEvS6_RKT_EUlibE_EEviT1_,@function
_ZN2at6native32elementwise_kernel_manual_unrollILi128ELi4EZNS0_15gpu_kernel_implINS0_13BUnaryFunctorIdddZZZNS0_12_GLOBAL__N_132hermite_polynomial_h_kernel_cudaERNS_18TensorIteratorBaseEENKUlvE_clEvENKUlvE_clEvEUlddE_EEEEvS6_RKT_EUlibE_EEviT1_: ; @_ZN2at6native32elementwise_kernel_manual_unrollILi128ELi4EZNS0_15gpu_kernel_implINS0_13BUnaryFunctorIdddZZZNS0_12_GLOBAL__N_132hermite_polynomial_h_kernel_cudaERNS_18TensorIteratorBaseEENKUlvE_clEvENKUlvE_clEvEUlddE_EEEEvS6_RKT_EUlibE_EEviT1_
; %bb.0:
	s_clause 0x4
	s_load_b32 s14, s[0:1], 0x30
	s_load_b32 s19, s[0:1], 0x0
	s_load_b64 s[2:3], s[0:1], 0x18
	s_load_b64 s[8:9], s[0:1], 0x28
	s_load_b128 s[4:7], s[0:1], 0x8
	v_lshl_or_b32 v14, s15, 9, v0
	s_mov_b32 s15, 0
	s_mov_b32 s12, 0
	s_mov_b32 s0, exec_lo
	s_delay_alu instid0(VALU_DEP_1) | instskip(SKIP_2) | instid1(VALU_DEP_2)
	v_or_b32_e32 v0, 0x180, v14
	s_waitcnt lgkmcnt(0)
	v_lshrrev_b16 v12, 8, s14
	v_cmpx_le_i32_e64 s19, v0
	s_xor_b32 s16, exec_lo, s0
	s_cbranch_execz .LBB14_1072
; %bb.1:
	v_trunc_f64_e32 v[0:1], s[8:9]
	v_cmp_class_f64_e64 s0, s[8:9], 0x1f8
	s_mov_b32 s23, 0
	s_mov_b32 s21, 0
	;; [unrolled: 1-line block ×3, first 2 shown]
	s_mov_b32 s22, exec_lo
	s_delay_alu instid0(VALU_DEP_2) | instskip(NEXT) | instid1(VALU_DEP_2)
	v_ldexp_f64 v[2:3], v[0:1], 0xffffffe0
	s_and_b32 s0, s0, exec_lo
	s_delay_alu instid0(VALU_DEP_1) | instskip(NEXT) | instid1(VALU_DEP_1)
	v_floor_f64_e32 v[2:3], v[2:3]
	v_fma_f64 v[0:1], 0xc1f00000, v[2:3], v[0:1]
	v_cvt_i32_f64_e32 v2, v[2:3]
	s_delay_alu instid0(VALU_DEP_2) | instskip(NEXT) | instid1(VALU_DEP_2)
	v_cvt_u32_f64_e32 v0, v[0:1]
	v_readfirstlane_b32 s1, v2
	s_delay_alu instid0(VALU_DEP_1) | instskip(SKIP_1) | instid1(VALU_DEP_2)
	s_cselect_b32 s13, s1, -1
	s_mov_b32 s1, -1
	v_readfirstlane_b32 s10, v0
	s_delay_alu instid0(VALU_DEP_1) | instskip(NEXT) | instid1(SALU_CYCLE_1)
	s_cselect_b32 s12, s10, -1
	v_cmp_gt_i64_e64 s18, s[12:13], -1
	v_cmp_gt_u64_e64 s17, 0x201, s[12:13]
	s_lshl_b64 s[10:11], s[12:13], 1
	v_cmpx_gt_i32_e64 s19, v14
	s_cbranch_execz .LBB14_261
; %bb.2:
	v_mul_lo_u32 v0, v14, s3
	v_cmp_gt_i16_e32 vcc_lo, 11, v12
	s_delay_alu instid0(VALU_DEP_2) | instskip(SKIP_1) | instid1(VALU_DEP_1)
	v_ashrrev_i32_e32 v1, 31, v0
	v_add_co_u32 v0, s0, s6, v0
	v_add_co_ci_u32_e64 v1, s0, s7, v1, s0
	s_cbranch_vccnz .LBB14_9
; %bb.3:
	v_cmp_lt_i16_e32 vcc_lo, 25, v12
	s_cbranch_vccz .LBB14_18
; %bb.4:
	v_cmp_lt_i16_e32 vcc_lo, 28, v12
	s_cbranch_vccz .LBB14_19
	;; [unrolled: 3-line block ×4, first 2 shown]
; %bb.7:
	v_cmp_eq_u16_e32 vcc_lo, 46, v12
	s_mov_b32 s1, 0
	s_cbranch_vccz .LBB14_36
; %bb.8:
	global_load_b32 v2, v[0:1], off
	s_mov_b32 s0, -1
	s_waitcnt vmcnt(0)
	v_lshlrev_b32_e32 v2, 16, v2
	s_delay_alu instid0(VALU_DEP_1)
	v_cvt_f64_f32_e32 v[2:3], v2
	s_branch .LBB14_38
.LBB14_9:
	s_mov_b32 s0, 0
                                        ; implicit-def: $vgpr2_vgpr3
	s_and_b32 vcc_lo, exec_lo, s1
	s_cbranch_vccnz .LBB14_211
.LBB14_10:
	s_and_not1_b32 vcc_lo, exec_lo, s0
	s_cbranch_vccnz .LBB14_258
.LBB14_11:
	v_mov_b32_e32 v0, 0
	v_mov_b32_e32 v1, 0
	s_and_not1_b32 vcc_lo, exec_lo, s18
	s_cbranch_vccnz .LBB14_24
; %bb.12:
	v_cmp_lt_i64_e64 s0, s[12:13], 1
	v_mov_b32_e32 v0, 0
	v_mov_b32_e32 v1, 0x3ff00000
	s_delay_alu instid0(VALU_DEP_3)
	s_and_b32 vcc_lo, exec_lo, s0
	s_cbranch_vccnz .LBB14_24
; %bb.13:
	s_cmp_lg_u64 s[12:13], 1
	s_cbranch_scc0 .LBB14_21
; %bb.14:
	v_mov_b32_e32 v0, 0
	v_mov_b32_e32 v1, 0x7ff80000
	s_and_not1_b32 vcc_lo, exec_lo, s17
	s_cbranch_vccnz .LBB14_17
; %bb.15:
	s_waitcnt vmcnt(0)
	v_add_f64 v[4:5], v[2:3], v[2:3]
	v_mov_b32_e32 v6, 0
	v_mov_b32_e32 v7, 0x3ff00000
	s_mov_b64 s[0:1], 2
	s_delay_alu instid0(VALU_DEP_3)
	v_dual_mov_b32 v0, v4 :: v_dual_mov_b32 v1, v5
	.p2align	6
.LBB14_16:                              ; =>This Inner Loop Header: Depth=1
	v_cvt_f64_u32_e32 v[8:9], s1
	v_cvt_f64_u32_e32 v[10:11], s0
	s_add_u32 s0, s0, 2
	s_addc_u32 s1, s1, 0
	s_delay_alu instid0(SALU_CYCLE_1) | instskip(NEXT) | instid1(VALU_DEP_1)
	v_cmp_lt_u64_e64 s20, s[0:1], s[10:11]
	s_and_b32 vcc_lo, exec_lo, s20
	s_delay_alu instid0(VALU_DEP_3) | instskip(NEXT) | instid1(VALU_DEP_1)
	v_ldexp_f64 v[8:9], v[8:9], 32
	v_add_f64 v[8:9], v[8:9], v[10:11]
	s_delay_alu instid0(VALU_DEP_1) | instskip(SKIP_1) | instid1(VALU_DEP_1)
	v_mul_f64 v[6:7], v[6:7], v[8:9]
	v_dual_mov_b32 v9, v1 :: v_dual_mov_b32 v8, v0
	v_fma_f64 v[0:1], v[4:5], v[8:9], -v[6:7]
	v_dual_mov_b32 v6, v8 :: v_dual_mov_b32 v7, v9
	s_cbranch_vccnz .LBB14_16
.LBB14_17:
	s_mov_b32 s0, 0
	s_branch .LBB14_22
.LBB14_18:
	s_mov_b32 s0, 0
                                        ; implicit-def: $vgpr2_vgpr3
	s_and_b32 vcc_lo, exec_lo, s1
	s_cbranch_vccnz .LBB14_178
	s_branch .LBB14_210
.LBB14_19:
	s_mov_b32 s0, 0
                                        ; implicit-def: $vgpr2_vgpr3
	s_branch .LBB14_157
.LBB14_20:
	s_mov_b32 s0, 0
                                        ; implicit-def: $vgpr2_vgpr3
	s_branch .LBB14_152
.LBB14_21:
	s_mov_b32 s0, -1
                                        ; implicit-def: $vgpr0_vgpr1
.LBB14_22:
	s_delay_alu instid0(SALU_CYCLE_1)
	s_and_not1_b32 vcc_lo, exec_lo, s0
	s_cbranch_vccnz .LBB14_24
; %bb.23:
	s_waitcnt vmcnt(0)
	v_add_f64 v[0:1], v[2:3], v[2:3]
.LBB14_24:
	s_waitcnt vmcnt(0)
	v_mul_lo_u32 v2, v14, s2
	v_and_b32_e64 v6, 0xff, s14
	s_delay_alu instid0(VALU_DEP_1) | instskip(NEXT) | instid1(VALU_DEP_3)
	v_cmp_gt_i16_e32 vcc_lo, 11, v6
	v_ashrrev_i32_e32 v3, 31, v2
	v_add_co_u32 v4, s0, s4, v2
	s_delay_alu instid0(VALU_DEP_1)
	v_add_co_ci_u32_e64 v5, s0, s5, v3, s0
	s_cbranch_vccnz .LBB14_31
; %bb.25:
	v_cmp_lt_i16_e32 vcc_lo, 25, v6
	s_cbranch_vccz .LBB14_33
; %bb.26:
	v_cmp_lt_i16_e32 vcc_lo, 28, v6
	s_cbranch_vccz .LBB14_34
	;; [unrolled: 3-line block ×4, first 2 shown]
; %bb.29:
	v_cmp_eq_u16_e32 vcc_lo, 46, v6
	s_mov_b32 s20, 0
	s_mov_b32 s0, -1
	s_mov_b32 s1, 0
	s_cbranch_vccz .LBB14_42
; %bb.30:
	v_cvt_f32_f64_e32 v2, v[0:1]
	s_mov_b32 s1, -1
	s_mov_b32 s0, 0
	s_delay_alu instid0(VALU_DEP_1) | instskip(SKIP_1) | instid1(VALU_DEP_2)
	v_bfe_u32 v3, v2, 16, 1
	v_cmp_o_f32_e32 vcc_lo, v2, v2
	v_add3_u32 v3, v2, v3, 0x7fff
	s_delay_alu instid0(VALU_DEP_1) | instskip(NEXT) | instid1(VALU_DEP_1)
	v_lshrrev_b32_e32 v3, 16, v3
	v_cndmask_b32_e32 v2, 0x7fc0, v3, vcc_lo
	global_store_b32 v[4:5], v2, off
	s_branch .LBB14_42
.LBB14_31:
	s_mov_b32 s0, 0
	s_mov_b32 s1, 0
	s_cbranch_execnz .LBB14_111
.LBB14_32:
	s_and_not1_b32 vcc_lo, exec_lo, s1
	s_cbranch_vccnz .LBB14_259
	s_branch .LBB14_149
.LBB14_33:
	s_mov_b32 s20, -1
	s_mov_b32 s0, 0
	s_mov_b32 s1, 0
	s_branch .LBB14_69
.LBB14_34:
	s_mov_b32 s20, -1
	s_mov_b32 s0, 0
	s_mov_b32 s1, 0
	s_branch .LBB14_52
.LBB14_35:
	s_mov_b32 s20, -1
	s_mov_b32 s0, 0
	s_mov_b32 s1, 0
	s_branch .LBB14_48
.LBB14_36:
	s_mov_b32 s21, -1
.LBB14_37:
	s_mov_b32 s0, 0
                                        ; implicit-def: $vgpr2_vgpr3
.LBB14_38:
	s_and_b32 vcc_lo, exec_lo, s1
	s_cbranch_vccz .LBB14_151
; %bb.39:
	v_cmp_eq_u16_e32 vcc_lo, 44, v12
	s_cbranch_vccz .LBB14_150
; %bb.40:
	global_load_u8 v4, v[0:1], off
	s_mov_b32 s21, 0
	s_mov_b32 s0, -1
	s_waitcnt vmcnt(0)
	v_cmp_ne_u32_e32 vcc_lo, 0xff, v4
	v_lshlrev_b32_e32 v2, 23, v4
	s_delay_alu instid0(VALU_DEP_1) | instskip(NEXT) | instid1(VALU_DEP_1)
	v_cvt_f64_f32_e32 v[2:3], v2
	v_cndmask_b32_e32 v3, 0x7ff80000, v3, vcc_lo
	s_delay_alu instid0(VALU_DEP_2) | instskip(SKIP_1) | instid1(VALU_DEP_3)
	v_cndmask_b32_e32 v2, 0x20000000, v2, vcc_lo
	v_cmp_ne_u32_e32 vcc_lo, 0, v4
	v_cndmask_b32_e32 v3, 0x38000000, v3, vcc_lo
	s_delay_alu instid0(VALU_DEP_3)
	v_cndmask_b32_e32 v2, 0, v2, vcc_lo
	s_branch .LBB14_151
.LBB14_41:
	s_mov_b32 s20, -1
	s_mov_b32 s0, 0
	s_mov_b32 s1, 0
.LBB14_42:
	s_and_b32 vcc_lo, exec_lo, s20
	s_cbranch_vccz .LBB14_47
; %bb.43:
	v_cmp_eq_u16_e32 vcc_lo, 44, v6
	s_mov_b32 s0, -1
	s_cbranch_vccz .LBB14_47
; %bb.44:
	v_cvt_f32_f64_e32 v2, v[0:1]
	v_mov_b32_e32 v3, 0xff
	s_mov_b32 s1, exec_lo
	s_delay_alu instid0(VALU_DEP_2) | instskip(NEXT) | instid1(VALU_DEP_1)
	v_bfe_u32 v7, v2, 23, 8
	v_cmpx_ne_u32_e32 0xff, v7
; %bb.45:
	v_and_b32_e32 v3, 0x400000, v2
	v_and_or_b32 v7, 0x3fffff, v2, v7
	v_lshrrev_b32_e32 v2, 23, v2
	s_delay_alu instid0(VALU_DEP_3) | instskip(NEXT) | instid1(VALU_DEP_3)
	v_cmp_ne_u32_e32 vcc_lo, 0, v3
	v_cmp_ne_u32_e64 s0, 0, v7
	s_delay_alu instid0(VALU_DEP_1) | instskip(NEXT) | instid1(SALU_CYCLE_1)
	s_and_b32 s0, vcc_lo, s0
	v_cndmask_b32_e64 v3, 0, 1, s0
	s_delay_alu instid0(VALU_DEP_1)
	v_add_nc_u32_e32 v3, v2, v3
; %bb.46:
	s_or_b32 exec_lo, exec_lo, s1
	s_mov_b32 s1, -1
	s_mov_b32 s0, 0
	global_store_b8 v[4:5], v3, off
.LBB14_47:
	s_mov_b32 s20, 0
.LBB14_48:
	s_delay_alu instid0(SALU_CYCLE_1)
	s_and_b32 vcc_lo, exec_lo, s20
	s_cbranch_vccz .LBB14_51
; %bb.49:
	v_cmp_eq_u16_e32 vcc_lo, 29, v6
	s_mov_b32 s0, -1
	s_cbranch_vccz .LBB14_51
; %bb.50:
	v_trunc_f64_e32 v[2:3], v[0:1]
	s_mov_b32 s1, -1
	s_mov_b32 s0, 0
	s_mov_b32 s20, 0
	s_delay_alu instid0(VALU_DEP_1) | instskip(NEXT) | instid1(VALU_DEP_1)
	v_ldexp_f64 v[7:8], v[2:3], 0xffffffe0
	v_floor_f64_e32 v[7:8], v[7:8]
	s_delay_alu instid0(VALU_DEP_1) | instskip(SKIP_1) | instid1(VALU_DEP_2)
	v_fma_f64 v[2:3], 0xc1f00000, v[7:8], v[2:3]
	v_cvt_u32_f64_e32 v8, v[7:8]
	v_cvt_u32_f64_e32 v7, v[2:3]
	global_store_b64 v[4:5], v[7:8], off
	s_branch .LBB14_52
.LBB14_51:
	s_mov_b32 s20, 0
.LBB14_52:
	s_delay_alu instid0(SALU_CYCLE_1)
	s_and_b32 vcc_lo, exec_lo, s20
	s_cbranch_vccz .LBB14_68
; %bb.53:
	v_cmp_gt_i16_e32 vcc_lo, 27, v6
	s_mov_b32 s1, -1
	s_cbranch_vccnz .LBB14_59
; %bb.54:
	v_cmp_lt_i16_e32 vcc_lo, 27, v6
	s_cbranch_vccz .LBB14_56
; %bb.55:
	v_cvt_u32_f64_e32 v2, v[0:1]
	s_mov_b32 s1, 0
	global_store_b32 v[4:5], v2, off
.LBB14_56:
	s_and_not1_b32 vcc_lo, exec_lo, s1
	s_cbranch_vccnz .LBB14_58
; %bb.57:
	v_cvt_u32_f64_e32 v2, v[0:1]
	global_store_b16 v[4:5], v2, off
.LBB14_58:
	s_mov_b32 s1, 0
.LBB14_59:
	s_delay_alu instid0(SALU_CYCLE_1)
	s_and_not1_b32 vcc_lo, exec_lo, s1
	s_cbranch_vccnz .LBB14_67
; %bb.60:
	v_cvt_f32_f64_e32 v2, v[0:1]
	v_mov_b32_e32 v7, 0x80
	s_mov_b32 s1, exec_lo
	s_delay_alu instid0(VALU_DEP_2) | instskip(NEXT) | instid1(VALU_DEP_1)
	v_and_b32_e32 v3, 0x7fffffff, v2
	v_cmpx_gt_u32_e32 0x43800000, v3
	s_cbranch_execz .LBB14_66
; %bb.61:
	v_cmp_lt_u32_e32 vcc_lo, 0x3bffffff, v3
	s_mov_b32 s20, 0
                                        ; implicit-def: $vgpr3
	s_and_saveexec_b32 s24, vcc_lo
	s_delay_alu instid0(SALU_CYCLE_1)
	s_xor_b32 s24, exec_lo, s24
	s_cbranch_execz .LBB14_295
; %bb.62:
	v_bfe_u32 v3, v2, 20, 1
	s_mov_b32 s20, exec_lo
	s_delay_alu instid0(VALU_DEP_1) | instskip(NEXT) | instid1(VALU_DEP_1)
	v_add3_u32 v3, v2, v3, 0x487ffff
	v_lshrrev_b32_e32 v3, 20, v3
	s_or_saveexec_b32 s24, s24
                                        ; implicit-def: $sgpr25
	s_delay_alu instid0(SALU_CYCLE_1)
	s_xor_b32 exec_lo, exec_lo, s24
	s_cbranch_execnz .LBB14_296
.LBB14_63:
	s_or_b32 exec_lo, exec_lo, s24
	v_mov_b32_e32 v7, s25
	s_and_saveexec_b32 s24, s20
.LBB14_64:
	v_lshrrev_b32_e32 v2, 24, v2
	s_delay_alu instid0(VALU_DEP_1)
	v_and_or_b32 v7, 0x80, v2, v3
.LBB14_65:
	s_or_b32 exec_lo, exec_lo, s24
.LBB14_66:
	s_delay_alu instid0(SALU_CYCLE_1)
	s_or_b32 exec_lo, exec_lo, s1
	global_store_b8 v[4:5], v7, off
.LBB14_67:
	s_mov_b32 s1, -1
.LBB14_68:
	s_mov_b32 s20, 0
.LBB14_69:
	s_delay_alu instid0(SALU_CYCLE_1)
	s_and_b32 vcc_lo, exec_lo, s20
	s_cbranch_vccz .LBB14_110
; %bb.70:
	v_cmp_lt_i16_e32 vcc_lo, 22, v6
	s_mov_b32 s20, -1
	s_cbranch_vccz .LBB14_102
; %bb.71:
	v_cmp_gt_i16_e32 vcc_lo, 24, v6
	s_mov_b32 s1, -1
	s_cbranch_vccnz .LBB14_91
; %bb.72:
	v_cmp_lt_i16_e32 vcc_lo, 24, v6
	s_cbranch_vccz .LBB14_80
; %bb.73:
	v_cvt_f32_f64_e32 v2, v[0:1]
	v_mov_b32_e32 v7, 0x80
	s_mov_b32 s1, exec_lo
	s_delay_alu instid0(VALU_DEP_2) | instskip(NEXT) | instid1(VALU_DEP_1)
	v_and_b32_e32 v3, 0x7fffffff, v2
	v_cmpx_gt_u32_e32 0x47800000, v3
	s_cbranch_execz .LBB14_79
; %bb.74:
	v_cmp_lt_u32_e32 vcc_lo, 0x37ffffff, v3
	s_mov_b32 s20, 0
                                        ; implicit-def: $vgpr3
	s_and_saveexec_b32 s24, vcc_lo
	s_delay_alu instid0(SALU_CYCLE_1)
	s_xor_b32 s24, exec_lo, s24
	s_cbranch_execz .LBB14_299
; %bb.75:
	v_bfe_u32 v3, v2, 21, 1
	s_mov_b32 s20, exec_lo
	s_delay_alu instid0(VALU_DEP_1) | instskip(NEXT) | instid1(VALU_DEP_1)
	v_add3_u32 v3, v2, v3, 0x88fffff
	v_lshrrev_b32_e32 v3, 21, v3
	s_or_saveexec_b32 s24, s24
                                        ; implicit-def: $sgpr25
	s_delay_alu instid0(SALU_CYCLE_1)
	s_xor_b32 exec_lo, exec_lo, s24
	s_cbranch_execnz .LBB14_300
.LBB14_76:
	s_or_b32 exec_lo, exec_lo, s24
	v_mov_b32_e32 v7, s25
	s_and_saveexec_b32 s24, s20
.LBB14_77:
	v_lshrrev_b32_e32 v2, 24, v2
	s_delay_alu instid0(VALU_DEP_1)
	v_and_or_b32 v7, 0x80, v2, v3
.LBB14_78:
	s_or_b32 exec_lo, exec_lo, s24
.LBB14_79:
	s_delay_alu instid0(SALU_CYCLE_1)
	s_or_b32 exec_lo, exec_lo, s1
	s_mov_b32 s1, 0
	global_store_b8 v[4:5], v7, off
.LBB14_80:
	s_and_b32 vcc_lo, exec_lo, s1
	s_cbranch_vccz .LBB14_90
; %bb.81:
	v_cvt_f32_f64_e32 v2, v[0:1]
	s_mov_b32 s1, exec_lo
                                        ; implicit-def: $vgpr3
	s_delay_alu instid0(VALU_DEP_1) | instskip(NEXT) | instid1(VALU_DEP_1)
	v_and_b32_e32 v7, 0x7fffffff, v2
	v_cmpx_gt_u32_e32 0x43f00000, v7
	s_xor_b32 s1, exec_lo, s1
	s_cbranch_execz .LBB14_87
; %bb.82:
	s_mov_b32 s20, exec_lo
                                        ; implicit-def: $vgpr3
	v_cmpx_lt_u32_e32 0x3c7fffff, v7
	s_xor_b32 s20, exec_lo, s20
; %bb.83:
	v_bfe_u32 v3, v2, 20, 1
	s_delay_alu instid0(VALU_DEP_1) | instskip(NEXT) | instid1(VALU_DEP_1)
	v_add3_u32 v3, v2, v3, 0x407ffff
	v_and_b32_e32 v7, 0xff00000, v3
	v_lshrrev_b32_e32 v3, 20, v3
	s_delay_alu instid0(VALU_DEP_2) | instskip(NEXT) | instid1(VALU_DEP_2)
	v_cmp_ne_u32_e32 vcc_lo, 0x7f00000, v7
	v_cndmask_b32_e32 v3, 0x7e, v3, vcc_lo
; %bb.84:
	s_and_not1_saveexec_b32 s20, s20
; %bb.85:
	v_add_f32_e64 v3, 0x46800000, |v2|
; %bb.86:
	s_or_b32 exec_lo, exec_lo, s20
                                        ; implicit-def: $vgpr7
.LBB14_87:
	s_and_not1_saveexec_b32 s1, s1
; %bb.88:
	v_mov_b32_e32 v3, 0x7f
	v_cmp_lt_u32_e32 vcc_lo, 0x7f800000, v7
	s_delay_alu instid0(VALU_DEP_2)
	v_cndmask_b32_e32 v3, 0x7e, v3, vcc_lo
; %bb.89:
	s_or_b32 exec_lo, exec_lo, s1
	v_lshrrev_b32_e32 v2, 24, v2
	s_delay_alu instid0(VALU_DEP_1)
	v_and_or_b32 v2, 0x80, v2, v3
	global_store_b8 v[4:5], v2, off
.LBB14_90:
	s_mov_b32 s1, 0
.LBB14_91:
	s_delay_alu instid0(SALU_CYCLE_1)
	s_and_not1_b32 vcc_lo, exec_lo, s1
	s_cbranch_vccnz .LBB14_101
; %bb.92:
	v_cvt_f32_f64_e32 v2, v[0:1]
	s_mov_b32 s1, exec_lo
                                        ; implicit-def: $vgpr3
	s_delay_alu instid0(VALU_DEP_1) | instskip(NEXT) | instid1(VALU_DEP_1)
	v_and_b32_e32 v7, 0x7fffffff, v2
	v_cmpx_gt_u32_e32 0x47800000, v7
	s_xor_b32 s1, exec_lo, s1
	s_cbranch_execz .LBB14_98
; %bb.93:
	s_mov_b32 s20, exec_lo
                                        ; implicit-def: $vgpr3
	v_cmpx_lt_u32_e32 0x387fffff, v7
	s_xor_b32 s20, exec_lo, s20
; %bb.94:
	v_bfe_u32 v3, v2, 21, 1
	s_delay_alu instid0(VALU_DEP_1) | instskip(NEXT) | instid1(VALU_DEP_1)
	v_add3_u32 v3, v2, v3, 0x80fffff
	v_lshrrev_b32_e32 v3, 21, v3
; %bb.95:
	s_and_not1_saveexec_b32 s20, s20
; %bb.96:
	v_add_f32_e64 v3, 0x43000000, |v2|
; %bb.97:
	s_or_b32 exec_lo, exec_lo, s20
                                        ; implicit-def: $vgpr7
.LBB14_98:
	s_and_not1_saveexec_b32 s1, s1
; %bb.99:
	v_mov_b32_e32 v3, 0x7f
	v_cmp_lt_u32_e32 vcc_lo, 0x7f800000, v7
	s_delay_alu instid0(VALU_DEP_2)
	v_cndmask_b32_e32 v3, 0x7c, v3, vcc_lo
; %bb.100:
	s_or_b32 exec_lo, exec_lo, s1
	v_lshrrev_b32_e32 v2, 24, v2
	s_delay_alu instid0(VALU_DEP_1)
	v_and_or_b32 v2, 0x80, v2, v3
	global_store_b8 v[4:5], v2, off
.LBB14_101:
	s_mov_b32 s20, 0
	s_mov_b32 s1, -1
.LBB14_102:
	s_and_not1_b32 vcc_lo, exec_lo, s20
	s_cbranch_vccnz .LBB14_110
; %bb.103:
	v_cmp_lt_i16_e32 vcc_lo, 14, v6
	s_mov_b32 s20, -1
	s_cbranch_vccz .LBB14_107
; %bb.104:
	v_cmp_eq_u16_e32 vcc_lo, 15, v6
	s_mov_b32 s0, -1
	s_cbranch_vccz .LBB14_106
; %bb.105:
	v_cvt_f32_f64_e32 v2, v[0:1]
	s_mov_b32 s1, -1
	s_mov_b32 s0, 0
	s_delay_alu instid0(VALU_DEP_1) | instskip(SKIP_1) | instid1(VALU_DEP_2)
	v_bfe_u32 v3, v2, 16, 1
	v_cmp_o_f32_e32 vcc_lo, v2, v2
	v_add3_u32 v3, v2, v3, 0x7fff
	s_delay_alu instid0(VALU_DEP_1) | instskip(NEXT) | instid1(VALU_DEP_1)
	v_lshrrev_b32_e32 v3, 16, v3
	v_cndmask_b32_e32 v2, 0x7fc0, v3, vcc_lo
	global_store_b16 v[4:5], v2, off
.LBB14_106:
	s_mov_b32 s20, 0
.LBB14_107:
	s_delay_alu instid0(SALU_CYCLE_1)
	s_and_b32 vcc_lo, exec_lo, s20
	s_cbranch_vccz .LBB14_110
; %bb.108:
	v_cmp_eq_u16_e32 vcc_lo, 11, v6
	s_mov_b32 s0, -1
	s_cbranch_vccz .LBB14_110
; %bb.109:
	v_cmp_neq_f64_e32 vcc_lo, 0, v[0:1]
	s_mov_b32 s1, -1
	s_mov_b32 s0, 0
	v_cndmask_b32_e64 v2, 0, 1, vcc_lo
	global_store_b8 v[4:5], v2, off
.LBB14_110:
	s_branch .LBB14_32
.LBB14_111:
	v_cmp_gt_i16_e32 vcc_lo, 5, v6
	s_mov_b32 s1, -1
	s_cbranch_vccnz .LBB14_132
; %bb.112:
	v_cmp_gt_i16_e32 vcc_lo, 8, v6
	s_cbranch_vccnz .LBB14_122
; %bb.113:
	v_cmp_gt_i16_e32 vcc_lo, 9, v6
	s_cbranch_vccnz .LBB14_119
; %bb.114:
	v_cmp_lt_i16_e32 vcc_lo, 9, v6
	s_cbranch_vccz .LBB14_116
; %bb.115:
	v_mov_b32_e32 v2, 0
	s_mov_b32 s1, 0
	s_delay_alu instid0(VALU_DEP_1)
	v_mov_b32_e32 v3, v2
	global_store_b128 v[4:5], v[0:3], off
.LBB14_116:
	s_and_not1_b32 vcc_lo, exec_lo, s1
	s_cbranch_vccnz .LBB14_118
; %bb.117:
	v_cvt_f32_f64_e32 v2, v[0:1]
	v_mov_b32_e32 v3, 0
	global_store_b64 v[4:5], v[2:3], off
.LBB14_118:
	s_mov_b32 s1, 0
.LBB14_119:
	s_delay_alu instid0(SALU_CYCLE_1)
	s_and_not1_b32 vcc_lo, exec_lo, s1
	s_cbranch_vccnz .LBB14_121
; %bb.120:
	v_cvt_f32_f64_e32 v2, v[0:1]
	s_delay_alu instid0(VALU_DEP_1) | instskip(NEXT) | instid1(VALU_DEP_1)
	v_cvt_f16_f32_e32 v2, v2
	v_and_b32_e32 v2, 0xffff, v2
	global_store_b32 v[4:5], v2, off
.LBB14_121:
	s_mov_b32 s1, 0
.LBB14_122:
	s_delay_alu instid0(SALU_CYCLE_1)
	s_and_not1_b32 vcc_lo, exec_lo, s1
	s_cbranch_vccnz .LBB14_131
; %bb.123:
	v_cmp_gt_i16_e32 vcc_lo, 6, v6
	s_mov_b32 s1, -1
	s_cbranch_vccnz .LBB14_129
; %bb.124:
	v_cmp_lt_i16_e32 vcc_lo, 6, v6
	s_cbranch_vccz .LBB14_126
; %bb.125:
	s_mov_b32 s1, 0
	global_store_b64 v[4:5], v[0:1], off
.LBB14_126:
	s_and_not1_b32 vcc_lo, exec_lo, s1
	s_cbranch_vccnz .LBB14_128
; %bb.127:
	v_cvt_f32_f64_e32 v2, v[0:1]
	global_store_b32 v[4:5], v2, off
.LBB14_128:
	s_mov_b32 s1, 0
.LBB14_129:
	s_delay_alu instid0(SALU_CYCLE_1)
	s_and_not1_b32 vcc_lo, exec_lo, s1
	s_cbranch_vccnz .LBB14_131
; %bb.130:
	v_cvt_f32_f64_e32 v2, v[0:1]
	s_delay_alu instid0(VALU_DEP_1)
	v_cvt_f16_f32_e32 v2, v2
	global_store_b16 v[4:5], v2, off
.LBB14_131:
	s_mov_b32 s1, 0
.LBB14_132:
	s_delay_alu instid0(SALU_CYCLE_1)
	s_and_not1_b32 vcc_lo, exec_lo, s1
	s_cbranch_vccnz .LBB14_148
; %bb.133:
	v_cmp_gt_i16_e32 vcc_lo, 2, v6
	s_mov_b32 s1, -1
	s_cbranch_vccnz .LBB14_143
; %bb.134:
	v_cmp_gt_i16_e32 vcc_lo, 3, v6
	s_cbranch_vccnz .LBB14_140
; %bb.135:
	v_cmp_lt_i16_e32 vcc_lo, 3, v6
	s_cbranch_vccz .LBB14_137
; %bb.136:
	v_trunc_f64_e32 v[2:3], v[0:1]
	s_mov_b32 s1, 0
	s_delay_alu instid0(VALU_DEP_1) | instskip(NEXT) | instid1(VALU_DEP_1)
	v_ldexp_f64 v[7:8], v[2:3], 0xffffffe0
	v_floor_f64_e32 v[7:8], v[7:8]
	s_delay_alu instid0(VALU_DEP_1) | instskip(SKIP_1) | instid1(VALU_DEP_2)
	v_fma_f64 v[2:3], 0xc1f00000, v[7:8], v[2:3]
	v_cvt_i32_f64_e32 v8, v[7:8]
	v_cvt_u32_f64_e32 v7, v[2:3]
	global_store_b64 v[4:5], v[7:8], off
.LBB14_137:
	s_and_not1_b32 vcc_lo, exec_lo, s1
	s_cbranch_vccnz .LBB14_139
; %bb.138:
	v_cvt_i32_f64_e32 v2, v[0:1]
	global_store_b32 v[4:5], v2, off
.LBB14_139:
	s_mov_b32 s1, 0
.LBB14_140:
	s_delay_alu instid0(SALU_CYCLE_1)
	s_and_not1_b32 vcc_lo, exec_lo, s1
	s_cbranch_vccnz .LBB14_142
; %bb.141:
	v_cvt_i32_f64_e32 v2, v[0:1]
	global_store_b16 v[4:5], v2, off
.LBB14_142:
	s_mov_b32 s1, 0
.LBB14_143:
	s_delay_alu instid0(SALU_CYCLE_1)
	s_and_not1_b32 vcc_lo, exec_lo, s1
	s_cbranch_vccnz .LBB14_148
; %bb.144:
	v_cmp_lt_i16_e32 vcc_lo, 0, v6
	s_mov_b32 s1, -1
	s_cbranch_vccz .LBB14_146
; %bb.145:
	v_cvt_i32_f64_e32 v2, v[0:1]
	s_mov_b32 s1, 0
	global_store_b8 v[4:5], v2, off
.LBB14_146:
	s_and_not1_b32 vcc_lo, exec_lo, s1
	s_cbranch_vccnz .LBB14_148
; %bb.147:
	v_trunc_f64_e32 v[0:1], v[0:1]
	s_delay_alu instid0(VALU_DEP_1) | instskip(NEXT) | instid1(VALU_DEP_1)
	v_ldexp_f64 v[2:3], v[0:1], 0xffffffe0
	v_floor_f64_e32 v[2:3], v[2:3]
	s_delay_alu instid0(VALU_DEP_1) | instskip(NEXT) | instid1(VALU_DEP_1)
	v_fma_f64 v[0:1], 0xc1f00000, v[2:3], v[0:1]
	v_cvt_u32_f64_e32 v0, v[0:1]
	global_store_b8 v[4:5], v0, off
.LBB14_148:
.LBB14_149:
	v_add_nc_u32_e32 v14, 0x80, v14
	s_mov_b32 s1, -1
	s_branch .LBB14_260
.LBB14_150:
	s_mov_b32 s21, -1
                                        ; implicit-def: $vgpr2_vgpr3
.LBB14_151:
	s_mov_b32 s1, 0
.LBB14_152:
	s_delay_alu instid0(SALU_CYCLE_1)
	s_and_b32 vcc_lo, exec_lo, s1
	s_cbranch_vccz .LBB14_156
; %bb.153:
	v_cmp_eq_u16_e32 vcc_lo, 29, v12
	s_cbranch_vccz .LBB14_155
; %bb.154:
	global_load_b64 v[2:3], v[0:1], off
	s_mov_b32 s0, -1
	s_mov_b32 s21, 0
	s_mov_b32 s1, 0
	s_waitcnt vmcnt(0)
	v_cvt_f64_u32_e32 v[3:4], v3
	v_cvt_f64_u32_e32 v[5:6], v2
	s_delay_alu instid0(VALU_DEP_2) | instskip(NEXT) | instid1(VALU_DEP_1)
	v_ldexp_f64 v[3:4], v[3:4], 32
	v_add_f64 v[2:3], v[3:4], v[5:6]
	s_branch .LBB14_157
.LBB14_155:
	s_mov_b32 s21, -1
                                        ; implicit-def: $vgpr2_vgpr3
.LBB14_156:
	s_mov_b32 s1, 0
.LBB14_157:
	s_delay_alu instid0(SALU_CYCLE_1)
	s_and_b32 vcc_lo, exec_lo, s1
	s_cbranch_vccz .LBB14_177
; %bb.158:
	v_cmp_gt_i16_e32 vcc_lo, 27, v12
	s_cbranch_vccnz .LBB14_161
; %bb.159:
	v_cmp_lt_i16_e32 vcc_lo, 27, v12
	s_cbranch_vccz .LBB14_162
; %bb.160:
	global_load_b32 v2, v[0:1], off
	s_mov_b32 s0, 0
	s_waitcnt vmcnt(0)
	v_cvt_f64_u32_e32 v[2:3], v2
	s_branch .LBB14_163
.LBB14_161:
	s_mov_b32 s0, -1
                                        ; implicit-def: $vgpr2_vgpr3
	s_branch .LBB14_166
.LBB14_162:
	s_mov_b32 s0, -1
                                        ; implicit-def: $vgpr2_vgpr3
.LBB14_163:
	s_delay_alu instid0(SALU_CYCLE_1)
	s_and_not1_b32 vcc_lo, exec_lo, s0
	s_cbranch_vccnz .LBB14_165
; %bb.164:
	global_load_u16 v2, v[0:1], off
	s_waitcnt vmcnt(0)
	v_cvt_f64_u32_e32 v[2:3], v2
.LBB14_165:
	s_mov_b32 s0, 0
.LBB14_166:
	s_delay_alu instid0(SALU_CYCLE_1)
	s_and_not1_b32 vcc_lo, exec_lo, s0
	s_cbranch_vccnz .LBB14_176
; %bb.167:
	global_load_u8 v4, v[0:1], off
	s_mov_b32 s24, exec_lo
                                        ; implicit-def: $sgpr0_sgpr1
	s_waitcnt vmcnt(0)
	v_cmpx_lt_i16_e32 0x7f, v4
	s_xor_b32 s24, exec_lo, s24
	s_cbranch_execz .LBB14_171
; %bb.168:
	s_mov_b32 s25, -1
	s_mov_b32 s20, exec_lo
                                        ; implicit-def: $sgpr0_sgpr1
	v_cmpx_eq_u16_e32 0x80, v4
; %bb.169:
	s_mov_b32 s1, 0x7ff80000
	s_brev_b32 s0, 4
	s_xor_b32 s25, exec_lo, -1
; %bb.170:
	s_or_b32 exec_lo, exec_lo, s20
	s_delay_alu instid0(SALU_CYCLE_1)
	s_and_b32 s20, s25, exec_lo
.LBB14_171:
	s_or_saveexec_b32 s24, s24
	v_dual_mov_b32 v3, s1 :: v_dual_mov_b32 v2, s0
	s_xor_b32 exec_lo, exec_lo, s24
; %bb.172:
	v_cmp_ne_u16_e32 vcc_lo, 0, v4
	v_mov_b32_e32 v2, 0
	v_mov_b32_e32 v3, 0
	s_and_not1_b32 s0, s20, exec_lo
	s_and_b32 s1, vcc_lo, exec_lo
	s_delay_alu instid0(SALU_CYCLE_1)
	s_or_b32 s20, s0, s1
; %bb.173:
	s_or_b32 exec_lo, exec_lo, s24
	s_and_saveexec_b32 s0, s20
	s_cbranch_execz .LBB14_175
; %bb.174:
	v_and_b32_e32 v2, 0xffff, v4
	v_lshlrev_b32_e32 v4, 24, v4
	s_delay_alu instid0(VALU_DEP_2) | instskip(NEXT) | instid1(VALU_DEP_2)
	v_and_b32_e32 v3, 7, v2
	v_and_b32_e32 v4, 0x80000000, v4
	s_delay_alu instid0(VALU_DEP_2) | instskip(NEXT) | instid1(VALU_DEP_1)
	v_clz_i32_u32_e32 v5, v3
	v_min_u32_e32 v5, 32, v5
	s_delay_alu instid0(VALU_DEP_1) | instskip(SKIP_1) | instid1(VALU_DEP_2)
	v_subrev_nc_u32_e32 v6, 28, v5
	v_sub_nc_u32_e32 v5, 29, v5
	v_lshlrev_b32_e32 v6, v6, v2
	v_bfe_u32 v2, v2, 3, 4
	s_delay_alu instid0(VALU_DEP_2) | instskip(NEXT) | instid1(VALU_DEP_2)
	v_and_b32_e32 v6, 7, v6
	v_cmp_eq_u32_e32 vcc_lo, 0, v2
	s_delay_alu instid0(VALU_DEP_2) | instskip(NEXT) | instid1(VALU_DEP_1)
	v_dual_cndmask_b32 v2, v2, v5 :: v_dual_cndmask_b32 v3, v3, v6
	v_lshl_add_u32 v2, v2, 23, 0x3b800000
	s_delay_alu instid0(VALU_DEP_2) | instskip(NEXT) | instid1(VALU_DEP_1)
	v_lshlrev_b32_e32 v3, 20, v3
	v_or3_b32 v2, v4, v2, v3
	s_delay_alu instid0(VALU_DEP_1)
	v_cvt_f64_f32_e32 v[2:3], v2
.LBB14_175:
	s_or_b32 exec_lo, exec_lo, s0
.LBB14_176:
	s_mov_b32 s0, -1
.LBB14_177:
	s_branch .LBB14_210
.LBB14_178:
	v_cmp_lt_i16_e32 vcc_lo, 22, v12
	s_cbranch_vccz .LBB14_190
; %bb.179:
	v_cmp_gt_i16_e32 vcc_lo, 24, v12
	s_cbranch_vccnz .LBB14_191
; %bb.180:
	v_cmp_lt_i16_e32 vcc_lo, 24, v12
	s_cbranch_vccz .LBB14_192
; %bb.181:
	global_load_u8 v4, v[0:1], off
	s_mov_b32 s20, 0
	s_mov_b32 s24, exec_lo
                                        ; implicit-def: $sgpr0_sgpr1
	s_waitcnt vmcnt(0)
	v_cmpx_lt_i16_e32 0x7f, v4
	s_xor_b32 s24, exec_lo, s24
	s_cbranch_execz .LBB14_185
; %bb.182:
	s_mov_b32 s25, -1
	s_mov_b32 s20, exec_lo
                                        ; implicit-def: $sgpr0_sgpr1
	v_cmpx_eq_u16_e32 0x80, v4
; %bb.183:
	s_mov_b32 s1, 0x7ff80000
	s_brev_b32 s0, 4
	s_xor_b32 s25, exec_lo, -1
; %bb.184:
	s_or_b32 exec_lo, exec_lo, s20
	s_delay_alu instid0(SALU_CYCLE_1)
	s_and_b32 s20, s25, exec_lo
.LBB14_185:
	s_or_saveexec_b32 s24, s24
	v_dual_mov_b32 v3, s1 :: v_dual_mov_b32 v2, s0
	s_xor_b32 exec_lo, exec_lo, s24
; %bb.186:
	v_cmp_ne_u16_e32 vcc_lo, 0, v4
	v_mov_b32_e32 v2, 0
	v_mov_b32_e32 v3, 0
	s_and_not1_b32 s0, s20, exec_lo
	s_and_b32 s1, vcc_lo, exec_lo
	s_delay_alu instid0(SALU_CYCLE_1)
	s_or_b32 s20, s0, s1
; %bb.187:
	s_or_b32 exec_lo, exec_lo, s24
	s_and_saveexec_b32 s0, s20
	s_cbranch_execz .LBB14_189
; %bb.188:
	v_and_b32_e32 v2, 0xffff, v4
	v_lshlrev_b32_e32 v4, 24, v4
	s_delay_alu instid0(VALU_DEP_2) | instskip(NEXT) | instid1(VALU_DEP_2)
	v_and_b32_e32 v3, 3, v2
	v_and_b32_e32 v4, 0x80000000, v4
	s_delay_alu instid0(VALU_DEP_2) | instskip(NEXT) | instid1(VALU_DEP_1)
	v_clz_i32_u32_e32 v5, v3
	v_min_u32_e32 v5, 32, v5
	s_delay_alu instid0(VALU_DEP_1) | instskip(SKIP_1) | instid1(VALU_DEP_2)
	v_subrev_nc_u32_e32 v6, 29, v5
	v_sub_nc_u32_e32 v5, 30, v5
	v_lshlrev_b32_e32 v6, v6, v2
	v_bfe_u32 v2, v2, 2, 5
	s_delay_alu instid0(VALU_DEP_2) | instskip(NEXT) | instid1(VALU_DEP_2)
	v_and_b32_e32 v6, 3, v6
	v_cmp_eq_u32_e32 vcc_lo, 0, v2
	s_delay_alu instid0(VALU_DEP_2) | instskip(NEXT) | instid1(VALU_DEP_1)
	v_dual_cndmask_b32 v2, v2, v5 :: v_dual_cndmask_b32 v3, v3, v6
	v_lshl_add_u32 v2, v2, 23, 0x37800000
	s_delay_alu instid0(VALU_DEP_2) | instskip(NEXT) | instid1(VALU_DEP_1)
	v_lshlrev_b32_e32 v3, 21, v3
	v_or3_b32 v2, v4, v2, v3
	s_delay_alu instid0(VALU_DEP_1)
	v_cvt_f64_f32_e32 v[2:3], v2
.LBB14_189:
	s_or_b32 exec_lo, exec_lo, s0
	s_mov_b32 s0, 0
	s_branch .LBB14_193
.LBB14_190:
	s_mov_b32 s1, -1
                                        ; implicit-def: $vgpr2_vgpr3
	s_branch .LBB14_199
.LBB14_191:
	s_mov_b32 s0, -1
                                        ; implicit-def: $vgpr2_vgpr3
	s_branch .LBB14_196
.LBB14_192:
	s_mov_b32 s0, -1
                                        ; implicit-def: $vgpr2_vgpr3
.LBB14_193:
	s_delay_alu instid0(SALU_CYCLE_1)
	s_and_b32 vcc_lo, exec_lo, s0
	s_cbranch_vccz .LBB14_195
; %bb.194:
	global_load_u8 v2, v[0:1], off
	s_waitcnt vmcnt(0)
	v_lshlrev_b32_e32 v2, 24, v2
	s_delay_alu instid0(VALU_DEP_1) | instskip(NEXT) | instid1(VALU_DEP_1)
	v_and_b32_e32 v3, 0x7f000000, v2
	v_clz_i32_u32_e32 v4, v3
	v_add_nc_u32_e32 v6, 0x1000000, v3
	v_cmp_ne_u32_e32 vcc_lo, 0, v3
	s_delay_alu instid0(VALU_DEP_3) | instskip(NEXT) | instid1(VALU_DEP_1)
	v_min_u32_e32 v4, 32, v4
	v_sub_nc_u32_e64 v4, v4, 4 clamp
	s_delay_alu instid0(VALU_DEP_1) | instskip(SKIP_1) | instid1(VALU_DEP_2)
	v_lshlrev_b32_e32 v5, v4, v3
	v_lshlrev_b32_e32 v4, 23, v4
	v_lshrrev_b32_e32 v5, 4, v5
	s_delay_alu instid0(VALU_DEP_1) | instskip(SKIP_1) | instid1(VALU_DEP_2)
	v_sub_nc_u32_e32 v4, v5, v4
	v_ashrrev_i32_e32 v5, 8, v6
	v_add_nc_u32_e32 v4, 0x3c000000, v4
	s_delay_alu instid0(VALU_DEP_1) | instskip(NEXT) | instid1(VALU_DEP_1)
	v_and_or_b32 v4, 0x7f800000, v5, v4
	v_cndmask_b32_e32 v3, 0, v4, vcc_lo
	s_delay_alu instid0(VALU_DEP_1) | instskip(NEXT) | instid1(VALU_DEP_1)
	v_and_or_b32 v2, 0x80000000, v2, v3
	v_cvt_f64_f32_e32 v[2:3], v2
.LBB14_195:
	s_mov_b32 s0, 0
.LBB14_196:
	s_delay_alu instid0(SALU_CYCLE_1)
	s_and_not1_b32 vcc_lo, exec_lo, s0
	s_cbranch_vccnz .LBB14_198
; %bb.197:
	global_load_u8 v2, v[0:1], off
	s_waitcnt vmcnt(0)
	v_lshlrev_b32_e32 v3, 25, v2
	v_lshlrev_b16 v2, 8, v2
	s_delay_alu instid0(VALU_DEP_2) | instskip(NEXT) | instid1(VALU_DEP_2)
	v_lshrrev_b32_e32 v4, 4, v3
	v_and_or_b32 v5, 0x7f00, v2, 0.5
	v_bfe_i32 v2, v2, 0, 16
	s_delay_alu instid0(VALU_DEP_3) | instskip(NEXT) | instid1(VALU_DEP_1)
	v_or_b32_e32 v4, 0x70000000, v4
	v_dual_add_f32 v5, -0.5, v5 :: v_dual_mul_f32 v4, 0x7800000, v4
	v_cmp_gt_u32_e32 vcc_lo, 0x8000000, v3
	s_delay_alu instid0(VALU_DEP_2) | instskip(NEXT) | instid1(VALU_DEP_1)
	v_cndmask_b32_e32 v3, v4, v5, vcc_lo
	v_and_or_b32 v2, 0x80000000, v2, v3
	s_delay_alu instid0(VALU_DEP_1)
	v_cvt_f64_f32_e32 v[2:3], v2
.LBB14_198:
	s_mov_b32 s1, 0
	s_mov_b32 s0, -1
.LBB14_199:
	s_and_not1_b32 vcc_lo, exec_lo, s1
	s_cbranch_vccnz .LBB14_210
; %bb.200:
	v_cmp_lt_i16_e32 vcc_lo, 14, v12
	s_cbranch_vccz .LBB14_203
; %bb.201:
	v_cmp_eq_u16_e32 vcc_lo, 15, v12
	s_cbranch_vccz .LBB14_204
; %bb.202:
	global_load_u16 v2, v[0:1], off
	s_mov_b32 s0, -1
	s_mov_b32 s21, 0
	s_waitcnt vmcnt(0)
	v_lshlrev_b32_e32 v2, 16, v2
	s_delay_alu instid0(VALU_DEP_1)
	v_cvt_f64_f32_e32 v[2:3], v2
	s_branch .LBB14_205
.LBB14_203:
	s_mov_b32 s1, -1
                                        ; implicit-def: $vgpr2_vgpr3
	s_branch .LBB14_206
.LBB14_204:
	s_mov_b32 s21, -1
                                        ; implicit-def: $vgpr2_vgpr3
.LBB14_205:
	s_mov_b32 s1, 0
.LBB14_206:
	s_delay_alu instid0(SALU_CYCLE_1)
	s_and_b32 vcc_lo, exec_lo, s1
	s_cbranch_vccz .LBB14_210
; %bb.207:
	v_cmp_eq_u16_e32 vcc_lo, 11, v12
	s_cbranch_vccz .LBB14_209
; %bb.208:
	global_load_u8 v2, v[0:1], off
	s_mov_b32 s21, 0
	s_mov_b32 s0, -1
	s_waitcnt vmcnt(0)
	v_cmp_ne_u16_e32 vcc_lo, 0, v2
	v_mov_b32_e32 v2, 0
	v_cndmask_b32_e64 v3, 0, 0x3ff00000, vcc_lo
	s_branch .LBB14_210
.LBB14_209:
	s_mov_b32 s21, -1
                                        ; implicit-def: $vgpr2_vgpr3
.LBB14_210:
	s_branch .LBB14_10
.LBB14_211:
	v_cmp_gt_i16_e32 vcc_lo, 5, v12
	s_cbranch_vccnz .LBB14_216
; %bb.212:
	v_cmp_gt_i16_e32 vcc_lo, 8, v12
	s_cbranch_vccnz .LBB14_217
; %bb.213:
	;; [unrolled: 3-line block ×3, first 2 shown]
	v_cmp_lt_i16_e32 vcc_lo, 9, v12
	s_cbranch_vccz .LBB14_219
; %bb.215:
	global_load_b64 v[2:3], v[0:1], off
	s_mov_b32 s0, 0
	s_branch .LBB14_220
.LBB14_216:
                                        ; implicit-def: $vgpr2_vgpr3
	s_branch .LBB14_238
.LBB14_217:
	s_mov_b32 s0, -1
                                        ; implicit-def: $vgpr2_vgpr3
	s_branch .LBB14_226
.LBB14_218:
	s_mov_b32 s0, -1
                                        ; implicit-def: $vgpr2_vgpr3
	s_branch .LBB14_223
.LBB14_219:
	s_mov_b32 s0, -1
                                        ; implicit-def: $vgpr2_vgpr3
.LBB14_220:
	s_delay_alu instid0(SALU_CYCLE_1)
	s_and_not1_b32 vcc_lo, exec_lo, s0
	s_cbranch_vccnz .LBB14_222
; %bb.221:
	global_load_b32 v2, v[0:1], off
	s_waitcnt vmcnt(0)
	v_cvt_f64_f32_e32 v[2:3], v2
.LBB14_222:
	s_mov_b32 s0, 0
.LBB14_223:
	s_delay_alu instid0(SALU_CYCLE_1)
	s_and_not1_b32 vcc_lo, exec_lo, s0
	s_cbranch_vccnz .LBB14_225
; %bb.224:
	global_load_b32 v2, v[0:1], off
	s_waitcnt vmcnt(0)
	v_cvt_f32_f16_e32 v2, v2
	s_delay_alu instid0(VALU_DEP_1)
	v_cvt_f64_f32_e32 v[2:3], v2
.LBB14_225:
	s_mov_b32 s0, 0
.LBB14_226:
	s_delay_alu instid0(SALU_CYCLE_1)
	s_and_not1_b32 vcc_lo, exec_lo, s0
	s_cbranch_vccnz .LBB14_237
; %bb.227:
	v_cmp_gt_i16_e32 vcc_lo, 6, v12
	s_cbranch_vccnz .LBB14_230
; %bb.228:
	v_cmp_lt_i16_e32 vcc_lo, 6, v12
	s_cbranch_vccz .LBB14_231
; %bb.229:
	global_load_b64 v[2:3], v[0:1], off
	s_mov_b32 s0, 0
	s_branch .LBB14_232
.LBB14_230:
	s_mov_b32 s0, -1
                                        ; implicit-def: $vgpr2_vgpr3
	s_branch .LBB14_235
.LBB14_231:
	s_mov_b32 s0, -1
                                        ; implicit-def: $vgpr2_vgpr3
.LBB14_232:
	s_delay_alu instid0(SALU_CYCLE_1)
	s_and_not1_b32 vcc_lo, exec_lo, s0
	s_cbranch_vccnz .LBB14_234
; %bb.233:
	global_load_b32 v2, v[0:1], off
	s_waitcnt vmcnt(0)
	v_cvt_f64_f32_e32 v[2:3], v2
.LBB14_234:
	s_mov_b32 s0, 0
.LBB14_235:
	s_delay_alu instid0(SALU_CYCLE_1)
	s_and_not1_b32 vcc_lo, exec_lo, s0
	s_cbranch_vccnz .LBB14_237
; %bb.236:
	global_load_u16 v2, v[0:1], off
	s_waitcnt vmcnt(0)
	v_cvt_f32_f16_e32 v2, v2
	s_delay_alu instid0(VALU_DEP_1)
	v_cvt_f64_f32_e32 v[2:3], v2
.LBB14_237:
	s_cbranch_execnz .LBB14_257
.LBB14_238:
	v_cmp_gt_i16_e32 vcc_lo, 2, v12
	s_cbranch_vccnz .LBB14_242
; %bb.239:
	v_cmp_gt_i16_e32 vcc_lo, 3, v12
	s_cbranch_vccnz .LBB14_243
; %bb.240:
	v_cmp_lt_i16_e32 vcc_lo, 3, v12
	s_cbranch_vccz .LBB14_244
; %bb.241:
	global_load_b64 v[2:3], v[0:1], off
	s_mov_b32 s0, 0
	s_waitcnt vmcnt(0)
	v_cvt_f64_i32_e32 v[3:4], v3
	v_cvt_f64_u32_e32 v[5:6], v2
	s_delay_alu instid0(VALU_DEP_2) | instskip(NEXT) | instid1(VALU_DEP_1)
	v_ldexp_f64 v[3:4], v[3:4], 32
	v_add_f64 v[2:3], v[3:4], v[5:6]
	s_branch .LBB14_245
.LBB14_242:
	s_mov_b32 s0, -1
                                        ; implicit-def: $vgpr2_vgpr3
	s_branch .LBB14_251
.LBB14_243:
	s_mov_b32 s0, -1
                                        ; implicit-def: $vgpr2_vgpr3
	s_branch .LBB14_248
.LBB14_244:
	s_mov_b32 s0, -1
                                        ; implicit-def: $vgpr2_vgpr3
.LBB14_245:
	s_delay_alu instid0(SALU_CYCLE_1)
	s_and_not1_b32 vcc_lo, exec_lo, s0
	s_cbranch_vccnz .LBB14_247
; %bb.246:
	global_load_b32 v2, v[0:1], off
	s_waitcnt vmcnt(0)
	v_cvt_f64_i32_e32 v[2:3], v2
.LBB14_247:
	s_mov_b32 s0, 0
.LBB14_248:
	s_delay_alu instid0(SALU_CYCLE_1)
	s_and_not1_b32 vcc_lo, exec_lo, s0
	s_cbranch_vccnz .LBB14_250
; %bb.249:
	global_load_i16 v2, v[0:1], off
	s_waitcnt vmcnt(0)
	v_cvt_f64_i32_e32 v[2:3], v2
.LBB14_250:
	s_mov_b32 s0, 0
.LBB14_251:
	s_delay_alu instid0(SALU_CYCLE_1)
	s_and_not1_b32 vcc_lo, exec_lo, s0
	s_cbranch_vccnz .LBB14_257
; %bb.252:
	v_cmp_lt_i16_e32 vcc_lo, 0, v12
	s_mov_b32 s0, 0
	s_cbranch_vccz .LBB14_254
; %bb.253:
	global_load_i8 v2, v[0:1], off
	s_waitcnt vmcnt(0)
	v_cvt_f64_i32_e32 v[2:3], v2
	s_branch .LBB14_255
.LBB14_254:
	s_mov_b32 s0, -1
                                        ; implicit-def: $vgpr2_vgpr3
.LBB14_255:
	s_delay_alu instid0(SALU_CYCLE_1)
	s_and_not1_b32 vcc_lo, exec_lo, s0
	s_cbranch_vccnz .LBB14_257
; %bb.256:
	global_load_u8 v0, v[0:1], off
	s_waitcnt vmcnt(0)
	v_cvt_f64_u32_e32 v[2:3], v0
.LBB14_257:
	s_branch .LBB14_11
.LBB14_258:
	s_mov_b32 s0, 0
.LBB14_259:
	s_mov_b32 s1, 0
                                        ; implicit-def: $vgpr14
.LBB14_260:
	s_and_b32 s20, s0, exec_lo
	s_and_b32 s21, s21, exec_lo
	s_or_not1_b32 s1, s1, exec_lo
.LBB14_261:
	s_or_b32 exec_lo, exec_lo, s22
	s_mov_b32 s24, 0
	s_mov_b32 s0, 0
                                        ; implicit-def: $vgpr0_vgpr1
                                        ; implicit-def: $vgpr2_vgpr3
	s_and_saveexec_b32 s22, s1
	s_cbranch_execz .LBB14_889
; %bb.262:
	s_mov_b32 s27, -1
	s_mov_b32 s23, s21
	s_mov_b32 s24, s20
	s_mov_b32 s25, exec_lo
	v_cmpx_gt_i32_e64 s19, v14
	s_cbranch_execz .LBB14_531
; %bb.263:
	v_mul_lo_u32 v0, v14, s3
	v_cmp_gt_i16_e32 vcc_lo, 11, v12
	s_delay_alu instid0(VALU_DEP_2) | instskip(SKIP_1) | instid1(VALU_DEP_1)
	v_ashrrev_i32_e32 v1, 31, v0
	v_add_co_u32 v0, s0, s6, v0
	v_add_co_ci_u32_e64 v1, s0, s7, v1, s0
	s_cbranch_vccnz .LBB14_270
; %bb.264:
	v_cmp_lt_i16_e32 vcc_lo, 25, v12
	s_cbranch_vccz .LBB14_279
; %bb.265:
	v_cmp_lt_i16_e32 vcc_lo, 28, v12
	s_cbranch_vccz .LBB14_280
	;; [unrolled: 3-line block ×4, first 2 shown]
; %bb.268:
	v_cmp_eq_u16_e32 vcc_lo, 46, v12
	s_mov_b32 s1, 0
	s_cbranch_vccz .LBB14_301
; %bb.269:
	global_load_b32 v2, v[0:1], off
	s_mov_b32 s0, -1
	s_mov_b32 s23, 0
	s_waitcnt vmcnt(0)
	v_lshlrev_b32_e32 v2, 16, v2
	s_delay_alu instid0(VALU_DEP_1)
	v_cvt_f64_f32_e32 v[2:3], v2
	s_branch .LBB14_303
.LBB14_270:
	s_mov_b32 s0, 0
	s_mov_b32 s23, s21
                                        ; implicit-def: $vgpr2_vgpr3
	s_cbranch_execnz .LBB14_480
.LBB14_271:
	s_and_not1_b32 vcc_lo, exec_lo, s0
	s_cbranch_vccnz .LBB14_528
.LBB14_272:
	v_mov_b32_e32 v0, 0
	v_mov_b32_e32 v1, 0
	s_and_not1_b32 vcc_lo, exec_lo, s18
	s_cbranch_vccnz .LBB14_285
; %bb.273:
	v_cmp_lt_i64_e64 s0, s[12:13], 1
	v_mov_b32_e32 v0, 0
	v_mov_b32_e32 v1, 0x3ff00000
	s_delay_alu instid0(VALU_DEP_3)
	s_and_b32 vcc_lo, exec_lo, s0
	s_cbranch_vccnz .LBB14_285
; %bb.274:
	s_cmp_lg_u64 s[12:13], 1
	s_cbranch_scc0 .LBB14_282
; %bb.275:
	v_mov_b32_e32 v0, 0
	v_mov_b32_e32 v1, 0x7ff80000
	s_and_not1_b32 vcc_lo, exec_lo, s17
	s_cbranch_vccnz .LBB14_278
; %bb.276:
	s_waitcnt vmcnt(0)
	v_add_f64 v[4:5], v[2:3], v[2:3]
	v_mov_b32_e32 v6, 0
	v_mov_b32_e32 v7, 0x3ff00000
	s_mov_b64 s[0:1], 2
	s_delay_alu instid0(VALU_DEP_3)
	v_dual_mov_b32 v0, v4 :: v_dual_mov_b32 v1, v5
.LBB14_277:                             ; =>This Inner Loop Header: Depth=1
	v_cvt_f64_u32_e32 v[8:9], s1
	v_cvt_f64_u32_e32 v[10:11], s0
	s_add_u32 s0, s0, 2
	s_addc_u32 s1, s1, 0
	s_delay_alu instid0(SALU_CYCLE_1) | instskip(NEXT) | instid1(VALU_DEP_1)
	v_cmp_lt_u64_e64 s24, s[0:1], s[10:11]
	s_and_b32 vcc_lo, exec_lo, s24
	s_delay_alu instid0(VALU_DEP_3) | instskip(NEXT) | instid1(VALU_DEP_1)
	v_ldexp_f64 v[8:9], v[8:9], 32
	v_add_f64 v[8:9], v[8:9], v[10:11]
	s_delay_alu instid0(VALU_DEP_1) | instskip(SKIP_1) | instid1(VALU_DEP_1)
	v_mul_f64 v[6:7], v[6:7], v[8:9]
	v_dual_mov_b32 v9, v1 :: v_dual_mov_b32 v8, v0
	v_fma_f64 v[0:1], v[4:5], v[8:9], -v[6:7]
	v_dual_mov_b32 v6, v8 :: v_dual_mov_b32 v7, v9
	s_cbranch_vccnz .LBB14_277
.LBB14_278:
	s_mov_b32 s0, 0
	s_branch .LBB14_283
.LBB14_279:
	s_mov_b32 s1, -1
	s_mov_b32 s0, 0
	s_mov_b32 s23, s21
                                        ; implicit-def: $vgpr2_vgpr3
	s_branch .LBB14_446
.LBB14_280:
	s_mov_b32 s1, -1
	s_mov_b32 s0, 0
	s_mov_b32 s23, s21
                                        ; implicit-def: $vgpr2_vgpr3
	s_branch .LBB14_425
.LBB14_281:
	s_mov_b32 s1, -1
	s_mov_b32 s0, 0
	s_mov_b32 s23, s21
                                        ; implicit-def: $vgpr2_vgpr3
	s_branch .LBB14_420
.LBB14_282:
	s_mov_b32 s0, -1
                                        ; implicit-def: $vgpr0_vgpr1
.LBB14_283:
	s_delay_alu instid0(SALU_CYCLE_1)
	s_and_not1_b32 vcc_lo, exec_lo, s0
	s_cbranch_vccnz .LBB14_285
; %bb.284:
	s_waitcnt vmcnt(0)
	v_add_f64 v[0:1], v[2:3], v[2:3]
.LBB14_285:
	s_waitcnt vmcnt(0)
	v_mul_lo_u32 v2, v14, s2
	v_and_b32_e64 v6, 0xff, s14
	s_delay_alu instid0(VALU_DEP_1) | instskip(NEXT) | instid1(VALU_DEP_3)
	v_cmp_gt_i16_e32 vcc_lo, 11, v6
	v_ashrrev_i32_e32 v3, 31, v2
	v_add_co_u32 v4, s0, s4, v2
	s_delay_alu instid0(VALU_DEP_1)
	v_add_co_ci_u32_e64 v5, s0, s5, v3, s0
	s_cbranch_vccnz .LBB14_292
; %bb.286:
	v_cmp_lt_i16_e32 vcc_lo, 25, v6
	s_cbranch_vccz .LBB14_293
; %bb.287:
	v_cmp_lt_i16_e32 vcc_lo, 28, v6
	s_cbranch_vccz .LBB14_294
	;; [unrolled: 3-line block ×4, first 2 shown]
; %bb.290:
	v_cmp_eq_u16_e32 vcc_lo, 46, v6
	s_mov_b32 s24, 0
	s_mov_b32 s0, -1
	s_mov_b32 s1, 0
	s_cbranch_vccz .LBB14_307
; %bb.291:
	v_cvt_f32_f64_e32 v2, v[0:1]
	s_mov_b32 s1, -1
	s_mov_b32 s0, 0
	s_delay_alu instid0(VALU_DEP_1) | instskip(SKIP_1) | instid1(VALU_DEP_2)
	v_bfe_u32 v3, v2, 16, 1
	v_cmp_o_f32_e32 vcc_lo, v2, v2
	v_add3_u32 v3, v2, v3, 0x7fff
	s_delay_alu instid0(VALU_DEP_1) | instskip(NEXT) | instid1(VALU_DEP_1)
	v_lshrrev_b32_e32 v3, 16, v3
	v_cndmask_b32_e32 v2, 0x7fc0, v3, vcc_lo
	global_store_b32 v[4:5], v2, off
	s_branch .LBB14_307
.LBB14_292:
	s_mov_b32 s24, -1
	s_mov_b32 s1, 0
	s_mov_b32 s0, s20
	s_branch .LBB14_376
.LBB14_293:
	s_mov_b32 s24, -1
	s_mov_b32 s1, 0
	s_mov_b32 s0, s20
	s_branch .LBB14_334
.LBB14_294:
	s_mov_b32 s24, -1
	s_mov_b32 s1, 0
	s_mov_b32 s0, s20
	s_branch .LBB14_317
.LBB14_295:
	s_or_saveexec_b32 s24, s24
                                        ; implicit-def: $sgpr25
	s_delay_alu instid0(SALU_CYCLE_1)
	s_xor_b32 exec_lo, exec_lo, s24
	s_cbranch_execz .LBB14_63
.LBB14_296:
	v_add_f32_e64 v3, 0x46000000, |v2|
	s_and_not1_b32 s20, s20, exec_lo
	s_mov_b32 s25, 0
	s_delay_alu instid0(VALU_DEP_1) | instskip(NEXT) | instid1(VALU_DEP_1)
	v_and_b32_e32 v3, 0xff, v3
	v_cmp_ne_u32_e32 vcc_lo, 0, v3
	s_and_b32 s26, vcc_lo, exec_lo
	s_delay_alu instid0(SALU_CYCLE_1)
	s_or_b32 s20, s20, s26
	s_or_b32 exec_lo, exec_lo, s24
	v_mov_b32_e32 v7, s25
	s_and_saveexec_b32 s24, s20
	s_cbranch_execnz .LBB14_64
	s_branch .LBB14_65
.LBB14_297:
	s_mov_b32 s1, -1
	s_mov_b32 s0, 0
	s_mov_b32 s23, s21
	s_branch .LBB14_302
.LBB14_298:
	s_mov_b32 s24, -1
	s_mov_b32 s1, 0
	s_mov_b32 s0, s20
	s_branch .LBB14_313
.LBB14_299:
	s_or_saveexec_b32 s24, s24
                                        ; implicit-def: $sgpr25
	s_delay_alu instid0(SALU_CYCLE_1)
	s_xor_b32 exec_lo, exec_lo, s24
	s_cbranch_execz .LBB14_76
.LBB14_300:
	v_add_f32_e64 v3, 0x42800000, |v2|
	s_and_not1_b32 s20, s20, exec_lo
	s_mov_b32 s25, 0
	s_delay_alu instid0(VALU_DEP_1) | instskip(NEXT) | instid1(VALU_DEP_1)
	v_and_b32_e32 v3, 0xff, v3
	v_cmp_ne_u32_e32 vcc_lo, 0, v3
	s_and_b32 s26, vcc_lo, exec_lo
	s_delay_alu instid0(SALU_CYCLE_1)
	s_or_b32 s20, s20, s26
	s_or_b32 exec_lo, exec_lo, s24
	v_mov_b32_e32 v7, s25
	s_and_saveexec_b32 s24, s20
	s_cbranch_execnz .LBB14_77
	s_branch .LBB14_78
.LBB14_301:
	s_mov_b32 s23, -1
	s_mov_b32 s0, 0
.LBB14_302:
                                        ; implicit-def: $vgpr2_vgpr3
.LBB14_303:
	s_and_b32 vcc_lo, exec_lo, s1
	s_cbranch_vccz .LBB14_419
; %bb.304:
	v_cmp_eq_u16_e32 vcc_lo, 44, v12
	s_cbranch_vccz .LBB14_418
; %bb.305:
	global_load_u8 v4, v[0:1], off
	s_mov_b32 s23, 0
	s_mov_b32 s0, -1
	s_waitcnt vmcnt(0)
	v_cmp_ne_u32_e32 vcc_lo, 0xff, v4
	v_lshlrev_b32_e32 v2, 23, v4
	s_delay_alu instid0(VALU_DEP_1) | instskip(NEXT) | instid1(VALU_DEP_1)
	v_cvt_f64_f32_e32 v[2:3], v2
	v_cndmask_b32_e32 v3, 0x7ff80000, v3, vcc_lo
	s_delay_alu instid0(VALU_DEP_2) | instskip(SKIP_1) | instid1(VALU_DEP_3)
	v_cndmask_b32_e32 v2, 0x20000000, v2, vcc_lo
	v_cmp_ne_u32_e32 vcc_lo, 0, v4
	v_cndmask_b32_e32 v3, 0x38000000, v3, vcc_lo
	s_delay_alu instid0(VALU_DEP_3)
	v_cndmask_b32_e32 v2, 0, v2, vcc_lo
	s_branch .LBB14_419
.LBB14_306:
	s_mov_b32 s24, -1
	s_mov_b32 s1, 0
	s_mov_b32 s0, s20
.LBB14_307:
	s_and_b32 vcc_lo, exec_lo, s24
	s_cbranch_vccz .LBB14_312
; %bb.308:
	v_cmp_eq_u16_e32 vcc_lo, 44, v6
	s_mov_b32 s0, -1
	s_cbranch_vccz .LBB14_312
; %bb.309:
	v_cvt_f32_f64_e32 v2, v[0:1]
	v_mov_b32_e32 v3, 0xff
	s_mov_b32 s1, exec_lo
	s_delay_alu instid0(VALU_DEP_2) | instskip(NEXT) | instid1(VALU_DEP_1)
	v_bfe_u32 v7, v2, 23, 8
	v_cmpx_ne_u32_e32 0xff, v7
; %bb.310:
	v_and_b32_e32 v3, 0x400000, v2
	v_and_or_b32 v7, 0x3fffff, v2, v7
	v_lshrrev_b32_e32 v2, 23, v2
	s_delay_alu instid0(VALU_DEP_3) | instskip(NEXT) | instid1(VALU_DEP_3)
	v_cmp_ne_u32_e32 vcc_lo, 0, v3
	v_cmp_ne_u32_e64 s0, 0, v7
	s_delay_alu instid0(VALU_DEP_1) | instskip(NEXT) | instid1(SALU_CYCLE_1)
	s_and_b32 s0, vcc_lo, s0
	v_cndmask_b32_e64 v3, 0, 1, s0
	s_delay_alu instid0(VALU_DEP_1)
	v_add_nc_u32_e32 v3, v2, v3
; %bb.311:
	s_or_b32 exec_lo, exec_lo, s1
	s_mov_b32 s1, -1
	s_mov_b32 s0, 0
	global_store_b8 v[4:5], v3, off
.LBB14_312:
	s_mov_b32 s24, 0
.LBB14_313:
	s_delay_alu instid0(SALU_CYCLE_1)
	s_and_b32 vcc_lo, exec_lo, s24
	s_cbranch_vccz .LBB14_316
; %bb.314:
	v_cmp_eq_u16_e32 vcc_lo, 29, v6
	s_mov_b32 s0, -1
	s_cbranch_vccz .LBB14_316
; %bb.315:
	v_trunc_f64_e32 v[2:3], v[0:1]
	s_mov_b32 s1, -1
	s_mov_b32 s0, 0
	s_mov_b32 s24, 0
	s_delay_alu instid0(VALU_DEP_1) | instskip(NEXT) | instid1(VALU_DEP_1)
	v_ldexp_f64 v[7:8], v[2:3], 0xffffffe0
	v_floor_f64_e32 v[7:8], v[7:8]
	s_delay_alu instid0(VALU_DEP_1) | instskip(SKIP_1) | instid1(VALU_DEP_2)
	v_fma_f64 v[2:3], 0xc1f00000, v[7:8], v[2:3]
	v_cvt_u32_f64_e32 v8, v[7:8]
	v_cvt_u32_f64_e32 v7, v[2:3]
	global_store_b64 v[4:5], v[7:8], off
	s_branch .LBB14_317
.LBB14_316:
	s_mov_b32 s24, 0
.LBB14_317:
	s_delay_alu instid0(SALU_CYCLE_1)
	s_and_b32 vcc_lo, exec_lo, s24
	s_cbranch_vccz .LBB14_333
; %bb.318:
	v_cmp_gt_i16_e32 vcc_lo, 27, v6
	s_mov_b32 s1, -1
	s_cbranch_vccnz .LBB14_324
; %bb.319:
	v_cmp_lt_i16_e32 vcc_lo, 27, v6
	s_cbranch_vccz .LBB14_321
; %bb.320:
	v_cvt_u32_f64_e32 v2, v[0:1]
	s_mov_b32 s1, 0
	global_store_b32 v[4:5], v2, off
.LBB14_321:
	s_and_not1_b32 vcc_lo, exec_lo, s1
	s_cbranch_vccnz .LBB14_323
; %bb.322:
	v_cvt_u32_f64_e32 v2, v[0:1]
	global_store_b16 v[4:5], v2, off
.LBB14_323:
	s_mov_b32 s1, 0
.LBB14_324:
	s_delay_alu instid0(SALU_CYCLE_1)
	s_and_not1_b32 vcc_lo, exec_lo, s1
	s_cbranch_vccnz .LBB14_332
; %bb.325:
	v_cvt_f32_f64_e32 v2, v[0:1]
	v_mov_b32_e32 v7, 0x80
	s_mov_b32 s1, exec_lo
	s_delay_alu instid0(VALU_DEP_2) | instskip(NEXT) | instid1(VALU_DEP_1)
	v_and_b32_e32 v3, 0x7fffffff, v2
	v_cmpx_gt_u32_e32 0x43800000, v3
	s_cbranch_execz .LBB14_331
; %bb.326:
	v_cmp_lt_u32_e32 vcc_lo, 0x3bffffff, v3
	s_mov_b32 s24, 0
                                        ; implicit-def: $vgpr3
	s_and_saveexec_b32 s26, vcc_lo
	s_delay_alu instid0(SALU_CYCLE_1)
	s_xor_b32 s26, exec_lo, s26
	s_cbranch_execz .LBB14_544
; %bb.327:
	v_bfe_u32 v3, v2, 20, 1
	s_mov_b32 s24, exec_lo
	s_delay_alu instid0(VALU_DEP_1) | instskip(NEXT) | instid1(VALU_DEP_1)
	v_add3_u32 v3, v2, v3, 0x487ffff
	v_lshrrev_b32_e32 v3, 20, v3
	s_or_saveexec_b32 s26, s26
                                        ; implicit-def: $sgpr27
	s_delay_alu instid0(SALU_CYCLE_1)
	s_xor_b32 exec_lo, exec_lo, s26
	s_cbranch_execnz .LBB14_545
.LBB14_328:
	s_or_b32 exec_lo, exec_lo, s26
	v_mov_b32_e32 v7, s27
	s_and_saveexec_b32 s26, s24
.LBB14_329:
	v_lshrrev_b32_e32 v2, 24, v2
	s_delay_alu instid0(VALU_DEP_1)
	v_and_or_b32 v7, 0x80, v2, v3
.LBB14_330:
	s_or_b32 exec_lo, exec_lo, s26
.LBB14_331:
	s_delay_alu instid0(SALU_CYCLE_1)
	s_or_b32 exec_lo, exec_lo, s1
	global_store_b8 v[4:5], v7, off
.LBB14_332:
	s_mov_b32 s1, -1
.LBB14_333:
	s_mov_b32 s24, 0
.LBB14_334:
	s_delay_alu instid0(SALU_CYCLE_1)
	s_and_b32 vcc_lo, exec_lo, s24
	s_cbranch_vccz .LBB14_375
; %bb.335:
	v_cmp_lt_i16_e32 vcc_lo, 22, v6
	s_mov_b32 s24, -1
	s_cbranch_vccz .LBB14_367
; %bb.336:
	v_cmp_gt_i16_e32 vcc_lo, 24, v6
	s_mov_b32 s1, -1
	s_cbranch_vccnz .LBB14_356
; %bb.337:
	v_cmp_lt_i16_e32 vcc_lo, 24, v6
	s_cbranch_vccz .LBB14_345
; %bb.338:
	v_cvt_f32_f64_e32 v2, v[0:1]
	v_mov_b32_e32 v7, 0x80
	s_mov_b32 s1, exec_lo
	s_delay_alu instid0(VALU_DEP_2) | instskip(NEXT) | instid1(VALU_DEP_1)
	v_and_b32_e32 v3, 0x7fffffff, v2
	v_cmpx_gt_u32_e32 0x47800000, v3
	s_cbranch_execz .LBB14_344
; %bb.339:
	v_cmp_lt_u32_e32 vcc_lo, 0x37ffffff, v3
	s_mov_b32 s24, 0
                                        ; implicit-def: $vgpr3
	s_and_saveexec_b32 s26, vcc_lo
	s_delay_alu instid0(SALU_CYCLE_1)
	s_xor_b32 s26, exec_lo, s26
	s_cbranch_execz .LBB14_547
; %bb.340:
	v_bfe_u32 v3, v2, 21, 1
	s_mov_b32 s24, exec_lo
	s_delay_alu instid0(VALU_DEP_1) | instskip(NEXT) | instid1(VALU_DEP_1)
	v_add3_u32 v3, v2, v3, 0x88fffff
	v_lshrrev_b32_e32 v3, 21, v3
	s_or_saveexec_b32 s26, s26
                                        ; implicit-def: $sgpr27
	s_delay_alu instid0(SALU_CYCLE_1)
	s_xor_b32 exec_lo, exec_lo, s26
	s_cbranch_execnz .LBB14_548
.LBB14_341:
	s_or_b32 exec_lo, exec_lo, s26
	v_mov_b32_e32 v7, s27
	s_and_saveexec_b32 s26, s24
.LBB14_342:
	v_lshrrev_b32_e32 v2, 24, v2
	s_delay_alu instid0(VALU_DEP_1)
	v_and_or_b32 v7, 0x80, v2, v3
.LBB14_343:
	s_or_b32 exec_lo, exec_lo, s26
.LBB14_344:
	s_delay_alu instid0(SALU_CYCLE_1)
	s_or_b32 exec_lo, exec_lo, s1
	s_mov_b32 s1, 0
	global_store_b8 v[4:5], v7, off
.LBB14_345:
	s_and_b32 vcc_lo, exec_lo, s1
	s_cbranch_vccz .LBB14_355
; %bb.346:
	v_cvt_f32_f64_e32 v2, v[0:1]
	s_mov_b32 s1, exec_lo
                                        ; implicit-def: $vgpr3
	s_delay_alu instid0(VALU_DEP_1) | instskip(NEXT) | instid1(VALU_DEP_1)
	v_and_b32_e32 v7, 0x7fffffff, v2
	v_cmpx_gt_u32_e32 0x43f00000, v7
	s_xor_b32 s1, exec_lo, s1
	s_cbranch_execz .LBB14_352
; %bb.347:
	s_mov_b32 s24, exec_lo
                                        ; implicit-def: $vgpr3
	v_cmpx_lt_u32_e32 0x3c7fffff, v7
	s_xor_b32 s24, exec_lo, s24
; %bb.348:
	v_bfe_u32 v3, v2, 20, 1
	s_delay_alu instid0(VALU_DEP_1) | instskip(NEXT) | instid1(VALU_DEP_1)
	v_add3_u32 v3, v2, v3, 0x407ffff
	v_and_b32_e32 v7, 0xff00000, v3
	v_lshrrev_b32_e32 v3, 20, v3
	s_delay_alu instid0(VALU_DEP_2) | instskip(NEXT) | instid1(VALU_DEP_2)
	v_cmp_ne_u32_e32 vcc_lo, 0x7f00000, v7
	v_cndmask_b32_e32 v3, 0x7e, v3, vcc_lo
; %bb.349:
	s_and_not1_saveexec_b32 s24, s24
; %bb.350:
	v_add_f32_e64 v3, 0x46800000, |v2|
; %bb.351:
	s_or_b32 exec_lo, exec_lo, s24
                                        ; implicit-def: $vgpr7
.LBB14_352:
	s_and_not1_saveexec_b32 s1, s1
; %bb.353:
	v_mov_b32_e32 v3, 0x7f
	v_cmp_lt_u32_e32 vcc_lo, 0x7f800000, v7
	s_delay_alu instid0(VALU_DEP_2)
	v_cndmask_b32_e32 v3, 0x7e, v3, vcc_lo
; %bb.354:
	s_or_b32 exec_lo, exec_lo, s1
	v_lshrrev_b32_e32 v2, 24, v2
	s_delay_alu instid0(VALU_DEP_1)
	v_and_or_b32 v2, 0x80, v2, v3
	global_store_b8 v[4:5], v2, off
.LBB14_355:
	s_mov_b32 s1, 0
.LBB14_356:
	s_delay_alu instid0(SALU_CYCLE_1)
	s_and_not1_b32 vcc_lo, exec_lo, s1
	s_cbranch_vccnz .LBB14_366
; %bb.357:
	v_cvt_f32_f64_e32 v2, v[0:1]
	s_mov_b32 s1, exec_lo
                                        ; implicit-def: $vgpr3
	s_delay_alu instid0(VALU_DEP_1) | instskip(NEXT) | instid1(VALU_DEP_1)
	v_and_b32_e32 v7, 0x7fffffff, v2
	v_cmpx_gt_u32_e32 0x47800000, v7
	s_xor_b32 s1, exec_lo, s1
	s_cbranch_execz .LBB14_363
; %bb.358:
	s_mov_b32 s24, exec_lo
                                        ; implicit-def: $vgpr3
	v_cmpx_lt_u32_e32 0x387fffff, v7
	s_xor_b32 s24, exec_lo, s24
; %bb.359:
	v_bfe_u32 v3, v2, 21, 1
	s_delay_alu instid0(VALU_DEP_1) | instskip(NEXT) | instid1(VALU_DEP_1)
	v_add3_u32 v3, v2, v3, 0x80fffff
	v_lshrrev_b32_e32 v3, 21, v3
; %bb.360:
	s_and_not1_saveexec_b32 s24, s24
; %bb.361:
	v_add_f32_e64 v3, 0x43000000, |v2|
; %bb.362:
	s_or_b32 exec_lo, exec_lo, s24
                                        ; implicit-def: $vgpr7
.LBB14_363:
	s_and_not1_saveexec_b32 s1, s1
; %bb.364:
	v_mov_b32_e32 v3, 0x7f
	v_cmp_lt_u32_e32 vcc_lo, 0x7f800000, v7
	s_delay_alu instid0(VALU_DEP_2)
	v_cndmask_b32_e32 v3, 0x7c, v3, vcc_lo
; %bb.365:
	s_or_b32 exec_lo, exec_lo, s1
	v_lshrrev_b32_e32 v2, 24, v2
	s_delay_alu instid0(VALU_DEP_1)
	v_and_or_b32 v2, 0x80, v2, v3
	global_store_b8 v[4:5], v2, off
.LBB14_366:
	s_mov_b32 s24, 0
	s_mov_b32 s1, -1
.LBB14_367:
	s_and_not1_b32 vcc_lo, exec_lo, s24
	s_cbranch_vccnz .LBB14_375
; %bb.368:
	v_cmp_lt_i16_e32 vcc_lo, 14, v6
	s_mov_b32 s24, -1
	s_cbranch_vccz .LBB14_372
; %bb.369:
	v_cmp_eq_u16_e32 vcc_lo, 15, v6
	s_mov_b32 s0, -1
	s_cbranch_vccz .LBB14_371
; %bb.370:
	v_cvt_f32_f64_e32 v2, v[0:1]
	s_mov_b32 s1, -1
	s_mov_b32 s0, 0
	s_delay_alu instid0(VALU_DEP_1) | instskip(SKIP_1) | instid1(VALU_DEP_2)
	v_bfe_u32 v3, v2, 16, 1
	v_cmp_o_f32_e32 vcc_lo, v2, v2
	v_add3_u32 v3, v2, v3, 0x7fff
	s_delay_alu instid0(VALU_DEP_1) | instskip(NEXT) | instid1(VALU_DEP_1)
	v_lshrrev_b32_e32 v3, 16, v3
	v_cndmask_b32_e32 v2, 0x7fc0, v3, vcc_lo
	global_store_b16 v[4:5], v2, off
.LBB14_371:
	s_mov_b32 s24, 0
.LBB14_372:
	s_delay_alu instid0(SALU_CYCLE_1)
	s_and_b32 vcc_lo, exec_lo, s24
	s_cbranch_vccz .LBB14_375
; %bb.373:
	v_cmp_eq_u16_e32 vcc_lo, 11, v6
	s_mov_b32 s0, -1
	s_cbranch_vccz .LBB14_375
; %bb.374:
	v_cmp_neq_f64_e32 vcc_lo, 0, v[0:1]
	s_mov_b32 s1, -1
	s_mov_b32 s0, 0
	v_cndmask_b32_e64 v2, 0, 1, vcc_lo
	global_store_b8 v[4:5], v2, off
.LBB14_375:
	s_mov_b32 s24, 0
.LBB14_376:
	s_delay_alu instid0(SALU_CYCLE_1)
	s_and_b32 vcc_lo, exec_lo, s24
	s_cbranch_vccz .LBB14_415
; %bb.377:
	v_cmp_gt_i16_e32 vcc_lo, 5, v6
	s_mov_b32 s1, -1
	s_cbranch_vccnz .LBB14_398
; %bb.378:
	v_cmp_gt_i16_e32 vcc_lo, 8, v6
	s_cbranch_vccnz .LBB14_388
; %bb.379:
	v_cmp_gt_i16_e32 vcc_lo, 9, v6
	s_cbranch_vccnz .LBB14_385
; %bb.380:
	v_cmp_lt_i16_e32 vcc_lo, 9, v6
	s_cbranch_vccz .LBB14_382
; %bb.381:
	v_mov_b32_e32 v2, 0
	s_mov_b32 s1, 0
	s_delay_alu instid0(VALU_DEP_1)
	v_mov_b32_e32 v3, v2
	global_store_b128 v[4:5], v[0:3], off
.LBB14_382:
	s_and_not1_b32 vcc_lo, exec_lo, s1
	s_cbranch_vccnz .LBB14_384
; %bb.383:
	v_cvt_f32_f64_e32 v2, v[0:1]
	v_mov_b32_e32 v3, 0
	global_store_b64 v[4:5], v[2:3], off
.LBB14_384:
	s_mov_b32 s1, 0
.LBB14_385:
	s_delay_alu instid0(SALU_CYCLE_1)
	s_and_not1_b32 vcc_lo, exec_lo, s1
	s_cbranch_vccnz .LBB14_387
; %bb.386:
	v_cvt_f32_f64_e32 v2, v[0:1]
	s_delay_alu instid0(VALU_DEP_1) | instskip(NEXT) | instid1(VALU_DEP_1)
	v_cvt_f16_f32_e32 v2, v2
	v_and_b32_e32 v2, 0xffff, v2
	global_store_b32 v[4:5], v2, off
.LBB14_387:
	s_mov_b32 s1, 0
.LBB14_388:
	s_delay_alu instid0(SALU_CYCLE_1)
	s_and_not1_b32 vcc_lo, exec_lo, s1
	s_cbranch_vccnz .LBB14_397
; %bb.389:
	v_cmp_gt_i16_e32 vcc_lo, 6, v6
	s_mov_b32 s1, -1
	s_cbranch_vccnz .LBB14_395
; %bb.390:
	v_cmp_lt_i16_e32 vcc_lo, 6, v6
	s_cbranch_vccz .LBB14_392
; %bb.391:
	s_mov_b32 s1, 0
	global_store_b64 v[4:5], v[0:1], off
.LBB14_392:
	s_and_not1_b32 vcc_lo, exec_lo, s1
	s_cbranch_vccnz .LBB14_394
; %bb.393:
	v_cvt_f32_f64_e32 v2, v[0:1]
	global_store_b32 v[4:5], v2, off
.LBB14_394:
	s_mov_b32 s1, 0
.LBB14_395:
	s_delay_alu instid0(SALU_CYCLE_1)
	s_and_not1_b32 vcc_lo, exec_lo, s1
	s_cbranch_vccnz .LBB14_397
; %bb.396:
	v_cvt_f32_f64_e32 v2, v[0:1]
	s_delay_alu instid0(VALU_DEP_1)
	v_cvt_f16_f32_e32 v2, v2
	global_store_b16 v[4:5], v2, off
.LBB14_397:
	s_mov_b32 s1, 0
.LBB14_398:
	s_delay_alu instid0(SALU_CYCLE_1)
	s_and_not1_b32 vcc_lo, exec_lo, s1
	s_cbranch_vccnz .LBB14_414
; %bb.399:
	v_cmp_gt_i16_e32 vcc_lo, 2, v6
	s_mov_b32 s1, -1
	s_cbranch_vccnz .LBB14_409
; %bb.400:
	v_cmp_gt_i16_e32 vcc_lo, 3, v6
	s_cbranch_vccnz .LBB14_406
; %bb.401:
	v_cmp_lt_i16_e32 vcc_lo, 3, v6
	s_cbranch_vccz .LBB14_403
; %bb.402:
	v_trunc_f64_e32 v[2:3], v[0:1]
	s_mov_b32 s1, 0
	s_delay_alu instid0(VALU_DEP_1) | instskip(NEXT) | instid1(VALU_DEP_1)
	v_ldexp_f64 v[7:8], v[2:3], 0xffffffe0
	v_floor_f64_e32 v[7:8], v[7:8]
	s_delay_alu instid0(VALU_DEP_1) | instskip(SKIP_1) | instid1(VALU_DEP_2)
	v_fma_f64 v[2:3], 0xc1f00000, v[7:8], v[2:3]
	v_cvt_i32_f64_e32 v8, v[7:8]
	v_cvt_u32_f64_e32 v7, v[2:3]
	global_store_b64 v[4:5], v[7:8], off
.LBB14_403:
	s_and_not1_b32 vcc_lo, exec_lo, s1
	s_cbranch_vccnz .LBB14_405
; %bb.404:
	v_cvt_i32_f64_e32 v2, v[0:1]
	global_store_b32 v[4:5], v2, off
.LBB14_405:
	s_mov_b32 s1, 0
.LBB14_406:
	s_delay_alu instid0(SALU_CYCLE_1)
	s_and_not1_b32 vcc_lo, exec_lo, s1
	s_cbranch_vccnz .LBB14_408
; %bb.407:
	v_cvt_i32_f64_e32 v2, v[0:1]
	global_store_b16 v[4:5], v2, off
.LBB14_408:
	s_mov_b32 s1, 0
.LBB14_409:
	s_delay_alu instid0(SALU_CYCLE_1)
	s_and_not1_b32 vcc_lo, exec_lo, s1
	s_cbranch_vccnz .LBB14_414
; %bb.410:
	v_cmp_lt_i16_e32 vcc_lo, 0, v6
	s_mov_b32 s1, -1
	s_cbranch_vccz .LBB14_412
; %bb.411:
	v_cvt_i32_f64_e32 v2, v[0:1]
	s_mov_b32 s1, 0
	global_store_b8 v[4:5], v2, off
.LBB14_412:
	s_and_not1_b32 vcc_lo, exec_lo, s1
	s_cbranch_vccnz .LBB14_414
; %bb.413:
	v_trunc_f64_e32 v[0:1], v[0:1]
	s_delay_alu instid0(VALU_DEP_1) | instskip(NEXT) | instid1(VALU_DEP_1)
	v_ldexp_f64 v[2:3], v[0:1], 0xffffffe0
	v_floor_f64_e32 v[2:3], v[2:3]
	s_delay_alu instid0(VALU_DEP_1) | instskip(NEXT) | instid1(VALU_DEP_1)
	v_fma_f64 v[0:1], 0xc1f00000, v[2:3], v[0:1]
	v_cvt_u32_f64_e32 v0, v[0:1]
	global_store_b8 v[4:5], v0, off
.LBB14_414:
	s_mov_b32 s1, -1
.LBB14_415:
	s_delay_alu instid0(SALU_CYCLE_1)
	s_and_not1_b32 vcc_lo, exec_lo, s1
	s_cbranch_vccnz .LBB14_417
; %bb.416:
	v_add_nc_u32_e32 v14, 0x80, v14
	s_mov_b32 s1, -1
	s_branch .LBB14_530
.LBB14_417:
	s_mov_b32 s1, 0
	s_branch .LBB14_529
.LBB14_418:
	s_mov_b32 s23, -1
                                        ; implicit-def: $vgpr2_vgpr3
.LBB14_419:
	s_mov_b32 s1, 0
.LBB14_420:
	s_delay_alu instid0(SALU_CYCLE_1)
	s_and_b32 vcc_lo, exec_lo, s1
	s_cbranch_vccz .LBB14_424
; %bb.421:
	v_cmp_eq_u16_e32 vcc_lo, 29, v12
	s_cbranch_vccz .LBB14_423
; %bb.422:
	global_load_b64 v[2:3], v[0:1], off
	s_mov_b32 s0, -1
	s_mov_b32 s23, 0
	s_mov_b32 s1, 0
	s_waitcnt vmcnt(0)
	v_cvt_f64_u32_e32 v[3:4], v3
	v_cvt_f64_u32_e32 v[5:6], v2
	s_delay_alu instid0(VALU_DEP_2) | instskip(NEXT) | instid1(VALU_DEP_1)
	v_ldexp_f64 v[3:4], v[3:4], 32
	v_add_f64 v[2:3], v[3:4], v[5:6]
	s_branch .LBB14_425
.LBB14_423:
	s_mov_b32 s23, -1
                                        ; implicit-def: $vgpr2_vgpr3
.LBB14_424:
	s_mov_b32 s1, 0
.LBB14_425:
	s_delay_alu instid0(SALU_CYCLE_1)
	s_and_b32 vcc_lo, exec_lo, s1
	s_cbranch_vccz .LBB14_445
; %bb.426:
	v_cmp_gt_i16_e32 vcc_lo, 27, v12
	s_cbranch_vccnz .LBB14_429
; %bb.427:
	v_cmp_lt_i16_e32 vcc_lo, 27, v12
	s_cbranch_vccz .LBB14_430
; %bb.428:
	global_load_b32 v2, v[0:1], off
	s_mov_b32 s0, 0
	s_waitcnt vmcnt(0)
	v_cvt_f64_u32_e32 v[2:3], v2
	s_branch .LBB14_431
.LBB14_429:
	s_mov_b32 s0, -1
                                        ; implicit-def: $vgpr2_vgpr3
	s_branch .LBB14_434
.LBB14_430:
	s_mov_b32 s0, -1
                                        ; implicit-def: $vgpr2_vgpr3
.LBB14_431:
	s_delay_alu instid0(SALU_CYCLE_1)
	s_and_not1_b32 vcc_lo, exec_lo, s0
	s_cbranch_vccnz .LBB14_433
; %bb.432:
	global_load_u16 v2, v[0:1], off
	s_waitcnt vmcnt(0)
	v_cvt_f64_u32_e32 v[2:3], v2
.LBB14_433:
	s_mov_b32 s0, 0
.LBB14_434:
	s_delay_alu instid0(SALU_CYCLE_1)
	s_and_not1_b32 vcc_lo, exec_lo, s0
	s_cbranch_vccnz .LBB14_444
; %bb.435:
	global_load_u8 v4, v[0:1], off
	s_mov_b32 s24, 0
	s_mov_b32 s26, exec_lo
                                        ; implicit-def: $sgpr0_sgpr1
	s_waitcnt vmcnt(0)
	v_cmpx_lt_i16_e32 0x7f, v4
	s_xor_b32 s26, exec_lo, s26
	s_cbranch_execz .LBB14_439
; %bb.436:
	s_mov_b32 s24, exec_lo
                                        ; implicit-def: $sgpr0_sgpr1
	v_cmpx_eq_u16_e32 0x80, v4
; %bb.437:
	s_mov_b32 s1, 0x7ff80000
	s_brev_b32 s0, 4
	s_xor_b32 s27, exec_lo, -1
; %bb.438:
	s_or_b32 exec_lo, exec_lo, s24
	s_delay_alu instid0(SALU_CYCLE_1)
	s_and_b32 s24, s27, exec_lo
.LBB14_439:
	s_or_saveexec_b32 s26, s26
	v_dual_mov_b32 v3, s1 :: v_dual_mov_b32 v2, s0
	s_xor_b32 exec_lo, exec_lo, s26
; %bb.440:
	v_cmp_ne_u16_e32 vcc_lo, 0, v4
	v_mov_b32_e32 v2, 0
	v_mov_b32_e32 v3, 0
	s_and_not1_b32 s0, s24, exec_lo
	s_and_b32 s1, vcc_lo, exec_lo
	s_delay_alu instid0(SALU_CYCLE_1)
	s_or_b32 s24, s0, s1
; %bb.441:
	s_or_b32 exec_lo, exec_lo, s26
	s_and_saveexec_b32 s0, s24
	s_cbranch_execz .LBB14_443
; %bb.442:
	v_and_b32_e32 v2, 0xffff, v4
	v_lshlrev_b32_e32 v4, 24, v4
	s_delay_alu instid0(VALU_DEP_2) | instskip(NEXT) | instid1(VALU_DEP_2)
	v_and_b32_e32 v3, 7, v2
	v_and_b32_e32 v4, 0x80000000, v4
	s_delay_alu instid0(VALU_DEP_2) | instskip(NEXT) | instid1(VALU_DEP_1)
	v_clz_i32_u32_e32 v5, v3
	v_min_u32_e32 v5, 32, v5
	s_delay_alu instid0(VALU_DEP_1) | instskip(SKIP_1) | instid1(VALU_DEP_2)
	v_subrev_nc_u32_e32 v6, 28, v5
	v_sub_nc_u32_e32 v5, 29, v5
	v_lshlrev_b32_e32 v6, v6, v2
	v_bfe_u32 v2, v2, 3, 4
	s_delay_alu instid0(VALU_DEP_2) | instskip(NEXT) | instid1(VALU_DEP_2)
	v_and_b32_e32 v6, 7, v6
	v_cmp_eq_u32_e32 vcc_lo, 0, v2
	s_delay_alu instid0(VALU_DEP_2) | instskip(NEXT) | instid1(VALU_DEP_1)
	v_dual_cndmask_b32 v2, v2, v5 :: v_dual_cndmask_b32 v3, v3, v6
	v_lshl_add_u32 v2, v2, 23, 0x3b800000
	s_delay_alu instid0(VALU_DEP_2) | instskip(NEXT) | instid1(VALU_DEP_1)
	v_lshlrev_b32_e32 v3, 20, v3
	v_or3_b32 v2, v4, v2, v3
	s_delay_alu instid0(VALU_DEP_1)
	v_cvt_f64_f32_e32 v[2:3], v2
.LBB14_443:
	s_or_b32 exec_lo, exec_lo, s0
.LBB14_444:
	s_mov_b32 s0, -1
.LBB14_445:
	s_mov_b32 s1, 0
.LBB14_446:
	s_delay_alu instid0(SALU_CYCLE_1)
	s_and_b32 vcc_lo, exec_lo, s1
	s_cbranch_vccz .LBB14_479
; %bb.447:
	v_cmp_lt_i16_e32 vcc_lo, 22, v12
	s_cbranch_vccz .LBB14_459
; %bb.448:
	v_cmp_gt_i16_e32 vcc_lo, 24, v12
	s_cbranch_vccnz .LBB14_460
; %bb.449:
	v_cmp_lt_i16_e32 vcc_lo, 24, v12
	s_cbranch_vccz .LBB14_461
; %bb.450:
	global_load_u8 v4, v[0:1], off
	s_mov_b32 s24, 0
	s_mov_b32 s26, exec_lo
                                        ; implicit-def: $sgpr0_sgpr1
	s_waitcnt vmcnt(0)
	v_cmpx_lt_i16_e32 0x7f, v4
	s_xor_b32 s26, exec_lo, s26
	s_cbranch_execz .LBB14_454
; %bb.451:
	s_mov_b32 s27, -1
	s_mov_b32 s24, exec_lo
                                        ; implicit-def: $sgpr0_sgpr1
	v_cmpx_eq_u16_e32 0x80, v4
; %bb.452:
	s_mov_b32 s1, 0x7ff80000
	s_brev_b32 s0, 4
	s_xor_b32 s27, exec_lo, -1
; %bb.453:
	s_or_b32 exec_lo, exec_lo, s24
	s_delay_alu instid0(SALU_CYCLE_1)
	s_and_b32 s24, s27, exec_lo
.LBB14_454:
	s_or_saveexec_b32 s26, s26
	v_dual_mov_b32 v3, s1 :: v_dual_mov_b32 v2, s0
	s_xor_b32 exec_lo, exec_lo, s26
; %bb.455:
	v_cmp_ne_u16_e32 vcc_lo, 0, v4
	v_mov_b32_e32 v2, 0
	v_mov_b32_e32 v3, 0
	s_and_not1_b32 s0, s24, exec_lo
	s_and_b32 s1, vcc_lo, exec_lo
	s_delay_alu instid0(SALU_CYCLE_1)
	s_or_b32 s24, s0, s1
; %bb.456:
	s_or_b32 exec_lo, exec_lo, s26
	s_and_saveexec_b32 s0, s24
	s_cbranch_execz .LBB14_458
; %bb.457:
	v_and_b32_e32 v2, 0xffff, v4
	v_lshlrev_b32_e32 v4, 24, v4
	s_delay_alu instid0(VALU_DEP_2) | instskip(NEXT) | instid1(VALU_DEP_2)
	v_and_b32_e32 v3, 3, v2
	v_and_b32_e32 v4, 0x80000000, v4
	s_delay_alu instid0(VALU_DEP_2) | instskip(NEXT) | instid1(VALU_DEP_1)
	v_clz_i32_u32_e32 v5, v3
	v_min_u32_e32 v5, 32, v5
	s_delay_alu instid0(VALU_DEP_1) | instskip(SKIP_1) | instid1(VALU_DEP_2)
	v_subrev_nc_u32_e32 v6, 29, v5
	v_sub_nc_u32_e32 v5, 30, v5
	v_lshlrev_b32_e32 v6, v6, v2
	v_bfe_u32 v2, v2, 2, 5
	s_delay_alu instid0(VALU_DEP_2) | instskip(NEXT) | instid1(VALU_DEP_2)
	v_and_b32_e32 v6, 3, v6
	v_cmp_eq_u32_e32 vcc_lo, 0, v2
	s_delay_alu instid0(VALU_DEP_2) | instskip(NEXT) | instid1(VALU_DEP_1)
	v_dual_cndmask_b32 v2, v2, v5 :: v_dual_cndmask_b32 v3, v3, v6
	v_lshl_add_u32 v2, v2, 23, 0x37800000
	s_delay_alu instid0(VALU_DEP_2) | instskip(NEXT) | instid1(VALU_DEP_1)
	v_lshlrev_b32_e32 v3, 21, v3
	v_or3_b32 v2, v4, v2, v3
	s_delay_alu instid0(VALU_DEP_1)
	v_cvt_f64_f32_e32 v[2:3], v2
.LBB14_458:
	s_or_b32 exec_lo, exec_lo, s0
	s_mov_b32 s0, 0
	s_branch .LBB14_462
.LBB14_459:
	s_mov_b32 s1, -1
                                        ; implicit-def: $vgpr2_vgpr3
	s_branch .LBB14_468
.LBB14_460:
	s_mov_b32 s0, -1
                                        ; implicit-def: $vgpr2_vgpr3
	s_branch .LBB14_465
.LBB14_461:
	s_mov_b32 s0, -1
                                        ; implicit-def: $vgpr2_vgpr3
.LBB14_462:
	s_delay_alu instid0(SALU_CYCLE_1)
	s_and_b32 vcc_lo, exec_lo, s0
	s_cbranch_vccz .LBB14_464
; %bb.463:
	global_load_u8 v2, v[0:1], off
	s_waitcnt vmcnt(0)
	v_lshlrev_b32_e32 v2, 24, v2
	s_delay_alu instid0(VALU_DEP_1) | instskip(NEXT) | instid1(VALU_DEP_1)
	v_and_b32_e32 v3, 0x7f000000, v2
	v_clz_i32_u32_e32 v4, v3
	v_add_nc_u32_e32 v6, 0x1000000, v3
	v_cmp_ne_u32_e32 vcc_lo, 0, v3
	s_delay_alu instid0(VALU_DEP_3) | instskip(NEXT) | instid1(VALU_DEP_1)
	v_min_u32_e32 v4, 32, v4
	v_sub_nc_u32_e64 v4, v4, 4 clamp
	s_delay_alu instid0(VALU_DEP_1) | instskip(SKIP_1) | instid1(VALU_DEP_2)
	v_lshlrev_b32_e32 v5, v4, v3
	v_lshlrev_b32_e32 v4, 23, v4
	v_lshrrev_b32_e32 v5, 4, v5
	s_delay_alu instid0(VALU_DEP_1) | instskip(SKIP_1) | instid1(VALU_DEP_2)
	v_sub_nc_u32_e32 v4, v5, v4
	v_ashrrev_i32_e32 v5, 8, v6
	v_add_nc_u32_e32 v4, 0x3c000000, v4
	s_delay_alu instid0(VALU_DEP_1) | instskip(NEXT) | instid1(VALU_DEP_1)
	v_and_or_b32 v4, 0x7f800000, v5, v4
	v_cndmask_b32_e32 v3, 0, v4, vcc_lo
	s_delay_alu instid0(VALU_DEP_1) | instskip(NEXT) | instid1(VALU_DEP_1)
	v_and_or_b32 v2, 0x80000000, v2, v3
	v_cvt_f64_f32_e32 v[2:3], v2
.LBB14_464:
	s_mov_b32 s0, 0
.LBB14_465:
	s_delay_alu instid0(SALU_CYCLE_1)
	s_and_not1_b32 vcc_lo, exec_lo, s0
	s_cbranch_vccnz .LBB14_467
; %bb.466:
	global_load_u8 v2, v[0:1], off
	s_waitcnt vmcnt(0)
	v_lshlrev_b32_e32 v3, 25, v2
	v_lshlrev_b16 v2, 8, v2
	s_delay_alu instid0(VALU_DEP_2) | instskip(NEXT) | instid1(VALU_DEP_2)
	v_lshrrev_b32_e32 v4, 4, v3
	v_and_or_b32 v5, 0x7f00, v2, 0.5
	v_bfe_i32 v2, v2, 0, 16
	s_delay_alu instid0(VALU_DEP_3) | instskip(NEXT) | instid1(VALU_DEP_1)
	v_or_b32_e32 v4, 0x70000000, v4
	v_dual_add_f32 v5, -0.5, v5 :: v_dual_mul_f32 v4, 0x7800000, v4
	v_cmp_gt_u32_e32 vcc_lo, 0x8000000, v3
	s_delay_alu instid0(VALU_DEP_2) | instskip(NEXT) | instid1(VALU_DEP_1)
	v_cndmask_b32_e32 v3, v4, v5, vcc_lo
	v_and_or_b32 v2, 0x80000000, v2, v3
	s_delay_alu instid0(VALU_DEP_1)
	v_cvt_f64_f32_e32 v[2:3], v2
.LBB14_467:
	s_mov_b32 s1, 0
	s_mov_b32 s0, -1
.LBB14_468:
	s_and_not1_b32 vcc_lo, exec_lo, s1
	s_cbranch_vccnz .LBB14_479
; %bb.469:
	v_cmp_lt_i16_e32 vcc_lo, 14, v12
	s_cbranch_vccz .LBB14_472
; %bb.470:
	v_cmp_eq_u16_e32 vcc_lo, 15, v12
	s_cbranch_vccz .LBB14_473
; %bb.471:
	global_load_u16 v2, v[0:1], off
	s_mov_b32 s0, -1
	s_mov_b32 s23, 0
	s_waitcnt vmcnt(0)
	v_lshlrev_b32_e32 v2, 16, v2
	s_delay_alu instid0(VALU_DEP_1)
	v_cvt_f64_f32_e32 v[2:3], v2
	s_branch .LBB14_474
.LBB14_472:
	s_mov_b32 s1, -1
                                        ; implicit-def: $vgpr2_vgpr3
	s_branch .LBB14_475
.LBB14_473:
	s_mov_b32 s23, -1
                                        ; implicit-def: $vgpr2_vgpr3
.LBB14_474:
	s_mov_b32 s1, 0
.LBB14_475:
	s_delay_alu instid0(SALU_CYCLE_1)
	s_and_b32 vcc_lo, exec_lo, s1
	s_cbranch_vccz .LBB14_479
; %bb.476:
	v_cmp_eq_u16_e32 vcc_lo, 11, v12
	s_cbranch_vccz .LBB14_478
; %bb.477:
	global_load_u8 v2, v[0:1], off
	s_mov_b32 s23, 0
	s_mov_b32 s0, -1
	s_waitcnt vmcnt(0)
	v_cmp_ne_u16_e32 vcc_lo, 0, v2
	v_mov_b32_e32 v2, 0
	v_cndmask_b32_e64 v3, 0, 0x3ff00000, vcc_lo
	s_branch .LBB14_479
.LBB14_478:
	s_mov_b32 s23, -1
                                        ; implicit-def: $vgpr2_vgpr3
.LBB14_479:
	s_branch .LBB14_271
.LBB14_480:
	v_cmp_gt_i16_e32 vcc_lo, 5, v12
	s_cbranch_vccnz .LBB14_485
; %bb.481:
	v_cmp_gt_i16_e32 vcc_lo, 8, v12
	s_cbranch_vccnz .LBB14_486
; %bb.482:
	;; [unrolled: 3-line block ×3, first 2 shown]
	v_cmp_lt_i16_e32 vcc_lo, 9, v12
	s_cbranch_vccz .LBB14_488
; %bb.484:
	global_load_b64 v[2:3], v[0:1], off
	s_mov_b32 s0, 0
	s_branch .LBB14_489
.LBB14_485:
	s_mov_b32 s0, -1
                                        ; implicit-def: $vgpr2_vgpr3
	s_branch .LBB14_507
.LBB14_486:
	s_mov_b32 s0, -1
                                        ; implicit-def: $vgpr2_vgpr3
	s_branch .LBB14_495
.LBB14_487:
	s_mov_b32 s0, -1
                                        ; implicit-def: $vgpr2_vgpr3
	s_branch .LBB14_492
.LBB14_488:
	s_mov_b32 s0, -1
                                        ; implicit-def: $vgpr2_vgpr3
.LBB14_489:
	s_delay_alu instid0(SALU_CYCLE_1)
	s_and_not1_b32 vcc_lo, exec_lo, s0
	s_cbranch_vccnz .LBB14_491
; %bb.490:
	global_load_b32 v2, v[0:1], off
	s_waitcnt vmcnt(0)
	v_cvt_f64_f32_e32 v[2:3], v2
.LBB14_491:
	s_mov_b32 s0, 0
.LBB14_492:
	s_delay_alu instid0(SALU_CYCLE_1)
	s_and_not1_b32 vcc_lo, exec_lo, s0
	s_cbranch_vccnz .LBB14_494
; %bb.493:
	global_load_b32 v2, v[0:1], off
	s_waitcnt vmcnt(0)
	v_cvt_f32_f16_e32 v2, v2
	s_delay_alu instid0(VALU_DEP_1)
	v_cvt_f64_f32_e32 v[2:3], v2
.LBB14_494:
	s_mov_b32 s0, 0
.LBB14_495:
	s_delay_alu instid0(SALU_CYCLE_1)
	s_and_not1_b32 vcc_lo, exec_lo, s0
	s_cbranch_vccnz .LBB14_506
; %bb.496:
	v_cmp_gt_i16_e32 vcc_lo, 6, v12
	s_cbranch_vccnz .LBB14_499
; %bb.497:
	v_cmp_lt_i16_e32 vcc_lo, 6, v12
	s_cbranch_vccz .LBB14_500
; %bb.498:
	global_load_b64 v[2:3], v[0:1], off
	s_mov_b32 s0, 0
	s_branch .LBB14_501
.LBB14_499:
	s_mov_b32 s0, -1
                                        ; implicit-def: $vgpr2_vgpr3
	s_branch .LBB14_504
.LBB14_500:
	s_mov_b32 s0, -1
                                        ; implicit-def: $vgpr2_vgpr3
.LBB14_501:
	s_delay_alu instid0(SALU_CYCLE_1)
	s_and_not1_b32 vcc_lo, exec_lo, s0
	s_cbranch_vccnz .LBB14_503
; %bb.502:
	global_load_b32 v2, v[0:1], off
	s_waitcnt vmcnt(0)
	v_cvt_f64_f32_e32 v[2:3], v2
.LBB14_503:
	s_mov_b32 s0, 0
.LBB14_504:
	s_delay_alu instid0(SALU_CYCLE_1)
	s_and_not1_b32 vcc_lo, exec_lo, s0
	s_cbranch_vccnz .LBB14_506
; %bb.505:
	global_load_u16 v2, v[0:1], off
	s_waitcnt vmcnt(0)
	v_cvt_f32_f16_e32 v2, v2
	s_delay_alu instid0(VALU_DEP_1)
	v_cvt_f64_f32_e32 v[2:3], v2
.LBB14_506:
	s_mov_b32 s0, 0
.LBB14_507:
	s_delay_alu instid0(SALU_CYCLE_1)
	s_and_not1_b32 vcc_lo, exec_lo, s0
	s_cbranch_vccnz .LBB14_527
; %bb.508:
	v_cmp_gt_i16_e32 vcc_lo, 2, v12
	s_cbranch_vccnz .LBB14_512
; %bb.509:
	v_cmp_gt_i16_e32 vcc_lo, 3, v12
	s_cbranch_vccnz .LBB14_513
; %bb.510:
	v_cmp_lt_i16_e32 vcc_lo, 3, v12
	s_cbranch_vccz .LBB14_514
; %bb.511:
	global_load_b64 v[2:3], v[0:1], off
	s_mov_b32 s0, 0
	s_waitcnt vmcnt(0)
	v_cvt_f64_i32_e32 v[3:4], v3
	v_cvt_f64_u32_e32 v[5:6], v2
	s_delay_alu instid0(VALU_DEP_2) | instskip(NEXT) | instid1(VALU_DEP_1)
	v_ldexp_f64 v[3:4], v[3:4], 32
	v_add_f64 v[2:3], v[3:4], v[5:6]
	s_branch .LBB14_515
.LBB14_512:
	s_mov_b32 s0, -1
                                        ; implicit-def: $vgpr2_vgpr3
	s_branch .LBB14_521
.LBB14_513:
	s_mov_b32 s0, -1
                                        ; implicit-def: $vgpr2_vgpr3
	s_branch .LBB14_518
.LBB14_514:
	s_mov_b32 s0, -1
                                        ; implicit-def: $vgpr2_vgpr3
.LBB14_515:
	s_delay_alu instid0(SALU_CYCLE_1)
	s_and_not1_b32 vcc_lo, exec_lo, s0
	s_cbranch_vccnz .LBB14_517
; %bb.516:
	global_load_b32 v2, v[0:1], off
	s_waitcnt vmcnt(0)
	v_cvt_f64_i32_e32 v[2:3], v2
.LBB14_517:
	s_mov_b32 s0, 0
.LBB14_518:
	s_delay_alu instid0(SALU_CYCLE_1)
	s_and_not1_b32 vcc_lo, exec_lo, s0
	s_cbranch_vccnz .LBB14_520
; %bb.519:
	global_load_i16 v2, v[0:1], off
	s_waitcnt vmcnt(0)
	v_cvt_f64_i32_e32 v[2:3], v2
.LBB14_520:
	s_mov_b32 s0, 0
.LBB14_521:
	s_delay_alu instid0(SALU_CYCLE_1)
	s_and_not1_b32 vcc_lo, exec_lo, s0
	s_cbranch_vccnz .LBB14_527
; %bb.522:
	v_cmp_lt_i16_e32 vcc_lo, 0, v12
	s_mov_b32 s0, 0
	s_cbranch_vccz .LBB14_524
; %bb.523:
	global_load_i8 v2, v[0:1], off
	s_waitcnt vmcnt(0)
	v_cvt_f64_i32_e32 v[2:3], v2
	s_branch .LBB14_525
.LBB14_524:
	s_mov_b32 s0, -1
                                        ; implicit-def: $vgpr2_vgpr3
.LBB14_525:
	s_delay_alu instid0(SALU_CYCLE_1)
	s_and_not1_b32 vcc_lo, exec_lo, s0
	s_cbranch_vccnz .LBB14_527
; %bb.526:
	global_load_u8 v0, v[0:1], off
	s_waitcnt vmcnt(0)
	v_cvt_f64_u32_e32 v[2:3], v0
.LBB14_527:
	s_branch .LBB14_272
.LBB14_528:
	s_mov_b32 s1, 0
	s_mov_b32 s0, s20
.LBB14_529:
                                        ; implicit-def: $vgpr14
.LBB14_530:
	s_and_not1_b32 s24, s20, exec_lo
	s_and_b32 s0, s0, exec_lo
	s_and_not1_b32 s26, s21, exec_lo
	s_and_b32 s23, s23, exec_lo
	s_or_b32 s24, s24, s0
	s_or_b32 s23, s26, s23
	s_or_not1_b32 s27, s1, exec_lo
.LBB14_531:
	s_or_b32 exec_lo, exec_lo, s25
	s_mov_b32 s1, 0
	s_mov_b32 s26, 0
	;; [unrolled: 1-line block ×3, first 2 shown]
                                        ; implicit-def: $vgpr0_vgpr1
                                        ; implicit-def: $vgpr2_vgpr3
	s_and_saveexec_b32 s25, s27
	s_cbranch_execz .LBB14_888
; %bb.532:
	s_mov_b32 s0, -1
	s_mov_b32 s27, s23
	s_mov_b32 s28, s24
	s_mov_b32 s26, exec_lo
	v_cmpx_gt_i32_e64 s19, v14
	s_cbranch_execz .LBB14_802
; %bb.533:
	v_mul_lo_u32 v0, v14, s3
	v_cmp_gt_i16_e32 vcc_lo, 11, v12
	s_delay_alu instid0(VALU_DEP_2) | instskip(SKIP_1) | instid1(VALU_DEP_1)
	v_ashrrev_i32_e32 v1, 31, v0
	v_add_co_u32 v0, s0, s6, v0
	v_add_co_ci_u32_e64 v1, s0, s7, v1, s0
	s_cbranch_vccnz .LBB14_540
; %bb.534:
	v_cmp_lt_i16_e32 vcc_lo, 25, v12
	s_cbranch_vccz .LBB14_541
; %bb.535:
	v_cmp_lt_i16_e32 vcc_lo, 28, v12
	s_cbranch_vccz .LBB14_542
; %bb.536:
	v_cmp_lt_i16_e32 vcc_lo, 43, v12
	s_cbranch_vccz .LBB14_543
; %bb.537:
	v_cmp_lt_i16_e32 vcc_lo, 45, v12
	s_cbranch_vccz .LBB14_546
; %bb.538:
	v_cmp_eq_u16_e32 vcc_lo, 46, v12
	s_cbranch_vccz .LBB14_549
; %bb.539:
	global_load_b32 v2, v[0:1], off
	s_mov_b32 s0, -1
	s_mov_b32 s27, 0
	s_waitcnt vmcnt(0)
	v_lshlrev_b32_e32 v2, 16, v2
	s_delay_alu instid0(VALU_DEP_1)
	v_cvt_f64_f32_e32 v[2:3], v2
	s_branch .LBB14_551
.LBB14_540:
	s_mov_b32 s1, -1
	s_mov_b32 s0, 0
	s_mov_b32 s27, s23
                                        ; implicit-def: $vgpr2_vgpr3
	s_branch .LBB14_616
.LBB14_541:
	s_mov_b32 s1, -1
	s_mov_b32 s0, 0
	s_mov_b32 s27, s23
                                        ; implicit-def: $vgpr2_vgpr3
	s_branch .LBB14_582
.LBB14_542:
	s_mov_b32 s1, -1
	s_mov_b32 s0, 0
	s_mov_b32 s27, s23
                                        ; implicit-def: $vgpr2_vgpr3
	s_branch .LBB14_561
.LBB14_543:
	s_mov_b32 s1, -1
	s_mov_b32 s0, 0
	s_mov_b32 s27, s23
                                        ; implicit-def: $vgpr2_vgpr3
	s_branch .LBB14_556
.LBB14_544:
	s_or_saveexec_b32 s26, s26
                                        ; implicit-def: $sgpr27
	s_delay_alu instid0(SALU_CYCLE_1)
	s_xor_b32 exec_lo, exec_lo, s26
	s_cbranch_execz .LBB14_328
.LBB14_545:
	v_add_f32_e64 v3, 0x46000000, |v2|
	s_and_not1_b32 s24, s24, exec_lo
	s_mov_b32 s27, 0
	s_delay_alu instid0(VALU_DEP_1) | instskip(NEXT) | instid1(VALU_DEP_1)
	v_and_b32_e32 v3, 0xff, v3
	v_cmp_ne_u32_e32 vcc_lo, 0, v3
	s_and_b32 s28, vcc_lo, exec_lo
	s_delay_alu instid0(SALU_CYCLE_1)
	s_or_b32 s24, s24, s28
	s_or_b32 exec_lo, exec_lo, s26
	v_mov_b32_e32 v7, s27
	s_and_saveexec_b32 s26, s24
	s_cbranch_execnz .LBB14_329
	s_branch .LBB14_330
.LBB14_546:
	s_mov_b32 s1, -1
	s_mov_b32 s0, 0
	s_mov_b32 s27, s23
	s_branch .LBB14_550
.LBB14_547:
	s_or_saveexec_b32 s26, s26
                                        ; implicit-def: $sgpr27
	s_delay_alu instid0(SALU_CYCLE_1)
	s_xor_b32 exec_lo, exec_lo, s26
	s_cbranch_execz .LBB14_341
.LBB14_548:
	v_add_f32_e64 v3, 0x42800000, |v2|
	s_and_not1_b32 s24, s24, exec_lo
	s_mov_b32 s27, 0
	s_delay_alu instid0(VALU_DEP_1) | instskip(NEXT) | instid1(VALU_DEP_1)
	v_and_b32_e32 v3, 0xff, v3
	v_cmp_ne_u32_e32 vcc_lo, 0, v3
	s_and_b32 s28, vcc_lo, exec_lo
	s_delay_alu instid0(SALU_CYCLE_1)
	s_or_b32 s24, s24, s28
	s_or_b32 exec_lo, exec_lo, s26
	v_mov_b32_e32 v7, s27
	s_and_saveexec_b32 s26, s24
	s_cbranch_execnz .LBB14_342
	s_branch .LBB14_343
.LBB14_549:
	s_mov_b32 s27, -1
	s_mov_b32 s0, 0
.LBB14_550:
                                        ; implicit-def: $vgpr2_vgpr3
.LBB14_551:
	s_and_b32 vcc_lo, exec_lo, s1
	s_cbranch_vccz .LBB14_555
; %bb.552:
	v_cmp_eq_u16_e32 vcc_lo, 44, v12
	s_cbranch_vccz .LBB14_554
; %bb.553:
	global_load_u8 v4, v[0:1], off
	s_mov_b32 s27, 0
	s_mov_b32 s0, -1
	s_waitcnt vmcnt(0)
	v_cmp_ne_u32_e32 vcc_lo, 0xff, v4
	v_lshlrev_b32_e32 v2, 23, v4
	s_delay_alu instid0(VALU_DEP_1) | instskip(NEXT) | instid1(VALU_DEP_1)
	v_cvt_f64_f32_e32 v[2:3], v2
	v_cndmask_b32_e32 v3, 0x7ff80000, v3, vcc_lo
	s_delay_alu instid0(VALU_DEP_2) | instskip(SKIP_1) | instid1(VALU_DEP_3)
	v_cndmask_b32_e32 v2, 0x20000000, v2, vcc_lo
	v_cmp_ne_u32_e32 vcc_lo, 0, v4
	v_cndmask_b32_e32 v3, 0x38000000, v3, vcc_lo
	s_delay_alu instid0(VALU_DEP_3)
	v_cndmask_b32_e32 v2, 0, v2, vcc_lo
	s_branch .LBB14_555
.LBB14_554:
	s_mov_b32 s27, -1
                                        ; implicit-def: $vgpr2_vgpr3
.LBB14_555:
	s_mov_b32 s1, 0
.LBB14_556:
	s_delay_alu instid0(SALU_CYCLE_1)
	s_and_b32 vcc_lo, exec_lo, s1
	s_cbranch_vccz .LBB14_560
; %bb.557:
	v_cmp_eq_u16_e32 vcc_lo, 29, v12
	s_cbranch_vccz .LBB14_559
; %bb.558:
	global_load_b64 v[2:3], v[0:1], off
	s_mov_b32 s0, -1
	s_mov_b32 s27, 0
	s_mov_b32 s1, 0
	s_waitcnt vmcnt(0)
	v_cvt_f64_u32_e32 v[3:4], v3
	v_cvt_f64_u32_e32 v[5:6], v2
	s_delay_alu instid0(VALU_DEP_2) | instskip(NEXT) | instid1(VALU_DEP_1)
	v_ldexp_f64 v[3:4], v[3:4], 32
	v_add_f64 v[2:3], v[3:4], v[5:6]
	s_branch .LBB14_561
.LBB14_559:
	s_mov_b32 s27, -1
                                        ; implicit-def: $vgpr2_vgpr3
.LBB14_560:
	s_mov_b32 s1, 0
.LBB14_561:
	s_delay_alu instid0(SALU_CYCLE_1)
	s_and_b32 vcc_lo, exec_lo, s1
	s_cbranch_vccz .LBB14_581
; %bb.562:
	v_cmp_gt_i16_e32 vcc_lo, 27, v12
	s_cbranch_vccnz .LBB14_565
; %bb.563:
	v_cmp_lt_i16_e32 vcc_lo, 27, v12
	s_cbranch_vccz .LBB14_566
; %bb.564:
	global_load_b32 v2, v[0:1], off
	s_mov_b32 s0, 0
	s_waitcnt vmcnt(0)
	v_cvt_f64_u32_e32 v[2:3], v2
	s_branch .LBB14_567
.LBB14_565:
	s_mov_b32 s0, -1
                                        ; implicit-def: $vgpr2_vgpr3
	s_branch .LBB14_570
.LBB14_566:
	s_mov_b32 s0, -1
                                        ; implicit-def: $vgpr2_vgpr3
.LBB14_567:
	s_delay_alu instid0(SALU_CYCLE_1)
	s_and_not1_b32 vcc_lo, exec_lo, s0
	s_cbranch_vccnz .LBB14_569
; %bb.568:
	global_load_u16 v2, v[0:1], off
	s_waitcnt vmcnt(0)
	v_cvt_f64_u32_e32 v[2:3], v2
.LBB14_569:
	s_mov_b32 s0, 0
.LBB14_570:
	s_delay_alu instid0(SALU_CYCLE_1)
	s_and_not1_b32 vcc_lo, exec_lo, s0
	s_cbranch_vccnz .LBB14_580
; %bb.571:
	global_load_u8 v4, v[0:1], off
	s_mov_b32 s28, 0
	s_mov_b32 s29, exec_lo
                                        ; implicit-def: $sgpr0_sgpr1
	s_waitcnt vmcnt(0)
	v_cmpx_lt_i16_e32 0x7f, v4
	s_xor_b32 s29, exec_lo, s29
	s_cbranch_execz .LBB14_575
; %bb.572:
	s_mov_b32 s30, -1
	s_mov_b32 s28, exec_lo
                                        ; implicit-def: $sgpr0_sgpr1
	v_cmpx_eq_u16_e32 0x80, v4
; %bb.573:
	s_mov_b32 s1, 0x7ff80000
	s_brev_b32 s0, 4
	s_xor_b32 s30, exec_lo, -1
; %bb.574:
	s_or_b32 exec_lo, exec_lo, s28
	s_delay_alu instid0(SALU_CYCLE_1)
	s_and_b32 s28, s30, exec_lo
.LBB14_575:
	s_or_saveexec_b32 s29, s29
	v_dual_mov_b32 v3, s1 :: v_dual_mov_b32 v2, s0
	s_xor_b32 exec_lo, exec_lo, s29
; %bb.576:
	v_cmp_ne_u16_e32 vcc_lo, 0, v4
	v_mov_b32_e32 v2, 0
	v_mov_b32_e32 v3, 0
	s_and_not1_b32 s0, s28, exec_lo
	s_and_b32 s1, vcc_lo, exec_lo
	s_delay_alu instid0(SALU_CYCLE_1)
	s_or_b32 s28, s0, s1
; %bb.577:
	s_or_b32 exec_lo, exec_lo, s29
	s_and_saveexec_b32 s0, s28
	s_cbranch_execz .LBB14_579
; %bb.578:
	v_and_b32_e32 v2, 0xffff, v4
	v_lshlrev_b32_e32 v4, 24, v4
	s_delay_alu instid0(VALU_DEP_2) | instskip(NEXT) | instid1(VALU_DEP_2)
	v_and_b32_e32 v3, 7, v2
	v_and_b32_e32 v4, 0x80000000, v4
	s_delay_alu instid0(VALU_DEP_2) | instskip(NEXT) | instid1(VALU_DEP_1)
	v_clz_i32_u32_e32 v5, v3
	v_min_u32_e32 v5, 32, v5
	s_delay_alu instid0(VALU_DEP_1) | instskip(SKIP_1) | instid1(VALU_DEP_2)
	v_subrev_nc_u32_e32 v6, 28, v5
	v_sub_nc_u32_e32 v5, 29, v5
	v_lshlrev_b32_e32 v6, v6, v2
	v_bfe_u32 v2, v2, 3, 4
	s_delay_alu instid0(VALU_DEP_2) | instskip(NEXT) | instid1(VALU_DEP_2)
	v_and_b32_e32 v6, 7, v6
	v_cmp_eq_u32_e32 vcc_lo, 0, v2
	s_delay_alu instid0(VALU_DEP_2) | instskip(NEXT) | instid1(VALU_DEP_1)
	v_dual_cndmask_b32 v2, v2, v5 :: v_dual_cndmask_b32 v3, v3, v6
	v_lshl_add_u32 v2, v2, 23, 0x3b800000
	s_delay_alu instid0(VALU_DEP_2) | instskip(NEXT) | instid1(VALU_DEP_1)
	v_lshlrev_b32_e32 v3, 20, v3
	v_or3_b32 v2, v4, v2, v3
	s_delay_alu instid0(VALU_DEP_1)
	v_cvt_f64_f32_e32 v[2:3], v2
.LBB14_579:
	s_or_b32 exec_lo, exec_lo, s0
.LBB14_580:
	s_mov_b32 s0, -1
.LBB14_581:
	s_mov_b32 s1, 0
.LBB14_582:
	s_delay_alu instid0(SALU_CYCLE_1)
	s_and_b32 vcc_lo, exec_lo, s1
	s_cbranch_vccz .LBB14_615
; %bb.583:
	v_cmp_lt_i16_e32 vcc_lo, 22, v12
	s_cbranch_vccz .LBB14_595
; %bb.584:
	v_cmp_gt_i16_e32 vcc_lo, 24, v12
	s_cbranch_vccnz .LBB14_596
; %bb.585:
	v_cmp_lt_i16_e32 vcc_lo, 24, v12
	s_cbranch_vccz .LBB14_597
; %bb.586:
	global_load_u8 v4, v[0:1], off
	s_mov_b32 s28, 0
	s_mov_b32 s29, exec_lo
                                        ; implicit-def: $sgpr0_sgpr1
	s_waitcnt vmcnt(0)
	v_cmpx_lt_i16_e32 0x7f, v4
	s_xor_b32 s29, exec_lo, s29
	s_cbranch_execz .LBB14_590
; %bb.587:
	s_mov_b32 s30, -1
	s_mov_b32 s28, exec_lo
                                        ; implicit-def: $sgpr0_sgpr1
	v_cmpx_eq_u16_e32 0x80, v4
; %bb.588:
	s_mov_b32 s1, 0x7ff80000
	s_brev_b32 s0, 4
	s_xor_b32 s30, exec_lo, -1
; %bb.589:
	s_or_b32 exec_lo, exec_lo, s28
	s_delay_alu instid0(SALU_CYCLE_1)
	s_and_b32 s28, s30, exec_lo
.LBB14_590:
	s_or_saveexec_b32 s29, s29
	v_dual_mov_b32 v3, s1 :: v_dual_mov_b32 v2, s0
	s_xor_b32 exec_lo, exec_lo, s29
; %bb.591:
	v_cmp_ne_u16_e32 vcc_lo, 0, v4
	v_mov_b32_e32 v2, 0
	v_mov_b32_e32 v3, 0
	s_and_not1_b32 s0, s28, exec_lo
	s_and_b32 s1, vcc_lo, exec_lo
	s_delay_alu instid0(SALU_CYCLE_1)
	s_or_b32 s28, s0, s1
; %bb.592:
	s_or_b32 exec_lo, exec_lo, s29
	s_and_saveexec_b32 s0, s28
	s_cbranch_execz .LBB14_594
; %bb.593:
	v_and_b32_e32 v2, 0xffff, v4
	v_lshlrev_b32_e32 v4, 24, v4
	s_delay_alu instid0(VALU_DEP_2) | instskip(NEXT) | instid1(VALU_DEP_2)
	v_and_b32_e32 v3, 3, v2
	v_and_b32_e32 v4, 0x80000000, v4
	s_delay_alu instid0(VALU_DEP_2) | instskip(NEXT) | instid1(VALU_DEP_1)
	v_clz_i32_u32_e32 v5, v3
	v_min_u32_e32 v5, 32, v5
	s_delay_alu instid0(VALU_DEP_1) | instskip(SKIP_1) | instid1(VALU_DEP_2)
	v_subrev_nc_u32_e32 v6, 29, v5
	v_sub_nc_u32_e32 v5, 30, v5
	v_lshlrev_b32_e32 v6, v6, v2
	v_bfe_u32 v2, v2, 2, 5
	s_delay_alu instid0(VALU_DEP_2) | instskip(NEXT) | instid1(VALU_DEP_2)
	v_and_b32_e32 v6, 3, v6
	v_cmp_eq_u32_e32 vcc_lo, 0, v2
	s_delay_alu instid0(VALU_DEP_2) | instskip(NEXT) | instid1(VALU_DEP_1)
	v_dual_cndmask_b32 v2, v2, v5 :: v_dual_cndmask_b32 v3, v3, v6
	v_lshl_add_u32 v2, v2, 23, 0x37800000
	s_delay_alu instid0(VALU_DEP_2) | instskip(NEXT) | instid1(VALU_DEP_1)
	v_lshlrev_b32_e32 v3, 21, v3
	v_or3_b32 v2, v4, v2, v3
	s_delay_alu instid0(VALU_DEP_1)
	v_cvt_f64_f32_e32 v[2:3], v2
.LBB14_594:
	s_or_b32 exec_lo, exec_lo, s0
	s_mov_b32 s0, 0
	s_branch .LBB14_598
.LBB14_595:
	s_mov_b32 s1, -1
                                        ; implicit-def: $vgpr2_vgpr3
	s_branch .LBB14_604
.LBB14_596:
	s_mov_b32 s0, -1
                                        ; implicit-def: $vgpr2_vgpr3
	s_branch .LBB14_601
.LBB14_597:
	s_mov_b32 s0, -1
                                        ; implicit-def: $vgpr2_vgpr3
.LBB14_598:
	s_delay_alu instid0(SALU_CYCLE_1)
	s_and_b32 vcc_lo, exec_lo, s0
	s_cbranch_vccz .LBB14_600
; %bb.599:
	global_load_u8 v2, v[0:1], off
	s_waitcnt vmcnt(0)
	v_lshlrev_b32_e32 v2, 24, v2
	s_delay_alu instid0(VALU_DEP_1) | instskip(NEXT) | instid1(VALU_DEP_1)
	v_and_b32_e32 v3, 0x7f000000, v2
	v_clz_i32_u32_e32 v4, v3
	v_add_nc_u32_e32 v6, 0x1000000, v3
	v_cmp_ne_u32_e32 vcc_lo, 0, v3
	s_delay_alu instid0(VALU_DEP_3) | instskip(NEXT) | instid1(VALU_DEP_1)
	v_min_u32_e32 v4, 32, v4
	v_sub_nc_u32_e64 v4, v4, 4 clamp
	s_delay_alu instid0(VALU_DEP_1) | instskip(SKIP_1) | instid1(VALU_DEP_2)
	v_lshlrev_b32_e32 v5, v4, v3
	v_lshlrev_b32_e32 v4, 23, v4
	v_lshrrev_b32_e32 v5, 4, v5
	s_delay_alu instid0(VALU_DEP_1) | instskip(SKIP_1) | instid1(VALU_DEP_2)
	v_sub_nc_u32_e32 v4, v5, v4
	v_ashrrev_i32_e32 v5, 8, v6
	v_add_nc_u32_e32 v4, 0x3c000000, v4
	s_delay_alu instid0(VALU_DEP_1) | instskip(NEXT) | instid1(VALU_DEP_1)
	v_and_or_b32 v4, 0x7f800000, v5, v4
	v_cndmask_b32_e32 v3, 0, v4, vcc_lo
	s_delay_alu instid0(VALU_DEP_1) | instskip(NEXT) | instid1(VALU_DEP_1)
	v_and_or_b32 v2, 0x80000000, v2, v3
	v_cvt_f64_f32_e32 v[2:3], v2
.LBB14_600:
	s_mov_b32 s0, 0
.LBB14_601:
	s_delay_alu instid0(SALU_CYCLE_1)
	s_and_not1_b32 vcc_lo, exec_lo, s0
	s_cbranch_vccnz .LBB14_603
; %bb.602:
	global_load_u8 v2, v[0:1], off
	s_waitcnt vmcnt(0)
	v_lshlrev_b32_e32 v3, 25, v2
	v_lshlrev_b16 v2, 8, v2
	s_delay_alu instid0(VALU_DEP_2) | instskip(NEXT) | instid1(VALU_DEP_2)
	v_lshrrev_b32_e32 v4, 4, v3
	v_and_or_b32 v5, 0x7f00, v2, 0.5
	v_bfe_i32 v2, v2, 0, 16
	s_delay_alu instid0(VALU_DEP_3) | instskip(NEXT) | instid1(VALU_DEP_1)
	v_or_b32_e32 v4, 0x70000000, v4
	v_dual_add_f32 v5, -0.5, v5 :: v_dual_mul_f32 v4, 0x7800000, v4
	v_cmp_gt_u32_e32 vcc_lo, 0x8000000, v3
	s_delay_alu instid0(VALU_DEP_2) | instskip(NEXT) | instid1(VALU_DEP_1)
	v_cndmask_b32_e32 v3, v4, v5, vcc_lo
	v_and_or_b32 v2, 0x80000000, v2, v3
	s_delay_alu instid0(VALU_DEP_1)
	v_cvt_f64_f32_e32 v[2:3], v2
.LBB14_603:
	s_mov_b32 s1, 0
	s_mov_b32 s0, -1
.LBB14_604:
	s_and_not1_b32 vcc_lo, exec_lo, s1
	s_cbranch_vccnz .LBB14_615
; %bb.605:
	v_cmp_lt_i16_e32 vcc_lo, 14, v12
	s_cbranch_vccz .LBB14_608
; %bb.606:
	v_cmp_eq_u16_e32 vcc_lo, 15, v12
	s_cbranch_vccz .LBB14_609
; %bb.607:
	global_load_u16 v2, v[0:1], off
	s_mov_b32 s0, -1
	s_mov_b32 s27, 0
	s_waitcnt vmcnt(0)
	v_lshlrev_b32_e32 v2, 16, v2
	s_delay_alu instid0(VALU_DEP_1)
	v_cvt_f64_f32_e32 v[2:3], v2
	s_branch .LBB14_610
.LBB14_608:
	s_mov_b32 s1, -1
                                        ; implicit-def: $vgpr2_vgpr3
	s_branch .LBB14_611
.LBB14_609:
	s_mov_b32 s27, -1
                                        ; implicit-def: $vgpr2_vgpr3
.LBB14_610:
	s_mov_b32 s1, 0
.LBB14_611:
	s_delay_alu instid0(SALU_CYCLE_1)
	s_and_b32 vcc_lo, exec_lo, s1
	s_cbranch_vccz .LBB14_615
; %bb.612:
	v_cmp_eq_u16_e32 vcc_lo, 11, v12
	s_cbranch_vccz .LBB14_614
; %bb.613:
	global_load_u8 v2, v[0:1], off
	s_mov_b32 s27, 0
	s_mov_b32 s0, -1
	s_waitcnt vmcnt(0)
	v_cmp_ne_u16_e32 vcc_lo, 0, v2
	v_mov_b32_e32 v2, 0
	v_cndmask_b32_e64 v3, 0, 0x3ff00000, vcc_lo
	s_branch .LBB14_615
.LBB14_614:
	s_mov_b32 s27, -1
                                        ; implicit-def: $vgpr2_vgpr3
.LBB14_615:
	s_mov_b32 s1, 0
.LBB14_616:
	s_delay_alu instid0(SALU_CYCLE_1)
	s_and_b32 vcc_lo, exec_lo, s1
	s_cbranch_vccz .LBB14_665
; %bb.617:
	v_cmp_gt_i16_e32 vcc_lo, 5, v12
	s_cbranch_vccnz .LBB14_622
; %bb.618:
	v_cmp_gt_i16_e32 vcc_lo, 8, v12
	s_cbranch_vccnz .LBB14_623
	;; [unrolled: 3-line block ×3, first 2 shown]
; %bb.620:
	v_cmp_lt_i16_e32 vcc_lo, 9, v12
	s_cbranch_vccz .LBB14_625
; %bb.621:
	global_load_b64 v[2:3], v[0:1], off
	s_mov_b32 s0, 0
	s_branch .LBB14_626
.LBB14_622:
	s_mov_b32 s0, -1
                                        ; implicit-def: $vgpr2_vgpr3
	s_branch .LBB14_644
.LBB14_623:
	s_mov_b32 s0, -1
                                        ; implicit-def: $vgpr2_vgpr3
	s_branch .LBB14_632
.LBB14_624:
	s_mov_b32 s0, -1
                                        ; implicit-def: $vgpr2_vgpr3
	s_branch .LBB14_629
.LBB14_625:
	s_mov_b32 s0, -1
                                        ; implicit-def: $vgpr2_vgpr3
.LBB14_626:
	s_delay_alu instid0(SALU_CYCLE_1)
	s_and_not1_b32 vcc_lo, exec_lo, s0
	s_cbranch_vccnz .LBB14_628
; %bb.627:
	global_load_b32 v2, v[0:1], off
	s_waitcnt vmcnt(0)
	v_cvt_f64_f32_e32 v[2:3], v2
.LBB14_628:
	s_mov_b32 s0, 0
.LBB14_629:
	s_delay_alu instid0(SALU_CYCLE_1)
	s_and_not1_b32 vcc_lo, exec_lo, s0
	s_cbranch_vccnz .LBB14_631
; %bb.630:
	global_load_b32 v2, v[0:1], off
	s_waitcnt vmcnt(0)
	v_cvt_f32_f16_e32 v2, v2
	s_delay_alu instid0(VALU_DEP_1)
	v_cvt_f64_f32_e32 v[2:3], v2
.LBB14_631:
	s_mov_b32 s0, 0
.LBB14_632:
	s_delay_alu instid0(SALU_CYCLE_1)
	s_and_not1_b32 vcc_lo, exec_lo, s0
	s_cbranch_vccnz .LBB14_643
; %bb.633:
	v_cmp_gt_i16_e32 vcc_lo, 6, v12
	s_cbranch_vccnz .LBB14_636
; %bb.634:
	v_cmp_lt_i16_e32 vcc_lo, 6, v12
	s_cbranch_vccz .LBB14_637
; %bb.635:
	global_load_b64 v[2:3], v[0:1], off
	s_mov_b32 s0, 0
	s_branch .LBB14_638
.LBB14_636:
	s_mov_b32 s0, -1
                                        ; implicit-def: $vgpr2_vgpr3
	s_branch .LBB14_641
.LBB14_637:
	s_mov_b32 s0, -1
                                        ; implicit-def: $vgpr2_vgpr3
.LBB14_638:
	s_delay_alu instid0(SALU_CYCLE_1)
	s_and_not1_b32 vcc_lo, exec_lo, s0
	s_cbranch_vccnz .LBB14_640
; %bb.639:
	global_load_b32 v2, v[0:1], off
	s_waitcnt vmcnt(0)
	v_cvt_f64_f32_e32 v[2:3], v2
.LBB14_640:
	s_mov_b32 s0, 0
.LBB14_641:
	s_delay_alu instid0(SALU_CYCLE_1)
	s_and_not1_b32 vcc_lo, exec_lo, s0
	s_cbranch_vccnz .LBB14_643
; %bb.642:
	global_load_u16 v2, v[0:1], off
	s_waitcnt vmcnt(0)
	v_cvt_f32_f16_e32 v2, v2
	s_delay_alu instid0(VALU_DEP_1)
	v_cvt_f64_f32_e32 v[2:3], v2
.LBB14_643:
	s_mov_b32 s0, 0
.LBB14_644:
	s_delay_alu instid0(SALU_CYCLE_1)
	s_and_not1_b32 vcc_lo, exec_lo, s0
	s_cbranch_vccnz .LBB14_664
; %bb.645:
	v_cmp_gt_i16_e32 vcc_lo, 2, v12
	s_cbranch_vccnz .LBB14_649
; %bb.646:
	v_cmp_gt_i16_e32 vcc_lo, 3, v12
	s_cbranch_vccnz .LBB14_650
; %bb.647:
	v_cmp_lt_i16_e32 vcc_lo, 3, v12
	s_cbranch_vccz .LBB14_651
; %bb.648:
	global_load_b64 v[2:3], v[0:1], off
	s_mov_b32 s0, 0
	s_waitcnt vmcnt(0)
	v_cvt_f64_i32_e32 v[3:4], v3
	v_cvt_f64_u32_e32 v[5:6], v2
	s_delay_alu instid0(VALU_DEP_2) | instskip(NEXT) | instid1(VALU_DEP_1)
	v_ldexp_f64 v[3:4], v[3:4], 32
	v_add_f64 v[2:3], v[3:4], v[5:6]
	s_branch .LBB14_652
.LBB14_649:
	s_mov_b32 s0, -1
                                        ; implicit-def: $vgpr2_vgpr3
	s_branch .LBB14_658
.LBB14_650:
	s_mov_b32 s0, -1
                                        ; implicit-def: $vgpr2_vgpr3
	s_branch .LBB14_655
.LBB14_651:
	s_mov_b32 s0, -1
                                        ; implicit-def: $vgpr2_vgpr3
.LBB14_652:
	s_delay_alu instid0(SALU_CYCLE_1)
	s_and_not1_b32 vcc_lo, exec_lo, s0
	s_cbranch_vccnz .LBB14_654
; %bb.653:
	global_load_b32 v2, v[0:1], off
	s_waitcnt vmcnt(0)
	v_cvt_f64_i32_e32 v[2:3], v2
.LBB14_654:
	s_mov_b32 s0, 0
.LBB14_655:
	s_delay_alu instid0(SALU_CYCLE_1)
	s_and_not1_b32 vcc_lo, exec_lo, s0
	s_cbranch_vccnz .LBB14_657
; %bb.656:
	global_load_i16 v2, v[0:1], off
	s_waitcnt vmcnt(0)
	v_cvt_f64_i32_e32 v[2:3], v2
.LBB14_657:
	s_mov_b32 s0, 0
.LBB14_658:
	s_delay_alu instid0(SALU_CYCLE_1)
	s_and_not1_b32 vcc_lo, exec_lo, s0
	s_cbranch_vccnz .LBB14_664
; %bb.659:
	v_cmp_lt_i16_e32 vcc_lo, 0, v12
	s_mov_b32 s0, 0
	s_cbranch_vccz .LBB14_661
; %bb.660:
	global_load_i8 v2, v[0:1], off
	s_waitcnt vmcnt(0)
	v_cvt_f64_i32_e32 v[2:3], v2
	s_branch .LBB14_662
.LBB14_661:
	s_mov_b32 s0, -1
                                        ; implicit-def: $vgpr2_vgpr3
.LBB14_662:
	s_delay_alu instid0(SALU_CYCLE_1)
	s_and_not1_b32 vcc_lo, exec_lo, s0
	s_cbranch_vccnz .LBB14_664
; %bb.663:
	global_load_u8 v0, v[0:1], off
	s_waitcnt vmcnt(0)
	v_cvt_f64_u32_e32 v[2:3], v0
.LBB14_664:
	s_mov_b32 s0, -1
.LBB14_665:
	s_delay_alu instid0(SALU_CYCLE_1)
	s_and_not1_b32 vcc_lo, exec_lo, s0
	s_cbranch_vccnz .LBB14_673
; %bb.666:
	v_mov_b32_e32 v0, 0
	v_mov_b32_e32 v1, 0
	s_and_not1_b32 vcc_lo, exec_lo, s18
	s_cbranch_vccnz .LBB14_677
; %bb.667:
	v_cmp_lt_i64_e64 s0, s[12:13], 1
	v_mov_b32_e32 v0, 0
	v_mov_b32_e32 v1, 0x3ff00000
	s_delay_alu instid0(VALU_DEP_3)
	s_and_b32 vcc_lo, exec_lo, s0
	s_cbranch_vccnz .LBB14_677
; %bb.668:
	s_cmp_lg_u64 s[12:13], 1
	s_cbranch_scc0 .LBB14_674
; %bb.669:
	v_mov_b32_e32 v0, 0
	v_mov_b32_e32 v1, 0x7ff80000
	s_and_not1_b32 vcc_lo, exec_lo, s17
	s_cbranch_vccnz .LBB14_672
; %bb.670:
	s_waitcnt vmcnt(0)
	v_add_f64 v[4:5], v[2:3], v[2:3]
	v_mov_b32_e32 v6, 0
	v_mov_b32_e32 v7, 0x3ff00000
	s_mov_b64 s[0:1], 2
	s_delay_alu instid0(VALU_DEP_3)
	v_dual_mov_b32 v0, v4 :: v_dual_mov_b32 v1, v5
.LBB14_671:                             ; =>This Inner Loop Header: Depth=1
	v_cvt_f64_u32_e32 v[8:9], s1
	v_cvt_f64_u32_e32 v[10:11], s0
	s_add_u32 s0, s0, 2
	s_addc_u32 s1, s1, 0
	s_delay_alu instid0(SALU_CYCLE_1) | instskip(NEXT) | instid1(VALU_DEP_1)
	v_cmp_lt_u64_e64 s28, s[0:1], s[10:11]
	s_and_b32 vcc_lo, exec_lo, s28
	s_delay_alu instid0(VALU_DEP_3) | instskip(NEXT) | instid1(VALU_DEP_1)
	v_ldexp_f64 v[8:9], v[8:9], 32
	v_add_f64 v[8:9], v[8:9], v[10:11]
	s_delay_alu instid0(VALU_DEP_1) | instskip(SKIP_1) | instid1(VALU_DEP_1)
	v_mul_f64 v[6:7], v[6:7], v[8:9]
	v_dual_mov_b32 v9, v1 :: v_dual_mov_b32 v8, v0
	v_fma_f64 v[0:1], v[4:5], v[8:9], -v[6:7]
	v_dual_mov_b32 v6, v8 :: v_dual_mov_b32 v7, v9
	s_cbranch_vccnz .LBB14_671
.LBB14_672:
	s_mov_b32 s0, 0
	s_branch .LBB14_675
.LBB14_673:
	s_mov_b32 s1, 0
	s_mov_b32 s0, s24
	s_branch .LBB14_800
.LBB14_674:
	s_mov_b32 s0, -1
                                        ; implicit-def: $vgpr0_vgpr1
.LBB14_675:
	s_delay_alu instid0(SALU_CYCLE_1)
	s_and_not1_b32 vcc_lo, exec_lo, s0
	s_cbranch_vccnz .LBB14_677
; %bb.676:
	s_waitcnt vmcnt(0)
	v_add_f64 v[0:1], v[2:3], v[2:3]
.LBB14_677:
	s_waitcnt vmcnt(0)
	v_mul_lo_u32 v2, v14, s2
	v_and_b32_e64 v6, 0xff, s14
	s_delay_alu instid0(VALU_DEP_1) | instskip(NEXT) | instid1(VALU_DEP_3)
	v_cmp_gt_i16_e32 vcc_lo, 11, v6
	v_ashrrev_i32_e32 v3, 31, v2
	v_add_co_u32 v4, s0, s4, v2
	s_delay_alu instid0(VALU_DEP_1)
	v_add_co_ci_u32_e64 v5, s0, s5, v3, s0
	s_cbranch_vccnz .LBB14_684
; %bb.678:
	v_cmp_lt_i16_e32 vcc_lo, 25, v6
	s_cbranch_vccz .LBB14_685
; %bb.679:
	v_cmp_lt_i16_e32 vcc_lo, 28, v6
	s_cbranch_vccz .LBB14_686
	;; [unrolled: 3-line block ×4, first 2 shown]
; %bb.682:
	v_cmp_eq_u16_e32 vcc_lo, 46, v6
	s_mov_b32 s28, 0
	s_mov_b32 s0, -1
	s_mov_b32 s1, 0
	s_cbranch_vccz .LBB14_689
; %bb.683:
	v_cvt_f32_f64_e32 v2, v[0:1]
	s_mov_b32 s1, -1
	s_mov_b32 s0, 0
	s_delay_alu instid0(VALU_DEP_1) | instskip(SKIP_1) | instid1(VALU_DEP_2)
	v_bfe_u32 v3, v2, 16, 1
	v_cmp_o_f32_e32 vcc_lo, v2, v2
	v_add3_u32 v3, v2, v3, 0x7fff
	s_delay_alu instid0(VALU_DEP_1) | instskip(NEXT) | instid1(VALU_DEP_1)
	v_lshrrev_b32_e32 v3, 16, v3
	v_cndmask_b32_e32 v2, 0x7fc0, v3, vcc_lo
	global_store_b32 v[4:5], v2, off
	s_branch .LBB14_689
.LBB14_684:
	s_mov_b32 s28, -1
	s_mov_b32 s1, 0
	s_mov_b32 s0, s24
	s_branch .LBB14_758
.LBB14_685:
	s_mov_b32 s28, -1
	s_mov_b32 s1, 0
	s_mov_b32 s0, s24
	s_branch .LBB14_716
.LBB14_686:
	s_mov_b32 s28, -1
	s_mov_b32 s1, 0
	s_mov_b32 s0, s24
	s_branch .LBB14_699
.LBB14_687:
	s_mov_b32 s28, -1
	s_mov_b32 s1, 0
	s_mov_b32 s0, s24
	s_branch .LBB14_695
.LBB14_688:
	s_mov_b32 s28, -1
	s_mov_b32 s1, 0
	s_mov_b32 s0, s24
.LBB14_689:
	s_and_b32 vcc_lo, exec_lo, s28
	s_cbranch_vccz .LBB14_694
; %bb.690:
	v_cmp_eq_u16_e32 vcc_lo, 44, v6
	s_mov_b32 s0, -1
	s_cbranch_vccz .LBB14_694
; %bb.691:
	v_cvt_f32_f64_e32 v2, v[0:1]
	v_mov_b32_e32 v3, 0xff
	s_mov_b32 s1, exec_lo
	s_delay_alu instid0(VALU_DEP_2) | instskip(NEXT) | instid1(VALU_DEP_1)
	v_bfe_u32 v7, v2, 23, 8
	v_cmpx_ne_u32_e32 0xff, v7
; %bb.692:
	v_and_b32_e32 v3, 0x400000, v2
	v_and_or_b32 v7, 0x3fffff, v2, v7
	v_lshrrev_b32_e32 v2, 23, v2
	s_delay_alu instid0(VALU_DEP_3) | instskip(NEXT) | instid1(VALU_DEP_3)
	v_cmp_ne_u32_e32 vcc_lo, 0, v3
	v_cmp_ne_u32_e64 s0, 0, v7
	s_delay_alu instid0(VALU_DEP_1) | instskip(NEXT) | instid1(SALU_CYCLE_1)
	s_and_b32 s0, vcc_lo, s0
	v_cndmask_b32_e64 v3, 0, 1, s0
	s_delay_alu instid0(VALU_DEP_1)
	v_add_nc_u32_e32 v3, v2, v3
; %bb.693:
	s_or_b32 exec_lo, exec_lo, s1
	s_mov_b32 s1, -1
	s_mov_b32 s0, 0
	global_store_b8 v[4:5], v3, off
.LBB14_694:
	s_mov_b32 s28, 0
.LBB14_695:
	s_delay_alu instid0(SALU_CYCLE_1)
	s_and_b32 vcc_lo, exec_lo, s28
	s_cbranch_vccz .LBB14_698
; %bb.696:
	v_cmp_eq_u16_e32 vcc_lo, 29, v6
	s_mov_b32 s0, -1
	s_cbranch_vccz .LBB14_698
; %bb.697:
	v_trunc_f64_e32 v[2:3], v[0:1]
	s_mov_b32 s1, -1
	s_mov_b32 s0, 0
	s_mov_b32 s28, 0
	s_delay_alu instid0(VALU_DEP_1) | instskip(NEXT) | instid1(VALU_DEP_1)
	v_ldexp_f64 v[7:8], v[2:3], 0xffffffe0
	v_floor_f64_e32 v[7:8], v[7:8]
	s_delay_alu instid0(VALU_DEP_1) | instskip(SKIP_1) | instid1(VALU_DEP_2)
	v_fma_f64 v[2:3], 0xc1f00000, v[7:8], v[2:3]
	v_cvt_u32_f64_e32 v8, v[7:8]
	v_cvt_u32_f64_e32 v7, v[2:3]
	global_store_b64 v[4:5], v[7:8], off
	s_branch .LBB14_699
.LBB14_698:
	s_mov_b32 s28, 0
.LBB14_699:
	s_delay_alu instid0(SALU_CYCLE_1)
	s_and_b32 vcc_lo, exec_lo, s28
	s_cbranch_vccz .LBB14_715
; %bb.700:
	v_cmp_gt_i16_e32 vcc_lo, 27, v6
	s_mov_b32 s1, -1
	s_cbranch_vccnz .LBB14_706
; %bb.701:
	v_cmp_lt_i16_e32 vcc_lo, 27, v6
	s_cbranch_vccz .LBB14_703
; %bb.702:
	v_cvt_u32_f64_e32 v2, v[0:1]
	s_mov_b32 s1, 0
	global_store_b32 v[4:5], v2, off
.LBB14_703:
	s_and_not1_b32 vcc_lo, exec_lo, s1
	s_cbranch_vccnz .LBB14_705
; %bb.704:
	v_cvt_u32_f64_e32 v2, v[0:1]
	global_store_b16 v[4:5], v2, off
.LBB14_705:
	s_mov_b32 s1, 0
.LBB14_706:
	s_delay_alu instid0(SALU_CYCLE_1)
	s_and_not1_b32 vcc_lo, exec_lo, s1
	s_cbranch_vccnz .LBB14_714
; %bb.707:
	v_cvt_f32_f64_e32 v2, v[0:1]
	v_mov_b32_e32 v7, 0x80
	s_mov_b32 s1, exec_lo
	s_delay_alu instid0(VALU_DEP_2) | instskip(NEXT) | instid1(VALU_DEP_1)
	v_and_b32_e32 v3, 0x7fffffff, v2
	v_cmpx_gt_u32_e32 0x43800000, v3
	s_cbranch_execz .LBB14_713
; %bb.708:
	v_cmp_lt_u32_e32 vcc_lo, 0x3bffffff, v3
	s_mov_b32 s28, 0
                                        ; implicit-def: $vgpr3
	s_and_saveexec_b32 s29, vcc_lo
	s_delay_alu instid0(SALU_CYCLE_1)
	s_xor_b32 s29, exec_lo, s29
	s_cbranch_execz .LBB14_815
; %bb.709:
	v_bfe_u32 v3, v2, 20, 1
	s_mov_b32 s28, exec_lo
	s_delay_alu instid0(VALU_DEP_1) | instskip(NEXT) | instid1(VALU_DEP_1)
	v_add3_u32 v3, v2, v3, 0x487ffff
	v_lshrrev_b32_e32 v3, 20, v3
	s_or_saveexec_b32 s29, s29
                                        ; implicit-def: $sgpr30
	s_delay_alu instid0(SALU_CYCLE_1)
	s_xor_b32 exec_lo, exec_lo, s29
	s_cbranch_execnz .LBB14_816
.LBB14_710:
	s_or_b32 exec_lo, exec_lo, s29
	v_mov_b32_e32 v7, s30
	s_and_saveexec_b32 s29, s28
.LBB14_711:
	v_lshrrev_b32_e32 v2, 24, v2
	s_delay_alu instid0(VALU_DEP_1)
	v_and_or_b32 v7, 0x80, v2, v3
.LBB14_712:
	s_or_b32 exec_lo, exec_lo, s29
.LBB14_713:
	s_delay_alu instid0(SALU_CYCLE_1)
	s_or_b32 exec_lo, exec_lo, s1
	global_store_b8 v[4:5], v7, off
.LBB14_714:
	s_mov_b32 s1, -1
.LBB14_715:
	s_mov_b32 s28, 0
.LBB14_716:
	s_delay_alu instid0(SALU_CYCLE_1)
	s_and_b32 vcc_lo, exec_lo, s28
	s_cbranch_vccz .LBB14_757
; %bb.717:
	v_cmp_lt_i16_e32 vcc_lo, 22, v6
	s_mov_b32 s28, -1
	s_cbranch_vccz .LBB14_749
; %bb.718:
	v_cmp_gt_i16_e32 vcc_lo, 24, v6
	s_mov_b32 s1, -1
	s_cbranch_vccnz .LBB14_738
; %bb.719:
	v_cmp_lt_i16_e32 vcc_lo, 24, v6
	s_cbranch_vccz .LBB14_727
; %bb.720:
	v_cvt_f32_f64_e32 v2, v[0:1]
	v_mov_b32_e32 v7, 0x80
	s_mov_b32 s1, exec_lo
	s_delay_alu instid0(VALU_DEP_2) | instskip(NEXT) | instid1(VALU_DEP_1)
	v_and_b32_e32 v3, 0x7fffffff, v2
	v_cmpx_gt_u32_e32 0x47800000, v3
	s_cbranch_execz .LBB14_726
; %bb.721:
	v_cmp_lt_u32_e32 vcc_lo, 0x37ffffff, v3
	s_mov_b32 s28, 0
                                        ; implicit-def: $vgpr3
	s_and_saveexec_b32 s29, vcc_lo
	s_delay_alu instid0(SALU_CYCLE_1)
	s_xor_b32 s29, exec_lo, s29
	s_cbranch_execz .LBB14_818
; %bb.722:
	v_bfe_u32 v3, v2, 21, 1
	s_mov_b32 s28, exec_lo
	s_delay_alu instid0(VALU_DEP_1) | instskip(NEXT) | instid1(VALU_DEP_1)
	v_add3_u32 v3, v2, v3, 0x88fffff
	v_lshrrev_b32_e32 v3, 21, v3
	s_or_saveexec_b32 s29, s29
                                        ; implicit-def: $sgpr30
	s_delay_alu instid0(SALU_CYCLE_1)
	s_xor_b32 exec_lo, exec_lo, s29
	s_cbranch_execnz .LBB14_819
.LBB14_723:
	s_or_b32 exec_lo, exec_lo, s29
	v_mov_b32_e32 v7, s30
	s_and_saveexec_b32 s29, s28
.LBB14_724:
	v_lshrrev_b32_e32 v2, 24, v2
	s_delay_alu instid0(VALU_DEP_1)
	v_and_or_b32 v7, 0x80, v2, v3
.LBB14_725:
	s_or_b32 exec_lo, exec_lo, s29
.LBB14_726:
	s_delay_alu instid0(SALU_CYCLE_1)
	s_or_b32 exec_lo, exec_lo, s1
	s_mov_b32 s1, 0
	global_store_b8 v[4:5], v7, off
.LBB14_727:
	s_and_b32 vcc_lo, exec_lo, s1
	s_cbranch_vccz .LBB14_737
; %bb.728:
	v_cvt_f32_f64_e32 v2, v[0:1]
	s_mov_b32 s1, exec_lo
                                        ; implicit-def: $vgpr3
	s_delay_alu instid0(VALU_DEP_1) | instskip(NEXT) | instid1(VALU_DEP_1)
	v_and_b32_e32 v7, 0x7fffffff, v2
	v_cmpx_gt_u32_e32 0x43f00000, v7
	s_xor_b32 s1, exec_lo, s1
	s_cbranch_execz .LBB14_734
; %bb.729:
	s_mov_b32 s28, exec_lo
                                        ; implicit-def: $vgpr3
	v_cmpx_lt_u32_e32 0x3c7fffff, v7
	s_xor_b32 s28, exec_lo, s28
; %bb.730:
	v_bfe_u32 v3, v2, 20, 1
	s_delay_alu instid0(VALU_DEP_1) | instskip(NEXT) | instid1(VALU_DEP_1)
	v_add3_u32 v3, v2, v3, 0x407ffff
	v_and_b32_e32 v7, 0xff00000, v3
	v_lshrrev_b32_e32 v3, 20, v3
	s_delay_alu instid0(VALU_DEP_2) | instskip(NEXT) | instid1(VALU_DEP_2)
	v_cmp_ne_u32_e32 vcc_lo, 0x7f00000, v7
	v_cndmask_b32_e32 v3, 0x7e, v3, vcc_lo
; %bb.731:
	s_and_not1_saveexec_b32 s28, s28
; %bb.732:
	v_add_f32_e64 v3, 0x46800000, |v2|
; %bb.733:
	s_or_b32 exec_lo, exec_lo, s28
                                        ; implicit-def: $vgpr7
.LBB14_734:
	s_and_not1_saveexec_b32 s1, s1
; %bb.735:
	v_mov_b32_e32 v3, 0x7f
	v_cmp_lt_u32_e32 vcc_lo, 0x7f800000, v7
	s_delay_alu instid0(VALU_DEP_2)
	v_cndmask_b32_e32 v3, 0x7e, v3, vcc_lo
; %bb.736:
	s_or_b32 exec_lo, exec_lo, s1
	v_lshrrev_b32_e32 v2, 24, v2
	s_delay_alu instid0(VALU_DEP_1)
	v_and_or_b32 v2, 0x80, v2, v3
	global_store_b8 v[4:5], v2, off
.LBB14_737:
	s_mov_b32 s1, 0
.LBB14_738:
	s_delay_alu instid0(SALU_CYCLE_1)
	s_and_not1_b32 vcc_lo, exec_lo, s1
	s_cbranch_vccnz .LBB14_748
; %bb.739:
	v_cvt_f32_f64_e32 v2, v[0:1]
	s_mov_b32 s1, exec_lo
                                        ; implicit-def: $vgpr3
	s_delay_alu instid0(VALU_DEP_1) | instskip(NEXT) | instid1(VALU_DEP_1)
	v_and_b32_e32 v7, 0x7fffffff, v2
	v_cmpx_gt_u32_e32 0x47800000, v7
	s_xor_b32 s1, exec_lo, s1
	s_cbranch_execz .LBB14_745
; %bb.740:
	s_mov_b32 s28, exec_lo
                                        ; implicit-def: $vgpr3
	v_cmpx_lt_u32_e32 0x387fffff, v7
	s_xor_b32 s28, exec_lo, s28
; %bb.741:
	v_bfe_u32 v3, v2, 21, 1
	s_delay_alu instid0(VALU_DEP_1) | instskip(NEXT) | instid1(VALU_DEP_1)
	v_add3_u32 v3, v2, v3, 0x80fffff
	v_lshrrev_b32_e32 v3, 21, v3
; %bb.742:
	s_and_not1_saveexec_b32 s28, s28
; %bb.743:
	v_add_f32_e64 v3, 0x43000000, |v2|
; %bb.744:
	s_or_b32 exec_lo, exec_lo, s28
                                        ; implicit-def: $vgpr7
.LBB14_745:
	s_and_not1_saveexec_b32 s1, s1
; %bb.746:
	v_mov_b32_e32 v3, 0x7f
	v_cmp_lt_u32_e32 vcc_lo, 0x7f800000, v7
	s_delay_alu instid0(VALU_DEP_2)
	v_cndmask_b32_e32 v3, 0x7c, v3, vcc_lo
; %bb.747:
	s_or_b32 exec_lo, exec_lo, s1
	v_lshrrev_b32_e32 v2, 24, v2
	s_delay_alu instid0(VALU_DEP_1)
	v_and_or_b32 v2, 0x80, v2, v3
	global_store_b8 v[4:5], v2, off
.LBB14_748:
	s_mov_b32 s28, 0
	s_mov_b32 s1, -1
.LBB14_749:
	s_and_not1_b32 vcc_lo, exec_lo, s28
	s_cbranch_vccnz .LBB14_757
; %bb.750:
	v_cmp_lt_i16_e32 vcc_lo, 14, v6
	s_mov_b32 s28, -1
	s_cbranch_vccz .LBB14_754
; %bb.751:
	v_cmp_eq_u16_e32 vcc_lo, 15, v6
	s_mov_b32 s0, -1
	s_cbranch_vccz .LBB14_753
; %bb.752:
	v_cvt_f32_f64_e32 v2, v[0:1]
	s_mov_b32 s1, -1
	s_mov_b32 s0, 0
	s_delay_alu instid0(VALU_DEP_1) | instskip(SKIP_1) | instid1(VALU_DEP_2)
	v_bfe_u32 v3, v2, 16, 1
	v_cmp_o_f32_e32 vcc_lo, v2, v2
	v_add3_u32 v3, v2, v3, 0x7fff
	s_delay_alu instid0(VALU_DEP_1) | instskip(NEXT) | instid1(VALU_DEP_1)
	v_lshrrev_b32_e32 v3, 16, v3
	v_cndmask_b32_e32 v2, 0x7fc0, v3, vcc_lo
	global_store_b16 v[4:5], v2, off
.LBB14_753:
	s_mov_b32 s28, 0
.LBB14_754:
	s_delay_alu instid0(SALU_CYCLE_1)
	s_and_b32 vcc_lo, exec_lo, s28
	s_cbranch_vccz .LBB14_757
; %bb.755:
	v_cmp_eq_u16_e32 vcc_lo, 11, v6
	s_mov_b32 s0, -1
	s_cbranch_vccz .LBB14_757
; %bb.756:
	v_cmp_neq_f64_e32 vcc_lo, 0, v[0:1]
	s_mov_b32 s1, -1
	s_mov_b32 s0, 0
	v_cndmask_b32_e64 v2, 0, 1, vcc_lo
	global_store_b8 v[4:5], v2, off
.LBB14_757:
	s_mov_b32 s28, 0
.LBB14_758:
	s_delay_alu instid0(SALU_CYCLE_1)
	s_and_b32 vcc_lo, exec_lo, s28
	s_cbranch_vccz .LBB14_797
; %bb.759:
	v_cmp_gt_i16_e32 vcc_lo, 5, v6
	s_mov_b32 s1, -1
	s_cbranch_vccnz .LBB14_780
; %bb.760:
	v_cmp_gt_i16_e32 vcc_lo, 8, v6
	s_cbranch_vccnz .LBB14_770
; %bb.761:
	v_cmp_gt_i16_e32 vcc_lo, 9, v6
	s_cbranch_vccnz .LBB14_767
; %bb.762:
	v_cmp_lt_i16_e32 vcc_lo, 9, v6
	s_cbranch_vccz .LBB14_764
; %bb.763:
	v_mov_b32_e32 v2, 0
	s_mov_b32 s1, 0
	s_delay_alu instid0(VALU_DEP_1)
	v_mov_b32_e32 v3, v2
	global_store_b128 v[4:5], v[0:3], off
.LBB14_764:
	s_and_not1_b32 vcc_lo, exec_lo, s1
	s_cbranch_vccnz .LBB14_766
; %bb.765:
	v_cvt_f32_f64_e32 v2, v[0:1]
	v_mov_b32_e32 v3, 0
	global_store_b64 v[4:5], v[2:3], off
.LBB14_766:
	s_mov_b32 s1, 0
.LBB14_767:
	s_delay_alu instid0(SALU_CYCLE_1)
	s_and_not1_b32 vcc_lo, exec_lo, s1
	s_cbranch_vccnz .LBB14_769
; %bb.768:
	v_cvt_f32_f64_e32 v2, v[0:1]
	s_delay_alu instid0(VALU_DEP_1) | instskip(NEXT) | instid1(VALU_DEP_1)
	v_cvt_f16_f32_e32 v2, v2
	v_and_b32_e32 v2, 0xffff, v2
	global_store_b32 v[4:5], v2, off
.LBB14_769:
	s_mov_b32 s1, 0
.LBB14_770:
	s_delay_alu instid0(SALU_CYCLE_1)
	s_and_not1_b32 vcc_lo, exec_lo, s1
	s_cbranch_vccnz .LBB14_779
; %bb.771:
	v_cmp_gt_i16_e32 vcc_lo, 6, v6
	s_mov_b32 s1, -1
	s_cbranch_vccnz .LBB14_777
; %bb.772:
	v_cmp_lt_i16_e32 vcc_lo, 6, v6
	s_cbranch_vccz .LBB14_774
; %bb.773:
	s_mov_b32 s1, 0
	global_store_b64 v[4:5], v[0:1], off
.LBB14_774:
	s_and_not1_b32 vcc_lo, exec_lo, s1
	s_cbranch_vccnz .LBB14_776
; %bb.775:
	v_cvt_f32_f64_e32 v2, v[0:1]
	global_store_b32 v[4:5], v2, off
.LBB14_776:
	s_mov_b32 s1, 0
.LBB14_777:
	s_delay_alu instid0(SALU_CYCLE_1)
	s_and_not1_b32 vcc_lo, exec_lo, s1
	s_cbranch_vccnz .LBB14_779
; %bb.778:
	v_cvt_f32_f64_e32 v2, v[0:1]
	s_delay_alu instid0(VALU_DEP_1)
	v_cvt_f16_f32_e32 v2, v2
	global_store_b16 v[4:5], v2, off
.LBB14_779:
	s_mov_b32 s1, 0
.LBB14_780:
	s_delay_alu instid0(SALU_CYCLE_1)
	s_and_not1_b32 vcc_lo, exec_lo, s1
	s_cbranch_vccnz .LBB14_796
; %bb.781:
	v_cmp_gt_i16_e32 vcc_lo, 2, v6
	s_mov_b32 s1, -1
	s_cbranch_vccnz .LBB14_791
; %bb.782:
	v_cmp_gt_i16_e32 vcc_lo, 3, v6
	s_cbranch_vccnz .LBB14_788
; %bb.783:
	v_cmp_lt_i16_e32 vcc_lo, 3, v6
	s_cbranch_vccz .LBB14_785
; %bb.784:
	v_trunc_f64_e32 v[2:3], v[0:1]
	s_mov_b32 s1, 0
	s_delay_alu instid0(VALU_DEP_1) | instskip(NEXT) | instid1(VALU_DEP_1)
	v_ldexp_f64 v[7:8], v[2:3], 0xffffffe0
	v_floor_f64_e32 v[7:8], v[7:8]
	s_delay_alu instid0(VALU_DEP_1) | instskip(SKIP_1) | instid1(VALU_DEP_2)
	v_fma_f64 v[2:3], 0xc1f00000, v[7:8], v[2:3]
	v_cvt_i32_f64_e32 v8, v[7:8]
	v_cvt_u32_f64_e32 v7, v[2:3]
	global_store_b64 v[4:5], v[7:8], off
.LBB14_785:
	s_and_not1_b32 vcc_lo, exec_lo, s1
	s_cbranch_vccnz .LBB14_787
; %bb.786:
	v_cvt_i32_f64_e32 v2, v[0:1]
	global_store_b32 v[4:5], v2, off
.LBB14_787:
	s_mov_b32 s1, 0
.LBB14_788:
	s_delay_alu instid0(SALU_CYCLE_1)
	s_and_not1_b32 vcc_lo, exec_lo, s1
	s_cbranch_vccnz .LBB14_790
; %bb.789:
	v_cvt_i32_f64_e32 v2, v[0:1]
	global_store_b16 v[4:5], v2, off
.LBB14_790:
	s_mov_b32 s1, 0
.LBB14_791:
	s_delay_alu instid0(SALU_CYCLE_1)
	s_and_not1_b32 vcc_lo, exec_lo, s1
	s_cbranch_vccnz .LBB14_796
; %bb.792:
	v_cmp_lt_i16_e32 vcc_lo, 0, v6
	s_mov_b32 s1, -1
	s_cbranch_vccz .LBB14_794
; %bb.793:
	v_cvt_i32_f64_e32 v2, v[0:1]
	s_mov_b32 s1, 0
	global_store_b8 v[4:5], v2, off
.LBB14_794:
	s_and_not1_b32 vcc_lo, exec_lo, s1
	s_cbranch_vccnz .LBB14_796
; %bb.795:
	v_trunc_f64_e32 v[0:1], v[0:1]
	s_delay_alu instid0(VALU_DEP_1) | instskip(NEXT) | instid1(VALU_DEP_1)
	v_ldexp_f64 v[2:3], v[0:1], 0xffffffe0
	v_floor_f64_e32 v[2:3], v[2:3]
	s_delay_alu instid0(VALU_DEP_1) | instskip(NEXT) | instid1(VALU_DEP_1)
	v_fma_f64 v[0:1], 0xc1f00000, v[2:3], v[0:1]
	v_cvt_u32_f64_e32 v0, v[0:1]
	global_store_b8 v[4:5], v0, off
.LBB14_796:
	s_mov_b32 s1, -1
.LBB14_797:
	s_delay_alu instid0(SALU_CYCLE_1)
	s_and_not1_b32 vcc_lo, exec_lo, s1
	s_cbranch_vccnz .LBB14_799
; %bb.798:
	v_add_nc_u32_e32 v14, 0x80, v14
	s_mov_b32 s1, -1
	s_branch .LBB14_801
.LBB14_799:
	s_mov_b32 s1, 0
.LBB14_800:
                                        ; implicit-def: $vgpr14
.LBB14_801:
	s_and_not1_b32 s28, s24, exec_lo
	s_and_b32 s0, s0, exec_lo
	s_and_not1_b32 s29, s23, exec_lo
	s_and_b32 s27, s27, exec_lo
	s_or_b32 s28, s28, s0
	s_or_b32 s27, s29, s27
	s_or_not1_b32 s0, s1, exec_lo
.LBB14_802:
	s_or_b32 exec_lo, exec_lo, s26
	s_mov_b32 s1, 0
	s_mov_b32 s29, 0
	;; [unrolled: 1-line block ×3, first 2 shown]
                                        ; implicit-def: $vgpr0_vgpr1
                                        ; implicit-def: $vgpr2_vgpr3
	s_and_saveexec_b32 s26, s0
	s_cbranch_execz .LBB14_887
; %bb.803:
	v_cmp_gt_i32_e32 vcc_lo, s19, v14
	s_mov_b32 s0, 0
	s_mov_b32 s31, s27
	s_mov_b32 s33, 0
                                        ; implicit-def: $vgpr0_vgpr1
                                        ; implicit-def: $vgpr2_vgpr3
	s_and_saveexec_b32 s19, vcc_lo
	s_cbranch_execz .LBB14_886
; %bb.804:
	v_mul_lo_u32 v0, v14, s3
	v_cmp_gt_i16_e32 vcc_lo, 11, v12
	s_delay_alu instid0(VALU_DEP_2) | instskip(SKIP_1) | instid1(VALU_DEP_1)
	v_ashrrev_i32_e32 v1, 31, v0
	v_add_co_u32 v0, s0, s6, v0
	v_add_co_ci_u32_e64 v1, s0, s7, v1, s0
	s_cbranch_vccnz .LBB14_811
; %bb.805:
	v_cmp_lt_i16_e32 vcc_lo, 25, v12
	s_cbranch_vccz .LBB14_812
; %bb.806:
	v_cmp_lt_i16_e32 vcc_lo, 28, v12
	s_cbranch_vccz .LBB14_813
	;; [unrolled: 3-line block ×4, first 2 shown]
; %bb.809:
	v_cmp_eq_u16_e32 vcc_lo, 46, v12
	s_cbranch_vccz .LBB14_820
; %bb.810:
	global_load_b32 v2, v[0:1], off
	s_mov_b32 s0, -1
	s_waitcnt vmcnt(0)
	v_lshlrev_b32_e32 v2, 16, v2
	s_delay_alu instid0(VALU_DEP_1)
	v_cvt_f64_f32_e32 v[2:3], v2
	s_branch .LBB14_822
.LBB14_811:
	s_mov_b32 s1, -1
	s_mov_b32 s0, 0
	s_mov_b32 s29, s27
                                        ; implicit-def: $vgpr2_vgpr3
	s_branch .LBB14_885
.LBB14_812:
	s_mov_b32 s1, -1
	s_mov_b32 s0, 0
	s_mov_b32 s29, s27
                                        ; implicit-def: $vgpr2_vgpr3
	s_branch .LBB14_853
.LBB14_813:
	s_mov_b32 s1, -1
	s_mov_b32 s0, 0
	s_mov_b32 s29, s27
                                        ; implicit-def: $vgpr2_vgpr3
	s_branch .LBB14_832
.LBB14_814:
	s_mov_b32 s1, -1
	s_mov_b32 s0, 0
	s_mov_b32 s29, s27
                                        ; implicit-def: $vgpr2_vgpr3
	s_branch .LBB14_827
.LBB14_815:
	s_or_saveexec_b32 s29, s29
                                        ; implicit-def: $sgpr30
	s_delay_alu instid0(SALU_CYCLE_1)
	s_xor_b32 exec_lo, exec_lo, s29
	s_cbranch_execz .LBB14_710
.LBB14_816:
	v_add_f32_e64 v3, 0x46000000, |v2|
	s_and_not1_b32 s28, s28, exec_lo
	s_mov_b32 s30, 0
	s_delay_alu instid0(VALU_DEP_1) | instskip(NEXT) | instid1(VALU_DEP_1)
	v_and_b32_e32 v3, 0xff, v3
	v_cmp_ne_u32_e32 vcc_lo, 0, v3
	s_and_b32 s31, vcc_lo, exec_lo
	s_delay_alu instid0(SALU_CYCLE_1)
	s_or_b32 s28, s28, s31
	s_or_b32 exec_lo, exec_lo, s29
	v_mov_b32_e32 v7, s30
	s_and_saveexec_b32 s29, s28
	s_cbranch_execnz .LBB14_711
	s_branch .LBB14_712
.LBB14_817:
	s_mov_b32 s1, -1
	s_mov_b32 s0, 0
	s_mov_b32 s29, s27
	s_branch .LBB14_821
.LBB14_818:
	s_or_saveexec_b32 s29, s29
                                        ; implicit-def: $sgpr30
	s_delay_alu instid0(SALU_CYCLE_1)
	s_xor_b32 exec_lo, exec_lo, s29
	s_cbranch_execz .LBB14_723
.LBB14_819:
	v_add_f32_e64 v3, 0x42800000, |v2|
	s_and_not1_b32 s28, s28, exec_lo
	s_mov_b32 s30, 0
	s_delay_alu instid0(VALU_DEP_1) | instskip(NEXT) | instid1(VALU_DEP_1)
	v_and_b32_e32 v3, 0xff, v3
	v_cmp_ne_u32_e32 vcc_lo, 0, v3
	s_and_b32 s31, vcc_lo, exec_lo
	s_delay_alu instid0(SALU_CYCLE_1)
	s_or_b32 s28, s28, s31
	s_or_b32 exec_lo, exec_lo, s29
	v_mov_b32_e32 v7, s30
	s_and_saveexec_b32 s29, s28
	s_cbranch_execnz .LBB14_724
	s_branch .LBB14_725
.LBB14_820:
	s_mov_b32 s29, -1
	s_mov_b32 s0, 0
.LBB14_821:
                                        ; implicit-def: $vgpr2_vgpr3
.LBB14_822:
	s_and_b32 vcc_lo, exec_lo, s1
	s_cbranch_vccz .LBB14_826
; %bb.823:
	v_cmp_eq_u16_e32 vcc_lo, 44, v12
	s_cbranch_vccz .LBB14_825
; %bb.824:
	global_load_u8 v4, v[0:1], off
	s_mov_b32 s29, 0
	s_mov_b32 s0, -1
	s_waitcnt vmcnt(0)
	v_cmp_ne_u32_e32 vcc_lo, 0xff, v4
	v_lshlrev_b32_e32 v2, 23, v4
	s_delay_alu instid0(VALU_DEP_1) | instskip(NEXT) | instid1(VALU_DEP_1)
	v_cvt_f64_f32_e32 v[2:3], v2
	v_cndmask_b32_e32 v3, 0x7ff80000, v3, vcc_lo
	s_delay_alu instid0(VALU_DEP_2) | instskip(SKIP_1) | instid1(VALU_DEP_3)
	v_cndmask_b32_e32 v2, 0x20000000, v2, vcc_lo
	v_cmp_ne_u32_e32 vcc_lo, 0, v4
	v_cndmask_b32_e32 v3, 0x38000000, v3, vcc_lo
	s_delay_alu instid0(VALU_DEP_3)
	v_cndmask_b32_e32 v2, 0, v2, vcc_lo
	s_branch .LBB14_826
.LBB14_825:
	s_mov_b32 s29, -1
                                        ; implicit-def: $vgpr2_vgpr3
.LBB14_826:
	s_mov_b32 s1, 0
.LBB14_827:
	s_delay_alu instid0(SALU_CYCLE_1)
	s_and_b32 vcc_lo, exec_lo, s1
	s_cbranch_vccz .LBB14_831
; %bb.828:
	v_cmp_eq_u16_e32 vcc_lo, 29, v12
	s_cbranch_vccz .LBB14_830
; %bb.829:
	global_load_b64 v[2:3], v[0:1], off
	s_mov_b32 s29, 0
	s_mov_b32 s0, -1
	s_mov_b32 s1, 0
	s_waitcnt vmcnt(0)
	v_cvt_f64_u32_e32 v[3:4], v3
	v_cvt_f64_u32_e32 v[5:6], v2
	s_delay_alu instid0(VALU_DEP_2) | instskip(NEXT) | instid1(VALU_DEP_1)
	v_ldexp_f64 v[3:4], v[3:4], 32
	v_add_f64 v[2:3], v[3:4], v[5:6]
	s_branch .LBB14_832
.LBB14_830:
	s_mov_b32 s29, -1
                                        ; implicit-def: $vgpr2_vgpr3
.LBB14_831:
	s_mov_b32 s1, 0
.LBB14_832:
	s_delay_alu instid0(SALU_CYCLE_1)
	s_and_b32 vcc_lo, exec_lo, s1
	s_cbranch_vccz .LBB14_852
; %bb.833:
	v_cmp_gt_i16_e32 vcc_lo, 27, v12
	s_cbranch_vccnz .LBB14_836
; %bb.834:
	v_cmp_lt_i16_e32 vcc_lo, 27, v12
	s_cbranch_vccz .LBB14_837
; %bb.835:
	global_load_b32 v2, v[0:1], off
	s_mov_b32 s0, 0
	s_waitcnt vmcnt(0)
	v_cvt_f64_u32_e32 v[2:3], v2
	s_branch .LBB14_838
.LBB14_836:
	s_mov_b32 s0, -1
                                        ; implicit-def: $vgpr2_vgpr3
	s_branch .LBB14_841
.LBB14_837:
	s_mov_b32 s0, -1
                                        ; implicit-def: $vgpr2_vgpr3
.LBB14_838:
	s_delay_alu instid0(SALU_CYCLE_1)
	s_and_not1_b32 vcc_lo, exec_lo, s0
	s_cbranch_vccnz .LBB14_840
; %bb.839:
	global_load_u16 v2, v[0:1], off
	s_waitcnt vmcnt(0)
	v_cvt_f64_u32_e32 v[2:3], v2
.LBB14_840:
	s_mov_b32 s0, 0
.LBB14_841:
	s_delay_alu instid0(SALU_CYCLE_1)
	s_and_not1_b32 vcc_lo, exec_lo, s0
	s_cbranch_vccnz .LBB14_851
; %bb.842:
	global_load_u8 v4, v[0:1], off
	s_mov_b32 s31, 0
	s_mov_b32 s33, exec_lo
                                        ; implicit-def: $sgpr0_sgpr1
	s_waitcnt vmcnt(0)
	v_cmpx_lt_i16_e32 0x7f, v4
	s_xor_b32 s33, exec_lo, s33
	s_cbranch_execz .LBB14_846
; %bb.843:
	s_mov_b32 s34, -1
	s_mov_b32 s31, exec_lo
                                        ; implicit-def: $sgpr0_sgpr1
	v_cmpx_eq_u16_e32 0x80, v4
; %bb.844:
	s_mov_b32 s1, 0x7ff80000
	s_brev_b32 s0, 4
	s_xor_b32 s34, exec_lo, -1
; %bb.845:
	s_or_b32 exec_lo, exec_lo, s31
	s_delay_alu instid0(SALU_CYCLE_1)
	s_and_b32 s31, s34, exec_lo
.LBB14_846:
	s_or_saveexec_b32 s33, s33
	v_dual_mov_b32 v3, s1 :: v_dual_mov_b32 v2, s0
	s_xor_b32 exec_lo, exec_lo, s33
; %bb.847:
	v_cmp_ne_u16_e32 vcc_lo, 0, v4
	v_mov_b32_e32 v2, 0
	v_mov_b32_e32 v3, 0
	s_and_not1_b32 s0, s31, exec_lo
	s_and_b32 s1, vcc_lo, exec_lo
	s_delay_alu instid0(SALU_CYCLE_1)
	s_or_b32 s31, s0, s1
; %bb.848:
	s_or_b32 exec_lo, exec_lo, s33
	s_and_saveexec_b32 s0, s31
	s_cbranch_execz .LBB14_850
; %bb.849:
	v_and_b32_e32 v2, 0xffff, v4
	v_lshlrev_b32_e32 v4, 24, v4
	s_delay_alu instid0(VALU_DEP_2) | instskip(NEXT) | instid1(VALU_DEP_2)
	v_and_b32_e32 v3, 7, v2
	v_and_b32_e32 v4, 0x80000000, v4
	s_delay_alu instid0(VALU_DEP_2) | instskip(NEXT) | instid1(VALU_DEP_1)
	v_clz_i32_u32_e32 v5, v3
	v_min_u32_e32 v5, 32, v5
	s_delay_alu instid0(VALU_DEP_1) | instskip(SKIP_1) | instid1(VALU_DEP_2)
	v_subrev_nc_u32_e32 v6, 28, v5
	v_sub_nc_u32_e32 v5, 29, v5
	v_lshlrev_b32_e32 v6, v6, v2
	v_bfe_u32 v2, v2, 3, 4
	s_delay_alu instid0(VALU_DEP_2) | instskip(NEXT) | instid1(VALU_DEP_2)
	v_and_b32_e32 v6, 7, v6
	v_cmp_eq_u32_e32 vcc_lo, 0, v2
	s_delay_alu instid0(VALU_DEP_2) | instskip(NEXT) | instid1(VALU_DEP_1)
	v_dual_cndmask_b32 v2, v2, v5 :: v_dual_cndmask_b32 v3, v3, v6
	v_lshl_add_u32 v2, v2, 23, 0x3b800000
	s_delay_alu instid0(VALU_DEP_2) | instskip(NEXT) | instid1(VALU_DEP_1)
	v_lshlrev_b32_e32 v3, 20, v3
	v_or3_b32 v2, v4, v2, v3
	s_delay_alu instid0(VALU_DEP_1)
	v_cvt_f64_f32_e32 v[2:3], v2
.LBB14_850:
	s_or_b32 exec_lo, exec_lo, s0
.LBB14_851:
	s_mov_b32 s0, -1
.LBB14_852:
	s_mov_b32 s1, 0
.LBB14_853:
	s_delay_alu instid0(SALU_CYCLE_1)
	s_and_b32 vcc_lo, exec_lo, s1
	s_cbranch_vccz .LBB14_884
; %bb.854:
	v_cmp_lt_i16_e32 vcc_lo, 22, v12
	s_cbranch_vccz .LBB14_866
; %bb.855:
	v_cmp_gt_i16_e32 vcc_lo, 24, v12
	s_cbranch_vccnz .LBB14_867
; %bb.856:
	v_cmp_lt_i16_e32 vcc_lo, 24, v12
	s_cbranch_vccz .LBB14_868
; %bb.857:
	global_load_u8 v4, v[0:1], off
	s_mov_b32 s31, exec_lo
                                        ; implicit-def: $sgpr0_sgpr1
	s_waitcnt vmcnt(0)
	v_cmpx_lt_i16_e32 0x7f, v4
	s_xor_b32 s31, exec_lo, s31
	s_cbranch_execz .LBB14_861
; %bb.858:
	s_mov_b32 s33, -1
	s_mov_b32 s30, exec_lo
                                        ; implicit-def: $sgpr0_sgpr1
	v_cmpx_eq_u16_e32 0x80, v4
; %bb.859:
	s_mov_b32 s1, 0x7ff80000
	s_brev_b32 s0, 4
	s_xor_b32 s33, exec_lo, -1
; %bb.860:
	s_or_b32 exec_lo, exec_lo, s30
	s_delay_alu instid0(SALU_CYCLE_1)
	s_and_b32 s30, s33, exec_lo
.LBB14_861:
	s_or_saveexec_b32 s31, s31
	v_dual_mov_b32 v3, s1 :: v_dual_mov_b32 v2, s0
	s_xor_b32 exec_lo, exec_lo, s31
; %bb.862:
	v_cmp_ne_u16_e32 vcc_lo, 0, v4
	v_mov_b32_e32 v2, 0
	v_mov_b32_e32 v3, 0
	s_and_not1_b32 s0, s30, exec_lo
	s_and_b32 s1, vcc_lo, exec_lo
	s_delay_alu instid0(SALU_CYCLE_1)
	s_or_b32 s30, s0, s1
; %bb.863:
	s_or_b32 exec_lo, exec_lo, s31
	s_and_saveexec_b32 s0, s30
	s_cbranch_execz .LBB14_865
; %bb.864:
	v_and_b32_e32 v2, 0xffff, v4
	v_lshlrev_b32_e32 v4, 24, v4
	s_delay_alu instid0(VALU_DEP_2) | instskip(NEXT) | instid1(VALU_DEP_2)
	v_and_b32_e32 v3, 3, v2
	v_and_b32_e32 v4, 0x80000000, v4
	s_delay_alu instid0(VALU_DEP_2) | instskip(NEXT) | instid1(VALU_DEP_1)
	v_clz_i32_u32_e32 v5, v3
	v_min_u32_e32 v5, 32, v5
	s_delay_alu instid0(VALU_DEP_1) | instskip(SKIP_1) | instid1(VALU_DEP_2)
	v_subrev_nc_u32_e32 v6, 29, v5
	v_sub_nc_u32_e32 v5, 30, v5
	v_lshlrev_b32_e32 v6, v6, v2
	v_bfe_u32 v2, v2, 2, 5
	s_delay_alu instid0(VALU_DEP_2) | instskip(NEXT) | instid1(VALU_DEP_2)
	v_and_b32_e32 v6, 3, v6
	v_cmp_eq_u32_e32 vcc_lo, 0, v2
	s_delay_alu instid0(VALU_DEP_2) | instskip(NEXT) | instid1(VALU_DEP_1)
	v_dual_cndmask_b32 v2, v2, v5 :: v_dual_cndmask_b32 v3, v3, v6
	v_lshl_add_u32 v2, v2, 23, 0x37800000
	s_delay_alu instid0(VALU_DEP_2) | instskip(NEXT) | instid1(VALU_DEP_1)
	v_lshlrev_b32_e32 v3, 21, v3
	v_or3_b32 v2, v4, v2, v3
	s_delay_alu instid0(VALU_DEP_1)
	v_cvt_f64_f32_e32 v[2:3], v2
.LBB14_865:
	s_or_b32 exec_lo, exec_lo, s0
	s_mov_b32 s0, 0
	s_branch .LBB14_869
.LBB14_866:
	s_mov_b32 s1, -1
                                        ; implicit-def: $vgpr2_vgpr3
	s_branch .LBB14_875
.LBB14_867:
	s_mov_b32 s0, -1
                                        ; implicit-def: $vgpr2_vgpr3
	s_branch .LBB14_872
.LBB14_868:
	s_mov_b32 s0, -1
                                        ; implicit-def: $vgpr2_vgpr3
.LBB14_869:
	s_delay_alu instid0(SALU_CYCLE_1)
	s_and_b32 vcc_lo, exec_lo, s0
	s_cbranch_vccz .LBB14_871
; %bb.870:
	global_load_u8 v2, v[0:1], off
	s_waitcnt vmcnt(0)
	v_lshlrev_b32_e32 v2, 24, v2
	s_delay_alu instid0(VALU_DEP_1) | instskip(NEXT) | instid1(VALU_DEP_1)
	v_and_b32_e32 v3, 0x7f000000, v2
	v_clz_i32_u32_e32 v4, v3
	v_add_nc_u32_e32 v6, 0x1000000, v3
	v_cmp_ne_u32_e32 vcc_lo, 0, v3
	s_delay_alu instid0(VALU_DEP_3) | instskip(NEXT) | instid1(VALU_DEP_1)
	v_min_u32_e32 v4, 32, v4
	v_sub_nc_u32_e64 v4, v4, 4 clamp
	s_delay_alu instid0(VALU_DEP_1) | instskip(SKIP_1) | instid1(VALU_DEP_2)
	v_lshlrev_b32_e32 v5, v4, v3
	v_lshlrev_b32_e32 v4, 23, v4
	v_lshrrev_b32_e32 v5, 4, v5
	s_delay_alu instid0(VALU_DEP_1) | instskip(SKIP_1) | instid1(VALU_DEP_2)
	v_sub_nc_u32_e32 v4, v5, v4
	v_ashrrev_i32_e32 v5, 8, v6
	v_add_nc_u32_e32 v4, 0x3c000000, v4
	s_delay_alu instid0(VALU_DEP_1) | instskip(NEXT) | instid1(VALU_DEP_1)
	v_and_or_b32 v4, 0x7f800000, v5, v4
	v_cndmask_b32_e32 v3, 0, v4, vcc_lo
	s_delay_alu instid0(VALU_DEP_1) | instskip(NEXT) | instid1(VALU_DEP_1)
	v_and_or_b32 v2, 0x80000000, v2, v3
	v_cvt_f64_f32_e32 v[2:3], v2
.LBB14_871:
	s_mov_b32 s0, 0
.LBB14_872:
	s_delay_alu instid0(SALU_CYCLE_1)
	s_and_not1_b32 vcc_lo, exec_lo, s0
	s_cbranch_vccnz .LBB14_874
; %bb.873:
	global_load_u8 v2, v[0:1], off
	s_waitcnt vmcnt(0)
	v_lshlrev_b32_e32 v3, 25, v2
	v_lshlrev_b16 v2, 8, v2
	s_delay_alu instid0(VALU_DEP_2) | instskip(NEXT) | instid1(VALU_DEP_2)
	v_lshrrev_b32_e32 v4, 4, v3
	v_and_or_b32 v5, 0x7f00, v2, 0.5
	v_bfe_i32 v2, v2, 0, 16
	s_delay_alu instid0(VALU_DEP_3) | instskip(NEXT) | instid1(VALU_DEP_1)
	v_or_b32_e32 v4, 0x70000000, v4
	v_dual_add_f32 v5, -0.5, v5 :: v_dual_mul_f32 v4, 0x7800000, v4
	v_cmp_gt_u32_e32 vcc_lo, 0x8000000, v3
	s_delay_alu instid0(VALU_DEP_2) | instskip(NEXT) | instid1(VALU_DEP_1)
	v_cndmask_b32_e32 v3, v4, v5, vcc_lo
	v_and_or_b32 v2, 0x80000000, v2, v3
	s_delay_alu instid0(VALU_DEP_1)
	v_cvt_f64_f32_e32 v[2:3], v2
.LBB14_874:
	s_mov_b32 s1, 0
	s_mov_b32 s0, -1
.LBB14_875:
	s_and_not1_b32 vcc_lo, exec_lo, s1
	s_mov_b32 s30, 0
	s_cbranch_vccnz .LBB14_884
; %bb.876:
	v_cmp_lt_i16_e32 vcc_lo, 14, v12
	s_cbranch_vccz .LBB14_879
; %bb.877:
	v_cmp_eq_u16_e32 vcc_lo, 15, v12
	s_cbranch_vccz .LBB14_880
; %bb.878:
	global_load_u16 v2, v[0:1], off
	s_mov_b32 s29, 0
	s_mov_b32 s0, -1
	s_waitcnt vmcnt(0)
	v_lshlrev_b32_e32 v2, 16, v2
	s_delay_alu instid0(VALU_DEP_1)
	v_cvt_f64_f32_e32 v[2:3], v2
	s_branch .LBB14_881
.LBB14_879:
	s_mov_b32 s1, -1
                                        ; implicit-def: $vgpr2_vgpr3
	s_branch .LBB14_882
.LBB14_880:
	s_mov_b32 s29, -1
                                        ; implicit-def: $vgpr2_vgpr3
.LBB14_881:
	s_mov_b32 s1, 0
.LBB14_882:
	s_delay_alu instid0(SALU_CYCLE_1)
	s_and_b32 vcc_lo, exec_lo, s1
	s_cbranch_vccz .LBB14_884
; %bb.883:
	v_cmp_ne_u16_e32 vcc_lo, 11, v12
	s_and_not1_b32 s1, s29, exec_lo
	s_mov_b32 s30, -1
                                        ; implicit-def: $vgpr2_vgpr3
	s_and_b32 s29, vcc_lo, exec_lo
	s_delay_alu instid0(SALU_CYCLE_1)
	s_or_b32 s29, s1, s29
.LBB14_884:
	s_mov_b32 s1, 0
.LBB14_885:
	s_and_not1_b32 s31, s27, exec_lo
	s_and_b32 s29, s29, exec_lo
	s_and_b32 s33, s0, exec_lo
	;; [unrolled: 1-line block ×4, first 2 shown]
	s_or_b32 s31, s31, s29
.LBB14_886:
	s_or_b32 exec_lo, exec_lo, s19
	s_delay_alu instid0(SALU_CYCLE_1)
	s_and_not1_b32 s19, s27, exec_lo
	s_and_b32 s27, s31, exec_lo
	s_and_b32 s30, s33, exec_lo
	;; [unrolled: 1-line block ×4, first 2 shown]
	s_or_b32 s27, s19, s27
.LBB14_887:
	s_or_b32 exec_lo, exec_lo, s26
	s_delay_alu instid0(SALU_CYCLE_1)
	s_and_not1_b32 s0, s24, exec_lo
	s_and_b32 s19, s28, exec_lo
	s_and_b32 s26, s29, exec_lo
	s_or_b32 s24, s0, s19
	s_and_not1_b32 s19, s23, exec_lo
	s_and_b32 s23, s27, exec_lo
	s_and_b32 s0, s30, exec_lo
	;; [unrolled: 1-line block ×3, first 2 shown]
	s_or_b32 s23, s19, s23
.LBB14_888:
	s_or_b32 exec_lo, exec_lo, s25
	s_delay_alu instid0(SALU_CYCLE_1)
	s_and_not1_b32 s19, s20, exec_lo
	s_and_b32 s20, s24, exec_lo
	s_and_b32 s0, s0, exec_lo
	s_or_b32 s20, s19, s20
	s_and_not1_b32 s19, s21, exec_lo
	s_and_b32 s21, s23, exec_lo
	s_and_b32 s24, s26, exec_lo
	;; [unrolled: 1-line block ×3, first 2 shown]
	s_or_b32 s21, s19, s21
.LBB14_889:
	s_or_b32 exec_lo, exec_lo, s22
	s_mov_b32 s19, 0
	s_and_saveexec_b32 s1, s21
	s_cbranch_execnz .LBB14_901
; %bb.890:
	s_or_b32 exec_lo, exec_lo, s1
	s_and_saveexec_b32 s1, s23
	s_delay_alu instid0(SALU_CYCLE_1)
	s_xor_b32 s1, exec_lo, s1
	s_cbranch_execz .LBB14_892
.LBB14_891:
	global_load_u8 v2, v[0:1], off
	s_or_b32 s0, s0, exec_lo
	s_waitcnt vmcnt(0)
	v_cmp_ne_u16_e32 vcc_lo, 0, v2
	v_mov_b32_e32 v2, 0
	v_cndmask_b32_e64 v3, 0, 0x3ff00000, vcc_lo
.LBB14_892:
	s_or_b32 exec_lo, exec_lo, s1
	s_and_saveexec_b32 s1, s24
	s_cbranch_execz .LBB14_940
; %bb.893:
	v_cmp_gt_i16_e32 vcc_lo, 5, v12
	s_cbranch_vccnz .LBB14_898
; %bb.894:
	v_cmp_gt_i16_e32 vcc_lo, 8, v12
	s_cbranch_vccnz .LBB14_899
	;; [unrolled: 3-line block ×3, first 2 shown]
; %bb.896:
	v_cmp_lt_i16_e32 vcc_lo, 9, v12
	s_cbranch_vccz .LBB14_903
; %bb.897:
	global_load_b64 v[2:3], v[0:1], off
	s_mov_b32 s21, 0
	s_branch .LBB14_904
.LBB14_898:
                                        ; implicit-def: $vgpr2_vgpr3
	s_branch .LBB14_921
.LBB14_899:
                                        ; implicit-def: $vgpr2_vgpr3
	s_branch .LBB14_910
.LBB14_900:
	s_mov_b32 s21, -1
                                        ; implicit-def: $vgpr2_vgpr3
	s_branch .LBB14_907
.LBB14_901:
	s_cbranch_execnz .LBB14_959
; %bb.902:
	s_mov_b32 s19, exec_lo
	s_and_not1_b32 s23, s23, exec_lo
                                        ; implicit-def: $vgpr2_vgpr3
	s_or_b32 exec_lo, exec_lo, s1
	s_and_saveexec_b32 s1, s23
	s_delay_alu instid0(SALU_CYCLE_1)
	s_xor_b32 s1, exec_lo, s1
	s_cbranch_execnz .LBB14_891
	s_branch .LBB14_892
.LBB14_903:
	s_mov_b32 s21, -1
                                        ; implicit-def: $vgpr2_vgpr3
.LBB14_904:
	s_delay_alu instid0(SALU_CYCLE_1)
	s_and_not1_b32 vcc_lo, exec_lo, s21
	s_cbranch_vccnz .LBB14_906
; %bb.905:
	global_load_b32 v2, v[0:1], off
	s_waitcnt vmcnt(0)
	v_cvt_f64_f32_e32 v[2:3], v2
.LBB14_906:
	s_mov_b32 s21, 0
.LBB14_907:
	s_delay_alu instid0(SALU_CYCLE_1)
	s_and_not1_b32 vcc_lo, exec_lo, s21
	s_cbranch_vccnz .LBB14_909
; %bb.908:
	global_load_b32 v2, v[0:1], off
	s_waitcnt vmcnt(0)
	v_cvt_f32_f16_e32 v2, v2
	s_delay_alu instid0(VALU_DEP_1)
	v_cvt_f64_f32_e32 v[2:3], v2
.LBB14_909:
	s_cbranch_execnz .LBB14_920
.LBB14_910:
	v_cmp_gt_i16_e32 vcc_lo, 6, v12
	s_cbranch_vccnz .LBB14_913
; %bb.911:
	v_cmp_lt_i16_e32 vcc_lo, 6, v12
	s_cbranch_vccz .LBB14_914
; %bb.912:
	global_load_b64 v[2:3], v[0:1], off
	s_mov_b32 s21, 0
	s_branch .LBB14_915
.LBB14_913:
	s_mov_b32 s21, -1
                                        ; implicit-def: $vgpr2_vgpr3
	s_branch .LBB14_918
.LBB14_914:
	s_mov_b32 s21, -1
                                        ; implicit-def: $vgpr2_vgpr3
.LBB14_915:
	s_delay_alu instid0(SALU_CYCLE_1)
	s_and_not1_b32 vcc_lo, exec_lo, s21
	s_cbranch_vccnz .LBB14_917
; %bb.916:
	global_load_b32 v2, v[0:1], off
	s_waitcnt vmcnt(0)
	v_cvt_f64_f32_e32 v[2:3], v2
.LBB14_917:
	s_mov_b32 s21, 0
.LBB14_918:
	s_delay_alu instid0(SALU_CYCLE_1)
	s_and_not1_b32 vcc_lo, exec_lo, s21
	s_cbranch_vccnz .LBB14_920
; %bb.919:
	global_load_u16 v2, v[0:1], off
	s_waitcnt vmcnt(0)
	v_cvt_f32_f16_e32 v2, v2
	s_delay_alu instid0(VALU_DEP_1)
	v_cvt_f64_f32_e32 v[2:3], v2
.LBB14_920:
	s_cbranch_execnz .LBB14_939
.LBB14_921:
	v_cmp_gt_i16_e32 vcc_lo, 2, v12
	s_cbranch_vccnz .LBB14_925
; %bb.922:
	v_cmp_gt_i16_e32 vcc_lo, 3, v12
	s_cbranch_vccnz .LBB14_926
; %bb.923:
	v_cmp_lt_i16_e32 vcc_lo, 3, v12
	s_cbranch_vccz .LBB14_927
; %bb.924:
	global_load_b64 v[2:3], v[0:1], off
	s_mov_b32 s21, 0
	s_waitcnt vmcnt(0)
	v_cvt_f64_i32_e32 v[3:4], v3
	v_cvt_f64_u32_e32 v[5:6], v2
	s_delay_alu instid0(VALU_DEP_2) | instskip(NEXT) | instid1(VALU_DEP_1)
	v_ldexp_f64 v[3:4], v[3:4], 32
	v_add_f64 v[2:3], v[3:4], v[5:6]
	s_branch .LBB14_928
.LBB14_925:
                                        ; implicit-def: $vgpr2_vgpr3
	s_branch .LBB14_934
.LBB14_926:
	s_mov_b32 s21, -1
                                        ; implicit-def: $vgpr2_vgpr3
	s_branch .LBB14_931
.LBB14_927:
	s_mov_b32 s21, -1
                                        ; implicit-def: $vgpr2_vgpr3
.LBB14_928:
	s_delay_alu instid0(SALU_CYCLE_1)
	s_and_not1_b32 vcc_lo, exec_lo, s21
	s_cbranch_vccnz .LBB14_930
; %bb.929:
	global_load_b32 v2, v[0:1], off
	s_waitcnt vmcnt(0)
	v_cvt_f64_i32_e32 v[2:3], v2
.LBB14_930:
	s_mov_b32 s21, 0
.LBB14_931:
	s_delay_alu instid0(SALU_CYCLE_1)
	s_and_not1_b32 vcc_lo, exec_lo, s21
	s_cbranch_vccnz .LBB14_933
; %bb.932:
	global_load_i16 v2, v[0:1], off
	s_waitcnt vmcnt(0)
	v_cvt_f64_i32_e32 v[2:3], v2
.LBB14_933:
	s_cbranch_execnz .LBB14_939
.LBB14_934:
	v_cmp_lt_i16_e32 vcc_lo, 0, v12
	s_mov_b32 s21, 0
	s_cbranch_vccz .LBB14_936
; %bb.935:
	global_load_i8 v2, v[0:1], off
	s_waitcnt vmcnt(0)
	v_cvt_f64_i32_e32 v[2:3], v2
	s_branch .LBB14_937
.LBB14_936:
	s_mov_b32 s21, -1
                                        ; implicit-def: $vgpr2_vgpr3
.LBB14_937:
	s_delay_alu instid0(SALU_CYCLE_1)
	s_and_not1_b32 vcc_lo, exec_lo, s21
	s_cbranch_vccnz .LBB14_939
; %bb.938:
	global_load_u8 v0, v[0:1], off
	s_waitcnt vmcnt(0)
	v_cvt_f64_u32_e32 v[2:3], v0
.LBB14_939:
	s_or_b32 s0, s0, exec_lo
.LBB14_940:
	s_or_b32 exec_lo, exec_lo, s1
	s_mov_b32 s22, 0
	s_mov_b32 s1, 0
                                        ; implicit-def: $vgpr6
                                        ; implicit-def: $vgpr4_vgpr5
                                        ; implicit-def: $vgpr0_vgpr1
	s_and_saveexec_b32 s21, s0
	s_cbranch_execz .LBB14_1030
; %bb.941:
	v_mov_b32_e32 v0, 0
	v_mov_b32_e32 v1, 0
	s_and_not1_b32 vcc_lo, exec_lo, s18
	s_cbranch_vccnz .LBB14_951
; %bb.942:
	v_cmp_lt_i64_e64 s0, s[12:13], 1
	v_mov_b32_e32 v0, 0
	v_mov_b32_e32 v1, 0x3ff00000
	s_delay_alu instid0(VALU_DEP_3)
	s_and_b32 vcc_lo, exec_lo, s0
	s_cbranch_vccnz .LBB14_951
; %bb.943:
	s_cmp_lg_u64 s[12:13], 1
	s_cbranch_scc0 .LBB14_948
; %bb.944:
	v_mov_b32_e32 v0, 0
	v_mov_b32_e32 v1, 0x7ff80000
	s_and_not1_b32 vcc_lo, exec_lo, s17
	s_cbranch_vccnz .LBB14_947
; %bb.945:
	s_waitcnt vmcnt(0)
	v_add_f64 v[4:5], v[2:3], v[2:3]
	v_mov_b32_e32 v6, 0
	v_mov_b32_e32 v7, 0x3ff00000
	s_mov_b64 s[0:1], 2
	s_delay_alu instid0(VALU_DEP_3)
	v_dual_mov_b32 v0, v4 :: v_dual_mov_b32 v1, v5
	.p2align	6
.LBB14_946:                             ; =>This Inner Loop Header: Depth=1
	v_cvt_f64_u32_e32 v[8:9], s1
	v_cvt_f64_u32_e32 v[10:11], s0
	s_add_u32 s0, s0, 2
	s_addc_u32 s1, s1, 0
	s_delay_alu instid0(SALU_CYCLE_1) | instskip(NEXT) | instid1(VALU_DEP_1)
	v_cmp_lt_u64_e64 s12, s[0:1], s[10:11]
	s_and_b32 vcc_lo, exec_lo, s12
	s_delay_alu instid0(VALU_DEP_3) | instskip(NEXT) | instid1(VALU_DEP_1)
	v_ldexp_f64 v[8:9], v[8:9], 32
	v_add_f64 v[8:9], v[8:9], v[10:11]
	s_delay_alu instid0(VALU_DEP_1) | instskip(SKIP_1) | instid1(VALU_DEP_1)
	v_mul_f64 v[6:7], v[6:7], v[8:9]
	v_dual_mov_b32 v9, v1 :: v_dual_mov_b32 v8, v0
	v_fma_f64 v[0:1], v[4:5], v[8:9], -v[6:7]
	v_dual_mov_b32 v6, v8 :: v_dual_mov_b32 v7, v9
	s_cbranch_vccnz .LBB14_946
.LBB14_947:
	s_mov_b32 s0, 0
	s_branch .LBB14_949
.LBB14_948:
	s_mov_b32 s0, -1
                                        ; implicit-def: $vgpr0_vgpr1
.LBB14_949:
	s_delay_alu instid0(SALU_CYCLE_1)
	s_and_not1_b32 vcc_lo, exec_lo, s0
	s_cbranch_vccnz .LBB14_951
; %bb.950:
	s_waitcnt vmcnt(0)
	v_add_f64 v[0:1], v[2:3], v[2:3]
.LBB14_951:
	s_waitcnt vmcnt(0)
	v_mul_lo_u32 v2, v14, s2
	v_and_b32_e64 v6, 0xff, s14
	s_delay_alu instid0(VALU_DEP_1) | instskip(NEXT) | instid1(VALU_DEP_3)
	v_cmp_gt_i16_e32 vcc_lo, 11, v6
	v_ashrrev_i32_e32 v3, 31, v2
	v_add_co_u32 v4, s0, s4, v2
	s_delay_alu instid0(VALU_DEP_1)
	v_add_co_ci_u32_e64 v5, s0, s5, v3, s0
	s_cbranch_vccnz .LBB14_958
; %bb.952:
	v_cmp_lt_i16_e32 vcc_lo, 25, v6
	s_mov_b32 s1, -1
	s_mov_b32 s0, s20
	s_cbranch_vccz .LBB14_988
; %bb.953:
	v_cmp_lt_i16_e32 vcc_lo, 28, v6
	s_mov_b32 s0, s20
	s_cbranch_vccz .LBB14_972
; %bb.954:
	v_cmp_lt_i16_e32 vcc_lo, 43, v6
	;; [unrolled: 4-line block ×3, first 2 shown]
	s_mov_b32 s0, s20
	s_cbranch_vccz .LBB14_962
; %bb.956:
	v_cmp_eq_u16_e32 vcc_lo, 46, v6
	s_mov_b32 s0, -1
	s_cbranch_vccz .LBB14_961
; %bb.957:
	v_cvt_f32_f64_e32 v2, v[0:1]
	s_mov_b32 s0, 0
	s_mov_b32 s1, 0
	s_delay_alu instid0(VALU_DEP_1) | instskip(SKIP_1) | instid1(VALU_DEP_2)
	v_bfe_u32 v3, v2, 16, 1
	v_cmp_o_f32_e32 vcc_lo, v2, v2
	v_add3_u32 v3, v2, v3, 0x7fff
	s_delay_alu instid0(VALU_DEP_1) | instskip(NEXT) | instid1(VALU_DEP_1)
	v_lshrrev_b32_e32 v3, 16, v3
	v_cndmask_b32_e32 v2, 0x7fc0, v3, vcc_lo
	global_store_b32 v[4:5], v2, off
	s_branch .LBB14_962
.LBB14_958:
	s_mov_b32 s10, 0
	s_mov_b32 s1, -1
	s_mov_b32 s0, s20
	s_branch .LBB14_1029
.LBB14_959:
	s_trap 2
	s_sendmsg_rtn_b32 s0, sendmsg(MSG_RTN_GET_DOORBELL)
	s_mov_b32 ttmp2, m0
	s_waitcnt lgkmcnt(0)
	s_and_b32 s0, s0, 0x3ff
	s_delay_alu instid0(SALU_CYCLE_1) | instskip(NEXT) | instid1(SALU_CYCLE_1)
	s_bitset1_b32 s0, 10
	s_mov_b32 m0, s0
	s_sendmsg sendmsg(MSG_INTERRUPT)
	s_mov_b32 m0, ttmp2
.LBB14_960:                             ; =>This Inner Loop Header: Depth=1
	s_sethalt 5
	s_branch .LBB14_960
.LBB14_961:
	s_mov_b32 s1, 0
.LBB14_962:
	s_delay_alu instid0(SALU_CYCLE_1)
	s_and_b32 vcc_lo, exec_lo, s1
	s_cbranch_vccz .LBB14_967
; %bb.963:
	v_cmp_eq_u16_e32 vcc_lo, 44, v6
	s_mov_b32 s0, -1
	s_cbranch_vccz .LBB14_967
; %bb.964:
	v_cvt_f32_f64_e32 v2, v[0:1]
	v_mov_b32_e32 v3, 0xff
	s_mov_b32 s1, exec_lo
	s_delay_alu instid0(VALU_DEP_2) | instskip(NEXT) | instid1(VALU_DEP_1)
	v_bfe_u32 v7, v2, 23, 8
	v_cmpx_ne_u32_e32 0xff, v7
; %bb.965:
	v_and_b32_e32 v3, 0x400000, v2
	v_and_or_b32 v7, 0x3fffff, v2, v7
	v_lshrrev_b32_e32 v2, 23, v2
	s_delay_alu instid0(VALU_DEP_3) | instskip(NEXT) | instid1(VALU_DEP_3)
	v_cmp_ne_u32_e32 vcc_lo, 0, v3
	v_cmp_ne_u32_e64 s0, 0, v7
	s_delay_alu instid0(VALU_DEP_1) | instskip(NEXT) | instid1(SALU_CYCLE_1)
	s_and_b32 s0, vcc_lo, s0
	v_cndmask_b32_e64 v3, 0, 1, s0
	s_delay_alu instid0(VALU_DEP_1)
	v_add_nc_u32_e32 v3, v2, v3
; %bb.966:
	s_or_b32 exec_lo, exec_lo, s1
	s_mov_b32 s0, 0
	global_store_b8 v[4:5], v3, off
.LBB14_967:
	s_mov_b32 s1, 0
.LBB14_968:
	s_delay_alu instid0(SALU_CYCLE_1)
	s_and_b32 vcc_lo, exec_lo, s1
	s_cbranch_vccz .LBB14_971
; %bb.969:
	v_cmp_eq_u16_e32 vcc_lo, 29, v6
	s_mov_b32 s0, -1
	s_cbranch_vccz .LBB14_971
; %bb.970:
	v_trunc_f64_e32 v[2:3], v[0:1]
	s_mov_b32 s0, 0
	s_mov_b32 s1, 0
	s_delay_alu instid0(VALU_DEP_1) | instskip(NEXT) | instid1(VALU_DEP_1)
	v_ldexp_f64 v[7:8], v[2:3], 0xffffffe0
	v_floor_f64_e32 v[7:8], v[7:8]
	s_delay_alu instid0(VALU_DEP_1) | instskip(SKIP_1) | instid1(VALU_DEP_2)
	v_fma_f64 v[2:3], 0xc1f00000, v[7:8], v[2:3]
	v_cvt_u32_f64_e32 v8, v[7:8]
	v_cvt_u32_f64_e32 v7, v[2:3]
	global_store_b64 v[4:5], v[7:8], off
	s_branch .LBB14_972
.LBB14_971:
	s_mov_b32 s1, 0
.LBB14_972:
	s_delay_alu instid0(SALU_CYCLE_1)
	s_and_b32 vcc_lo, exec_lo, s1
	s_cbranch_vccz .LBB14_987
; %bb.973:
	v_cmp_gt_i16_e32 vcc_lo, 27, v6
	s_mov_b32 s1, -1
	s_cbranch_vccnz .LBB14_979
; %bb.974:
	v_cvt_u32_f64_e32 v2, v[0:1]
	v_cmp_lt_i16_e32 vcc_lo, 27, v6
	s_cbranch_vccz .LBB14_976
; %bb.975:
	s_mov_b32 s1, 0
	global_store_b32 v[4:5], v2, off
.LBB14_976:
	s_and_not1_b32 vcc_lo, exec_lo, s1
	s_cbranch_vccnz .LBB14_978
; %bb.977:
	global_store_b16 v[4:5], v2, off
.LBB14_978:
	s_mov_b32 s1, 0
.LBB14_979:
	s_delay_alu instid0(SALU_CYCLE_1)
	s_and_not1_b32 vcc_lo, exec_lo, s1
	s_cbranch_vccnz .LBB14_987
; %bb.980:
	v_cvt_f32_f64_e32 v2, v[0:1]
	v_mov_b32_e32 v7, 0x80
	s_mov_b32 s1, exec_lo
	s_delay_alu instid0(VALU_DEP_2) | instskip(NEXT) | instid1(VALU_DEP_1)
	v_and_b32_e32 v3, 0x7fffffff, v2
	v_cmpx_gt_u32_e32 0x43800000, v3
	s_cbranch_execz .LBB14_986
; %bb.981:
	v_cmp_lt_u32_e32 vcc_lo, 0x3bffffff, v3
	s_mov_b32 s10, 0
                                        ; implicit-def: $vgpr3
	s_and_saveexec_b32 s11, vcc_lo
	s_delay_alu instid0(SALU_CYCLE_1)
	s_xor_b32 s11, exec_lo, s11
	s_cbranch_execz .LBB14_1231
; %bb.982:
	v_bfe_u32 v3, v2, 20, 1
	s_mov_b32 s10, exec_lo
	s_delay_alu instid0(VALU_DEP_1) | instskip(NEXT) | instid1(VALU_DEP_1)
	v_add3_u32 v3, v2, v3, 0x487ffff
	v_lshrrev_b32_e32 v3, 20, v3
	s_or_saveexec_b32 s11, s11
                                        ; implicit-def: $sgpr12
	s_delay_alu instid0(SALU_CYCLE_1)
	s_xor_b32 exec_lo, exec_lo, s11
	s_cbranch_execnz .LBB14_1232
.LBB14_983:
	s_or_b32 exec_lo, exec_lo, s11
	v_mov_b32_e32 v7, s12
	s_and_saveexec_b32 s11, s10
.LBB14_984:
	v_lshrrev_b32_e32 v2, 24, v2
	s_delay_alu instid0(VALU_DEP_1)
	v_and_or_b32 v7, 0x80, v2, v3
.LBB14_985:
	s_or_b32 exec_lo, exec_lo, s11
.LBB14_986:
	s_delay_alu instid0(SALU_CYCLE_1)
	s_or_b32 exec_lo, exec_lo, s1
	global_store_b8 v[4:5], v7, off
.LBB14_987:
	s_mov_b32 s1, 0
.LBB14_988:
	s_delay_alu instid0(SALU_CYCLE_1)
	s_and_b32 vcc_lo, exec_lo, s1
	s_mov_b32 s1, 0
	s_cbranch_vccz .LBB14_1028
; %bb.989:
	v_cmp_lt_i16_e32 vcc_lo, 22, v6
	s_mov_b32 s10, -1
	s_cbranch_vccz .LBB14_1021
; %bb.990:
	v_cmp_gt_i16_e32 vcc_lo, 24, v6
	s_cbranch_vccnz .LBB14_1010
; %bb.991:
	v_cmp_lt_i16_e32 vcc_lo, 24, v6
	s_cbranch_vccz .LBB14_999
; %bb.992:
	v_cvt_f32_f64_e32 v2, v[0:1]
	v_mov_b32_e32 v7, 0x80
	s_mov_b32 s10, exec_lo
	s_delay_alu instid0(VALU_DEP_2) | instskip(NEXT) | instid1(VALU_DEP_1)
	v_and_b32_e32 v3, 0x7fffffff, v2
	v_cmpx_gt_u32_e32 0x47800000, v3
	s_cbranch_execz .LBB14_998
; %bb.993:
	v_cmp_lt_u32_e32 vcc_lo, 0x37ffffff, v3
	s_mov_b32 s11, 0
                                        ; implicit-def: $vgpr3
	s_and_saveexec_b32 s12, vcc_lo
	s_delay_alu instid0(SALU_CYCLE_1)
	s_xor_b32 s12, exec_lo, s12
	s_cbranch_execz .LBB14_1275
; %bb.994:
	v_bfe_u32 v3, v2, 21, 1
	s_mov_b32 s11, exec_lo
	s_delay_alu instid0(VALU_DEP_1) | instskip(NEXT) | instid1(VALU_DEP_1)
	v_add3_u32 v3, v2, v3, 0x88fffff
	v_lshrrev_b32_e32 v3, 21, v3
	s_or_saveexec_b32 s12, s12
                                        ; implicit-def: $sgpr13
	s_delay_alu instid0(SALU_CYCLE_1)
	s_xor_b32 exec_lo, exec_lo, s12
	s_cbranch_execnz .LBB14_1276
.LBB14_995:
	s_or_b32 exec_lo, exec_lo, s12
	v_mov_b32_e32 v7, s13
	s_and_saveexec_b32 s12, s11
.LBB14_996:
	v_lshrrev_b32_e32 v2, 24, v2
	s_delay_alu instid0(VALU_DEP_1)
	v_and_or_b32 v7, 0x80, v2, v3
.LBB14_997:
	s_or_b32 exec_lo, exec_lo, s12
.LBB14_998:
	s_delay_alu instid0(SALU_CYCLE_1)
	s_or_b32 exec_lo, exec_lo, s10
	s_mov_b32 s10, 0
	global_store_b8 v[4:5], v7, off
.LBB14_999:
	s_and_b32 vcc_lo, exec_lo, s10
	s_cbranch_vccz .LBB14_1009
; %bb.1000:
	v_cvt_f32_f64_e32 v2, v[0:1]
	s_mov_b32 s10, exec_lo
                                        ; implicit-def: $vgpr3
	s_delay_alu instid0(VALU_DEP_1) | instskip(NEXT) | instid1(VALU_DEP_1)
	v_and_b32_e32 v7, 0x7fffffff, v2
	v_cmpx_gt_u32_e32 0x43f00000, v7
	s_xor_b32 s10, exec_lo, s10
	s_cbranch_execz .LBB14_1006
; %bb.1001:
	s_mov_b32 s11, exec_lo
                                        ; implicit-def: $vgpr3
	v_cmpx_lt_u32_e32 0x3c7fffff, v7
	s_xor_b32 s11, exec_lo, s11
; %bb.1002:
	v_bfe_u32 v3, v2, 20, 1
	s_delay_alu instid0(VALU_DEP_1) | instskip(NEXT) | instid1(VALU_DEP_1)
	v_add3_u32 v3, v2, v3, 0x407ffff
	v_and_b32_e32 v7, 0xff00000, v3
	v_lshrrev_b32_e32 v3, 20, v3
	s_delay_alu instid0(VALU_DEP_2) | instskip(NEXT) | instid1(VALU_DEP_2)
	v_cmp_ne_u32_e32 vcc_lo, 0x7f00000, v7
	v_cndmask_b32_e32 v3, 0x7e, v3, vcc_lo
; %bb.1003:
	s_and_not1_saveexec_b32 s11, s11
; %bb.1004:
	v_add_f32_e64 v3, 0x46800000, |v2|
; %bb.1005:
	s_or_b32 exec_lo, exec_lo, s11
                                        ; implicit-def: $vgpr7
.LBB14_1006:
	s_and_not1_saveexec_b32 s10, s10
; %bb.1007:
	v_mov_b32_e32 v3, 0x7f
	v_cmp_lt_u32_e32 vcc_lo, 0x7f800000, v7
	s_delay_alu instid0(VALU_DEP_2)
	v_cndmask_b32_e32 v3, 0x7e, v3, vcc_lo
; %bb.1008:
	s_or_b32 exec_lo, exec_lo, s10
	v_lshrrev_b32_e32 v2, 24, v2
	s_delay_alu instid0(VALU_DEP_1)
	v_and_or_b32 v2, 0x80, v2, v3
	global_store_b8 v[4:5], v2, off
.LBB14_1009:
	s_mov_b32 s10, 0
.LBB14_1010:
	s_delay_alu instid0(SALU_CYCLE_1)
	s_and_not1_b32 vcc_lo, exec_lo, s10
	s_cbranch_vccnz .LBB14_1020
; %bb.1011:
	v_cvt_f32_f64_e32 v2, v[0:1]
	s_mov_b32 s10, exec_lo
                                        ; implicit-def: $vgpr3
	s_delay_alu instid0(VALU_DEP_1) | instskip(NEXT) | instid1(VALU_DEP_1)
	v_and_b32_e32 v7, 0x7fffffff, v2
	v_cmpx_gt_u32_e32 0x47800000, v7
	s_xor_b32 s10, exec_lo, s10
	s_cbranch_execz .LBB14_1017
; %bb.1012:
	s_mov_b32 s11, exec_lo
                                        ; implicit-def: $vgpr3
	v_cmpx_lt_u32_e32 0x387fffff, v7
	s_xor_b32 s11, exec_lo, s11
; %bb.1013:
	v_bfe_u32 v3, v2, 21, 1
	s_delay_alu instid0(VALU_DEP_1) | instskip(NEXT) | instid1(VALU_DEP_1)
	v_add3_u32 v3, v2, v3, 0x80fffff
	v_lshrrev_b32_e32 v3, 21, v3
; %bb.1014:
	s_and_not1_saveexec_b32 s11, s11
; %bb.1015:
	v_add_f32_e64 v3, 0x43000000, |v2|
; %bb.1016:
	s_or_b32 exec_lo, exec_lo, s11
                                        ; implicit-def: $vgpr7
.LBB14_1017:
	s_and_not1_saveexec_b32 s10, s10
; %bb.1018:
	v_mov_b32_e32 v3, 0x7f
	v_cmp_lt_u32_e32 vcc_lo, 0x7f800000, v7
	s_delay_alu instid0(VALU_DEP_2)
	v_cndmask_b32_e32 v3, 0x7c, v3, vcc_lo
; %bb.1019:
	s_or_b32 exec_lo, exec_lo, s10
	v_lshrrev_b32_e32 v2, 24, v2
	s_delay_alu instid0(VALU_DEP_1)
	v_and_or_b32 v2, 0x80, v2, v3
	global_store_b8 v[4:5], v2, off
.LBB14_1020:
	s_mov_b32 s10, 0
.LBB14_1021:
	s_delay_alu instid0(SALU_CYCLE_1)
	s_and_not1_b32 vcc_lo, exec_lo, s10
	s_mov_b32 s10, 0
	s_cbranch_vccnz .LBB14_1029
; %bb.1022:
	v_cmp_lt_i16_e32 vcc_lo, 14, v6
	s_mov_b32 s10, -1
	s_cbranch_vccz .LBB14_1026
; %bb.1023:
	v_cmp_eq_u16_e32 vcc_lo, 15, v6
	s_mov_b32 s0, -1
	s_cbranch_vccz .LBB14_1025
; %bb.1024:
	v_cvt_f32_f64_e32 v2, v[0:1]
	s_mov_b32 s0, 0
	s_delay_alu instid0(VALU_DEP_1) | instskip(SKIP_1) | instid1(VALU_DEP_2)
	v_bfe_u32 v3, v2, 16, 1
	v_cmp_o_f32_e32 vcc_lo, v2, v2
	v_add3_u32 v3, v2, v3, 0x7fff
	s_delay_alu instid0(VALU_DEP_1) | instskip(NEXT) | instid1(VALU_DEP_1)
	v_lshrrev_b32_e32 v3, 16, v3
	v_cndmask_b32_e32 v2, 0x7fc0, v3, vcc_lo
	global_store_b16 v[4:5], v2, off
.LBB14_1025:
	s_mov_b32 s10, 0
.LBB14_1026:
	s_delay_alu instid0(SALU_CYCLE_1)
	s_and_b32 vcc_lo, exec_lo, s10
	s_mov_b32 s10, 0
	s_cbranch_vccz .LBB14_1029
; %bb.1027:
	v_cmp_ne_u16_e32 vcc_lo, 11, v6
	s_and_not1_b32 s0, s0, exec_lo
	s_mov_b32 s10, -1
	s_and_b32 s11, vcc_lo, exec_lo
	s_delay_alu instid0(SALU_CYCLE_1)
	s_or_b32 s0, s0, s11
	s_branch .LBB14_1029
.LBB14_1028:
	s_mov_b32 s10, 0
.LBB14_1029:
	s_and_not1_b32 s11, s20, exec_lo
	s_and_b32 s0, s0, exec_lo
	s_and_b32 s1, s1, exec_lo
	;; [unrolled: 1-line block ×3, first 2 shown]
	s_or_b32 s20, s11, s0
.LBB14_1030:
	s_or_b32 exec_lo, exec_lo, s21
	s_and_saveexec_b32 s0, s20
	s_cbranch_execnz .LBB14_1092
; %bb.1031:
	s_or_b32 exec_lo, exec_lo, s0
	s_and_saveexec_b32 s0, s22
	s_delay_alu instid0(SALU_CYCLE_1)
	s_xor_b32 s0, exec_lo, s0
	s_cbranch_execz .LBB14_1033
.LBB14_1032:
	v_cmp_neq_f64_e32 vcc_lo, 0, v[0:1]
	s_waitcnt vmcnt(0)
	v_cndmask_b32_e64 v2, 0, 1, vcc_lo
	global_store_b8 v[4:5], v2, off
.LBB14_1033:
	s_or_b32 exec_lo, exec_lo, s0
	s_and_saveexec_b32 s0, s1
	s_delay_alu instid0(SALU_CYCLE_1)
	s_xor_b32 s0, exec_lo, s0
	s_cbranch_execz .LBB14_1071
; %bb.1034:
	v_cmp_gt_i16_e32 vcc_lo, 5, v6
	s_mov_b32 s1, -1
	s_cbranch_vccnz .LBB14_1055
; %bb.1035:
	v_cmp_gt_i16_e32 vcc_lo, 8, v6
	s_cbranch_vccnz .LBB14_1045
; %bb.1036:
	v_cmp_gt_i16_e32 vcc_lo, 9, v6
	s_cbranch_vccnz .LBB14_1042
; %bb.1037:
	v_cmp_lt_i16_e32 vcc_lo, 9, v6
	s_cbranch_vccz .LBB14_1039
; %bb.1038:
	s_waitcnt vmcnt(0)
	v_mov_b32_e32 v2, 0
	s_mov_b32 s1, 0
	s_delay_alu instid0(VALU_DEP_1)
	v_mov_b32_e32 v3, v2
	global_store_b128 v[4:5], v[0:3], off
.LBB14_1039:
	s_and_not1_b32 vcc_lo, exec_lo, s1
	s_cbranch_vccnz .LBB14_1041
; %bb.1040:
	s_waitcnt vmcnt(0)
	v_cvt_f32_f64_e32 v2, v[0:1]
	v_mov_b32_e32 v3, 0
	global_store_b64 v[4:5], v[2:3], off
.LBB14_1041:
	s_mov_b32 s1, 0
.LBB14_1042:
	s_delay_alu instid0(SALU_CYCLE_1)
	s_and_not1_b32 vcc_lo, exec_lo, s1
	s_cbranch_vccnz .LBB14_1044
; %bb.1043:
	s_waitcnt vmcnt(0)
	v_cvt_f32_f64_e32 v2, v[0:1]
	s_delay_alu instid0(VALU_DEP_1) | instskip(NEXT) | instid1(VALU_DEP_1)
	v_cvt_f16_f32_e32 v2, v2
	v_and_b32_e32 v2, 0xffff, v2
	global_store_b32 v[4:5], v2, off
.LBB14_1044:
	s_mov_b32 s1, 0
.LBB14_1045:
	s_delay_alu instid0(SALU_CYCLE_1)
	s_and_not1_b32 vcc_lo, exec_lo, s1
	s_cbranch_vccnz .LBB14_1054
; %bb.1046:
	v_cmp_gt_i16_e32 vcc_lo, 6, v6
	s_mov_b32 s1, -1
	s_cbranch_vccnz .LBB14_1052
; %bb.1047:
	v_cmp_lt_i16_e32 vcc_lo, 6, v6
	s_cbranch_vccz .LBB14_1049
; %bb.1048:
	s_mov_b32 s1, 0
	global_store_b64 v[4:5], v[0:1], off
.LBB14_1049:
	s_and_not1_b32 vcc_lo, exec_lo, s1
	s_cbranch_vccnz .LBB14_1051
; %bb.1050:
	s_waitcnt vmcnt(0)
	v_cvt_f32_f64_e32 v2, v[0:1]
	global_store_b32 v[4:5], v2, off
.LBB14_1051:
	s_mov_b32 s1, 0
.LBB14_1052:
	s_delay_alu instid0(SALU_CYCLE_1)
	s_and_not1_b32 vcc_lo, exec_lo, s1
	s_cbranch_vccnz .LBB14_1054
; %bb.1053:
	s_waitcnt vmcnt(0)
	v_cvt_f32_f64_e32 v2, v[0:1]
	s_delay_alu instid0(VALU_DEP_1)
	v_cvt_f16_f32_e32 v2, v2
	global_store_b16 v[4:5], v2, off
.LBB14_1054:
	s_mov_b32 s1, 0
.LBB14_1055:
	s_delay_alu instid0(SALU_CYCLE_1)
	s_and_not1_b32 vcc_lo, exec_lo, s1
	s_cbranch_vccnz .LBB14_1071
; %bb.1056:
	v_cmp_gt_i16_e32 vcc_lo, 2, v6
	s_mov_b32 s1, -1
	s_cbranch_vccnz .LBB14_1066
; %bb.1057:
	v_cmp_gt_i16_e32 vcc_lo, 3, v6
	s_cbranch_vccnz .LBB14_1063
; %bb.1058:
	v_cmp_lt_i16_e32 vcc_lo, 3, v6
	s_cbranch_vccz .LBB14_1060
; %bb.1059:
	s_waitcnt vmcnt(0)
	v_trunc_f64_e32 v[2:3], v[0:1]
	s_mov_b32 s1, 0
	s_delay_alu instid0(VALU_DEP_1) | instskip(NEXT) | instid1(VALU_DEP_1)
	v_ldexp_f64 v[7:8], v[2:3], 0xffffffe0
	v_floor_f64_e32 v[7:8], v[7:8]
	s_delay_alu instid0(VALU_DEP_1) | instskip(SKIP_1) | instid1(VALU_DEP_2)
	v_fma_f64 v[2:3], 0xc1f00000, v[7:8], v[2:3]
	v_cvt_i32_f64_e32 v8, v[7:8]
	v_cvt_u32_f64_e32 v7, v[2:3]
	global_store_b64 v[4:5], v[7:8], off
.LBB14_1060:
	s_and_not1_b32 vcc_lo, exec_lo, s1
	s_cbranch_vccnz .LBB14_1062
; %bb.1061:
	s_waitcnt vmcnt(0)
	v_cvt_i32_f64_e32 v2, v[0:1]
	global_store_b32 v[4:5], v2, off
.LBB14_1062:
	s_mov_b32 s1, 0
.LBB14_1063:
	s_delay_alu instid0(SALU_CYCLE_1)
	s_and_not1_b32 vcc_lo, exec_lo, s1
	s_cbranch_vccnz .LBB14_1065
; %bb.1064:
	s_waitcnt vmcnt(0)
	v_cvt_i32_f64_e32 v2, v[0:1]
	global_store_b16 v[4:5], v2, off
.LBB14_1065:
	s_mov_b32 s1, 0
.LBB14_1066:
	s_delay_alu instid0(SALU_CYCLE_1)
	s_and_not1_b32 vcc_lo, exec_lo, s1
	s_cbranch_vccnz .LBB14_1071
; %bb.1067:
	v_cmp_lt_i16_e32 vcc_lo, 0, v6
	s_mov_b32 s1, -1
	s_cbranch_vccz .LBB14_1069
; %bb.1068:
	s_waitcnt vmcnt(0)
	v_cvt_i32_f64_e32 v2, v[0:1]
	s_mov_b32 s1, 0
	global_store_b8 v[4:5], v2, off
.LBB14_1069:
	s_and_not1_b32 vcc_lo, exec_lo, s1
	s_cbranch_vccnz .LBB14_1071
; %bb.1070:
	v_trunc_f64_e32 v[0:1], v[0:1]
	s_waitcnt vmcnt(0)
	s_delay_alu instid0(VALU_DEP_1) | instskip(NEXT) | instid1(VALU_DEP_1)
	v_ldexp_f64 v[2:3], v[0:1], 0xffffffe0
	v_floor_f64_e32 v[2:3], v[2:3]
	s_delay_alu instid0(VALU_DEP_1) | instskip(NEXT) | instid1(VALU_DEP_1)
	v_fma_f64 v[0:1], 0xc1f00000, v[2:3], v[0:1]
	v_cvt_u32_f64_e32 v0, v[0:1]
	global_store_b8 v[4:5], v0, off
.LBB14_1071:
	s_or_b32 exec_lo, exec_lo, s0
	s_delay_alu instid0(SALU_CYCLE_1)
	s_and_b32 s12, s19, exec_lo
                                        ; implicit-def: $vgpr14
                                        ; implicit-def: $vgpr12
.LBB14_1072:
	s_or_saveexec_b32 s13, s16
	s_mov_b32 s0, 0
                                        ; implicit-def: $vgpr15
                                        ; implicit-def: $vgpr0_vgpr1
                                        ; implicit-def: $vgpr8_vgpr9
	s_xor_b32 exec_lo, exec_lo, s13
	s_cbranch_execz .LBB14_1641
; %bb.1073:
	v_mul_lo_u32 v8, s3, v14
	v_cmp_gt_i16_e32 vcc_lo, 11, v12
	s_delay_alu instid0(VALU_DEP_2) | instskip(SKIP_1) | instid1(VALU_DEP_1)
	v_ashrrev_i32_e32 v1, 31, v8
	v_add_co_u32 v0, s0, s6, v8
	v_add_co_ci_u32_e64 v1, s0, s7, v1, s0
	s_cbranch_vccnz .LBB14_1080
; %bb.1074:
	v_cmp_lt_i16_e32 vcc_lo, 25, v12
	s_mov_b32 s11, 0
	s_cbranch_vccz .LBB14_1086
; %bb.1075:
	v_cmp_lt_i16_e32 vcc_lo, 28, v12
	s_cbranch_vccz .LBB14_1088
; %bb.1076:
	v_cmp_lt_i16_e32 vcc_lo, 43, v12
	;; [unrolled: 3-line block ×3, first 2 shown]
	s_cbranch_vccz .LBB14_1094
; %bb.1078:
	v_cmp_eq_u16_e32 vcc_lo, 46, v12
	s_mov_b32 s1, 0
	s_cbranch_vccz .LBB14_1134
; %bb.1079:
	global_load_b32 v2, v[0:1], off
	s_mov_b32 s10, 0
	s_mov_b32 s0, -1
	s_waitcnt vmcnt(0)
	v_lshlrev_b32_e32 v2, 16, v2
	s_delay_alu instid0(VALU_DEP_1)
	v_cvt_f64_f32_e32 v[2:3], v2
	s_branch .LBB14_1136
.LBB14_1080:
	s_mov_b32 s0, 0
	s_mov_b32 s15, s12
                                        ; implicit-def: $vgpr2_vgpr3
	s_cbranch_execz .LBB14_1199
; %bb.1081:
	v_cmp_gt_i16_e32 vcc_lo, 5, v12
	s_cbranch_vccnz .LBB14_1087
; %bb.1082:
	v_cmp_gt_i16_e32 vcc_lo, 8, v12
	s_cbranch_vccnz .LBB14_1089
	;; [unrolled: 3-line block ×3, first 2 shown]
; %bb.1084:
	v_cmp_lt_i16_e32 vcc_lo, 9, v12
	s_cbranch_vccz .LBB14_1095
; %bb.1085:
	global_load_b64 v[2:3], v[0:1], off
	s_mov_b32 s0, 0
	s_branch .LBB14_1096
.LBB14_1086:
	s_mov_b32 s0, 0
	s_mov_b32 s10, 0
                                        ; implicit-def: $vgpr2_vgpr3
	s_cbranch_execnz .LBB14_1166
	s_branch .LBB14_1195
.LBB14_1087:
                                        ; implicit-def: $vgpr2_vgpr3
	s_branch .LBB14_1113
.LBB14_1088:
	s_mov_b32 s1, -1
	s_mov_b32 s0, 0
	s_mov_b32 s10, 0
                                        ; implicit-def: $vgpr2_vgpr3
	s_branch .LBB14_1145
.LBB14_1089:
                                        ; implicit-def: $vgpr2_vgpr3
	s_branch .LBB14_1102
.LBB14_1090:
	s_mov_b32 s0, 0
	s_mov_b32 s10, 0
                                        ; implicit-def: $vgpr2_vgpr3
	s_cbranch_execnz .LBB14_1141
	s_branch .LBB14_1144
.LBB14_1091:
	s_mov_b32 s0, -1
                                        ; implicit-def: $vgpr2_vgpr3
	s_branch .LBB14_1099
.LBB14_1092:
	s_cbranch_execnz .LBB14_1132
; %bb.1093:
	s_or_b32 s19, s19, exec_lo
	s_and_not1_b32 s22, s22, exec_lo
	s_or_b32 exec_lo, exec_lo, s0
	s_and_saveexec_b32 s0, s22
	s_delay_alu instid0(SALU_CYCLE_1)
	s_xor_b32 s0, exec_lo, s0
	s_cbranch_execnz .LBB14_1032
	s_branch .LBB14_1033
.LBB14_1094:
	s_mov_b32 s1, -1
	s_mov_b32 s0, 0
	s_mov_b32 s10, 0
	s_branch .LBB14_1135
.LBB14_1095:
	s_mov_b32 s0, -1
                                        ; implicit-def: $vgpr2_vgpr3
.LBB14_1096:
	s_delay_alu instid0(SALU_CYCLE_1)
	s_and_not1_b32 vcc_lo, exec_lo, s0
	s_cbranch_vccnz .LBB14_1098
; %bb.1097:
	global_load_b32 v2, v[0:1], off
	s_waitcnt vmcnt(0)
	v_cvt_f64_f32_e32 v[2:3], v2
.LBB14_1098:
	s_mov_b32 s0, 0
.LBB14_1099:
	s_delay_alu instid0(SALU_CYCLE_1)
	s_and_not1_b32 vcc_lo, exec_lo, s0
	s_cbranch_vccnz .LBB14_1101
; %bb.1100:
	global_load_b32 v2, v[0:1], off
	s_waitcnt vmcnt(0)
	v_cvt_f32_f16_e32 v2, v2
	s_delay_alu instid0(VALU_DEP_1)
	v_cvt_f64_f32_e32 v[2:3], v2
.LBB14_1101:
	s_cbranch_execnz .LBB14_1112
.LBB14_1102:
	v_cmp_gt_i16_e32 vcc_lo, 6, v12
	s_cbranch_vccnz .LBB14_1105
; %bb.1103:
	v_cmp_lt_i16_e32 vcc_lo, 6, v12
	s_cbranch_vccz .LBB14_1106
; %bb.1104:
	global_load_b64 v[2:3], v[0:1], off
	s_mov_b32 s0, 0
	s_branch .LBB14_1107
.LBB14_1105:
	s_mov_b32 s0, -1
                                        ; implicit-def: $vgpr2_vgpr3
	s_branch .LBB14_1110
.LBB14_1106:
	s_mov_b32 s0, -1
                                        ; implicit-def: $vgpr2_vgpr3
.LBB14_1107:
	s_delay_alu instid0(SALU_CYCLE_1)
	s_and_not1_b32 vcc_lo, exec_lo, s0
	s_cbranch_vccnz .LBB14_1109
; %bb.1108:
	global_load_b32 v2, v[0:1], off
	s_waitcnt vmcnt(0)
	v_cvt_f64_f32_e32 v[2:3], v2
.LBB14_1109:
	s_mov_b32 s0, 0
.LBB14_1110:
	s_delay_alu instid0(SALU_CYCLE_1)
	s_and_not1_b32 vcc_lo, exec_lo, s0
	s_cbranch_vccnz .LBB14_1112
; %bb.1111:
	global_load_u16 v2, v[0:1], off
	s_waitcnt vmcnt(0)
	v_cvt_f32_f16_e32 v2, v2
	s_delay_alu instid0(VALU_DEP_1)
	v_cvt_f64_f32_e32 v[2:3], v2
.LBB14_1112:
	s_cbranch_execnz .LBB14_1131
.LBB14_1113:
	v_cmp_gt_i16_e32 vcc_lo, 2, v12
	s_cbranch_vccnz .LBB14_1117
; %bb.1114:
	v_cmp_gt_i16_e32 vcc_lo, 3, v12
	s_cbranch_vccnz .LBB14_1118
; %bb.1115:
	v_cmp_lt_i16_e32 vcc_lo, 3, v12
	s_cbranch_vccz .LBB14_1119
; %bb.1116:
	global_load_b64 v[2:3], v[0:1], off
	s_mov_b32 s0, 0
	s_waitcnt vmcnt(0)
	v_cvt_f64_i32_e32 v[3:4], v3
	v_cvt_f64_u32_e32 v[5:6], v2
	s_delay_alu instid0(VALU_DEP_2) | instskip(NEXT) | instid1(VALU_DEP_1)
	v_ldexp_f64 v[3:4], v[3:4], 32
	v_add_f64 v[2:3], v[3:4], v[5:6]
	s_branch .LBB14_1120
.LBB14_1117:
                                        ; implicit-def: $vgpr2_vgpr3
	s_branch .LBB14_1126
.LBB14_1118:
	s_mov_b32 s0, -1
                                        ; implicit-def: $vgpr2_vgpr3
	s_branch .LBB14_1123
.LBB14_1119:
	s_mov_b32 s0, -1
                                        ; implicit-def: $vgpr2_vgpr3
.LBB14_1120:
	s_delay_alu instid0(SALU_CYCLE_1)
	s_and_not1_b32 vcc_lo, exec_lo, s0
	s_cbranch_vccnz .LBB14_1122
; %bb.1121:
	global_load_b32 v2, v[0:1], off
	s_waitcnt vmcnt(0)
	v_cvt_f64_i32_e32 v[2:3], v2
.LBB14_1122:
	s_mov_b32 s0, 0
.LBB14_1123:
	s_delay_alu instid0(SALU_CYCLE_1)
	s_and_not1_b32 vcc_lo, exec_lo, s0
	s_cbranch_vccnz .LBB14_1125
; %bb.1124:
	global_load_i16 v2, v[0:1], off
	s_waitcnt vmcnt(0)
	v_cvt_f64_i32_e32 v[2:3], v2
.LBB14_1125:
	s_cbranch_execnz .LBB14_1131
.LBB14_1126:
	v_cmp_lt_i16_e32 vcc_lo, 0, v12
	s_mov_b32 s0, 0
	s_cbranch_vccz .LBB14_1128
; %bb.1127:
	global_load_i8 v2, v[0:1], off
	s_waitcnt vmcnt(0)
	v_cvt_f64_i32_e32 v[2:3], v2
	s_branch .LBB14_1129
.LBB14_1128:
	s_mov_b32 s0, -1
                                        ; implicit-def: $vgpr2_vgpr3
.LBB14_1129:
	s_delay_alu instid0(SALU_CYCLE_1)
	s_and_not1_b32 vcc_lo, exec_lo, s0
	s_cbranch_vccnz .LBB14_1131
; %bb.1130:
	global_load_u8 v0, v[0:1], off
	s_waitcnt vmcnt(0)
	v_cvt_f64_u32_e32 v[2:3], v0
.LBB14_1131:
                                        ; implicit-def: $vgpr10_vgpr11
	s_branch .LBB14_1200
.LBB14_1132:
	s_trap 2
	s_sendmsg_rtn_b32 s0, sendmsg(MSG_RTN_GET_DOORBELL)
	s_mov_b32 ttmp2, m0
	s_waitcnt lgkmcnt(0)
	s_and_b32 s0, s0, 0x3ff
	s_delay_alu instid0(SALU_CYCLE_1) | instskip(NEXT) | instid1(SALU_CYCLE_1)
	s_bitset1_b32 s0, 10
	s_mov_b32 m0, s0
	s_sendmsg sendmsg(MSG_INTERRUPT)
	s_mov_b32 m0, ttmp2
.LBB14_1133:                            ; =>This Inner Loop Header: Depth=1
	s_sethalt 5
	s_branch .LBB14_1133
.LBB14_1134:
	s_mov_b32 s10, -1
	s_mov_b32 s0, 0
.LBB14_1135:
                                        ; implicit-def: $vgpr2_vgpr3
.LBB14_1136:
	s_and_b32 vcc_lo, exec_lo, s1
	s_cbranch_vccz .LBB14_1139
; %bb.1137:
	v_cmp_eq_u16_e32 vcc_lo, 44, v12
	s_cbranch_vccz .LBB14_1140
; %bb.1138:
	global_load_u8 v4, v[0:1], off
	s_mov_b32 s10, 0
	s_mov_b32 s0, -1
	s_waitcnt vmcnt(0)
	v_cmp_ne_u32_e32 vcc_lo, 0xff, v4
	v_lshlrev_b32_e32 v2, 23, v4
	s_delay_alu instid0(VALU_DEP_1) | instskip(NEXT) | instid1(VALU_DEP_1)
	v_cvt_f64_f32_e32 v[2:3], v2
	v_cndmask_b32_e32 v3, 0x7ff80000, v3, vcc_lo
	s_delay_alu instid0(VALU_DEP_2) | instskip(SKIP_1) | instid1(VALU_DEP_3)
	v_cndmask_b32_e32 v2, 0x20000000, v2, vcc_lo
	v_cmp_ne_u32_e32 vcc_lo, 0, v4
	v_cndmask_b32_e32 v3, 0x38000000, v3, vcc_lo
	s_delay_alu instid0(VALU_DEP_3)
	v_cndmask_b32_e32 v2, 0, v2, vcc_lo
.LBB14_1139:
	s_branch .LBB14_1144
.LBB14_1140:
	s_mov_b32 s10, -1
                                        ; implicit-def: $vgpr2_vgpr3
	s_branch .LBB14_1144
.LBB14_1141:
	v_cmp_eq_u16_e32 vcc_lo, 29, v12
	s_cbranch_vccz .LBB14_1143
; %bb.1142:
	global_load_b64 v[2:3], v[0:1], off
	s_mov_b32 s10, 0
	s_mov_b32 s0, -1
	s_mov_b32 s1, 0
	s_waitcnt vmcnt(0)
	v_cvt_f64_u32_e32 v[3:4], v3
	v_cvt_f64_u32_e32 v[5:6], v2
	s_delay_alu instid0(VALU_DEP_2) | instskip(NEXT) | instid1(VALU_DEP_1)
	v_ldexp_f64 v[3:4], v[3:4], 32
	v_add_f64 v[2:3], v[3:4], v[5:6]
	s_branch .LBB14_1145
.LBB14_1143:
	s_mov_b32 s10, -1
                                        ; implicit-def: $vgpr2_vgpr3
.LBB14_1144:
	s_mov_b32 s1, 0
.LBB14_1145:
	s_delay_alu instid0(SALU_CYCLE_1)
	s_and_b32 vcc_lo, exec_lo, s1
	s_cbranch_vccz .LBB14_1165
; %bb.1146:
	v_cmp_gt_i16_e32 vcc_lo, 27, v12
	s_cbranch_vccnz .LBB14_1149
; %bb.1147:
	v_cmp_lt_i16_e32 vcc_lo, 27, v12
	s_cbranch_vccz .LBB14_1150
; %bb.1148:
	global_load_b32 v2, v[0:1], off
	s_mov_b32 s0, 0
	s_waitcnt vmcnt(0)
	v_cvt_f64_u32_e32 v[2:3], v2
	s_branch .LBB14_1151
.LBB14_1149:
	s_mov_b32 s0, -1
                                        ; implicit-def: $vgpr2_vgpr3
	s_branch .LBB14_1154
.LBB14_1150:
	s_mov_b32 s0, -1
                                        ; implicit-def: $vgpr2_vgpr3
.LBB14_1151:
	s_delay_alu instid0(SALU_CYCLE_1)
	s_and_not1_b32 vcc_lo, exec_lo, s0
	s_cbranch_vccnz .LBB14_1153
; %bb.1152:
	global_load_u16 v2, v[0:1], off
	s_waitcnt vmcnt(0)
	v_cvt_f64_u32_e32 v[2:3], v2
.LBB14_1153:
	s_mov_b32 s0, 0
.LBB14_1154:
	s_delay_alu instid0(SALU_CYCLE_1)
	s_and_not1_b32 vcc_lo, exec_lo, s0
	s_cbranch_vccnz .LBB14_1164
; %bb.1155:
	global_load_u8 v4, v[0:1], off
	s_mov_b32 s15, 0
	s_mov_b32 s16, exec_lo
                                        ; implicit-def: $sgpr0_sgpr1
	s_waitcnt vmcnt(0)
	v_cmpx_lt_i16_e32 0x7f, v4
	s_xor_b32 s16, exec_lo, s16
	s_cbranch_execz .LBB14_1159
; %bb.1156:
	s_mov_b32 s17, -1
	s_mov_b32 s15, exec_lo
                                        ; implicit-def: $sgpr0_sgpr1
	v_cmpx_eq_u16_e32 0x80, v4
; %bb.1157:
	s_mov_b32 s1, 0x7ff80000
	s_brev_b32 s0, 4
	s_xor_b32 s17, exec_lo, -1
; %bb.1158:
	s_or_b32 exec_lo, exec_lo, s15
	s_delay_alu instid0(SALU_CYCLE_1)
	s_and_b32 s15, s17, exec_lo
.LBB14_1159:
	s_or_saveexec_b32 s16, s16
	v_dual_mov_b32 v3, s1 :: v_dual_mov_b32 v2, s0
	s_xor_b32 exec_lo, exec_lo, s16
; %bb.1160:
	v_cmp_ne_u16_e32 vcc_lo, 0, v4
	v_mov_b32_e32 v2, 0
	v_mov_b32_e32 v3, 0
	s_and_not1_b32 s0, s15, exec_lo
	s_and_b32 s1, vcc_lo, exec_lo
	s_delay_alu instid0(SALU_CYCLE_1)
	s_or_b32 s15, s0, s1
; %bb.1161:
	s_or_b32 exec_lo, exec_lo, s16
	s_and_saveexec_b32 s0, s15
	s_cbranch_execz .LBB14_1163
; %bb.1162:
	v_and_b32_e32 v2, 0xffff, v4
	v_lshlrev_b32_e32 v4, 24, v4
	s_delay_alu instid0(VALU_DEP_2) | instskip(NEXT) | instid1(VALU_DEP_2)
	v_and_b32_e32 v3, 7, v2
	v_and_b32_e32 v4, 0x80000000, v4
	s_delay_alu instid0(VALU_DEP_2) | instskip(NEXT) | instid1(VALU_DEP_1)
	v_clz_i32_u32_e32 v5, v3
	v_min_u32_e32 v5, 32, v5
	s_delay_alu instid0(VALU_DEP_1) | instskip(SKIP_1) | instid1(VALU_DEP_2)
	v_subrev_nc_u32_e32 v6, 28, v5
	v_sub_nc_u32_e32 v5, 29, v5
	v_lshlrev_b32_e32 v6, v6, v2
	v_bfe_u32 v2, v2, 3, 4
	s_delay_alu instid0(VALU_DEP_2) | instskip(NEXT) | instid1(VALU_DEP_2)
	v_and_b32_e32 v6, 7, v6
	v_cmp_eq_u32_e32 vcc_lo, 0, v2
	s_delay_alu instid0(VALU_DEP_2) | instskip(NEXT) | instid1(VALU_DEP_1)
	v_dual_cndmask_b32 v2, v2, v5 :: v_dual_cndmask_b32 v3, v3, v6
	v_lshl_add_u32 v2, v2, 23, 0x3b800000
	s_delay_alu instid0(VALU_DEP_2) | instskip(NEXT) | instid1(VALU_DEP_1)
	v_lshlrev_b32_e32 v3, 20, v3
	v_or3_b32 v2, v4, v2, v3
	s_delay_alu instid0(VALU_DEP_1)
	v_cvt_f64_f32_e32 v[2:3], v2
.LBB14_1163:
	s_or_b32 exec_lo, exec_lo, s0
.LBB14_1164:
	s_mov_b32 s0, -1
.LBB14_1165:
	s_branch .LBB14_1195
.LBB14_1166:
	v_cmp_lt_i16_e32 vcc_lo, 22, v12
	s_cbranch_vccz .LBB14_1178
; %bb.1167:
	v_cmp_gt_i16_e32 vcc_lo, 24, v12
	s_cbranch_vccnz .LBB14_1179
; %bb.1168:
	v_cmp_lt_i16_e32 vcc_lo, 24, v12
	s_cbranch_vccz .LBB14_1180
; %bb.1169:
	global_load_u8 v4, v[0:1], off
	s_mov_b32 s15, exec_lo
                                        ; implicit-def: $sgpr0_sgpr1
	s_waitcnt vmcnt(0)
	v_cmpx_lt_i16_e32 0x7f, v4
	s_xor_b32 s15, exec_lo, s15
	s_cbranch_execz .LBB14_1173
; %bb.1170:
	s_mov_b32 s16, -1
	s_mov_b32 s11, exec_lo
                                        ; implicit-def: $sgpr0_sgpr1
	v_cmpx_eq_u16_e32 0x80, v4
; %bb.1171:
	s_mov_b32 s1, 0x7ff80000
	s_brev_b32 s0, 4
	s_xor_b32 s16, exec_lo, -1
; %bb.1172:
	s_or_b32 exec_lo, exec_lo, s11
	s_delay_alu instid0(SALU_CYCLE_1)
	s_and_b32 s11, s16, exec_lo
.LBB14_1173:
	s_or_saveexec_b32 s15, s15
	v_dual_mov_b32 v3, s1 :: v_dual_mov_b32 v2, s0
	s_xor_b32 exec_lo, exec_lo, s15
; %bb.1174:
	v_cmp_ne_u16_e32 vcc_lo, 0, v4
	v_mov_b32_e32 v2, 0
	v_mov_b32_e32 v3, 0
	s_and_not1_b32 s0, s11, exec_lo
	s_and_b32 s1, vcc_lo, exec_lo
	s_delay_alu instid0(SALU_CYCLE_1)
	s_or_b32 s11, s0, s1
; %bb.1175:
	s_or_b32 exec_lo, exec_lo, s15
	s_and_saveexec_b32 s0, s11
	s_cbranch_execz .LBB14_1177
; %bb.1176:
	v_and_b32_e32 v2, 0xffff, v4
	v_lshlrev_b32_e32 v4, 24, v4
	s_delay_alu instid0(VALU_DEP_2) | instskip(NEXT) | instid1(VALU_DEP_2)
	v_and_b32_e32 v3, 3, v2
	v_and_b32_e32 v4, 0x80000000, v4
	s_delay_alu instid0(VALU_DEP_2) | instskip(NEXT) | instid1(VALU_DEP_1)
	v_clz_i32_u32_e32 v5, v3
	v_min_u32_e32 v5, 32, v5
	s_delay_alu instid0(VALU_DEP_1) | instskip(SKIP_1) | instid1(VALU_DEP_2)
	v_subrev_nc_u32_e32 v6, 29, v5
	v_sub_nc_u32_e32 v5, 30, v5
	v_lshlrev_b32_e32 v6, v6, v2
	v_bfe_u32 v2, v2, 2, 5
	s_delay_alu instid0(VALU_DEP_2) | instskip(NEXT) | instid1(VALU_DEP_2)
	v_and_b32_e32 v6, 3, v6
	v_cmp_eq_u32_e32 vcc_lo, 0, v2
	s_delay_alu instid0(VALU_DEP_2) | instskip(NEXT) | instid1(VALU_DEP_1)
	v_dual_cndmask_b32 v2, v2, v5 :: v_dual_cndmask_b32 v3, v3, v6
	v_lshl_add_u32 v2, v2, 23, 0x37800000
	s_delay_alu instid0(VALU_DEP_2) | instskip(NEXT) | instid1(VALU_DEP_1)
	v_lshlrev_b32_e32 v3, 21, v3
	v_or3_b32 v2, v4, v2, v3
	s_delay_alu instid0(VALU_DEP_1)
	v_cvt_f64_f32_e32 v[2:3], v2
.LBB14_1177:
	s_or_b32 exec_lo, exec_lo, s0
	s_mov_b32 s0, 0
	s_branch .LBB14_1181
.LBB14_1178:
                                        ; implicit-def: $vgpr2_vgpr3
	s_mov_b32 s11, 0
	s_branch .LBB14_1187
.LBB14_1179:
	s_mov_b32 s0, -1
                                        ; implicit-def: $vgpr2_vgpr3
	s_branch .LBB14_1184
.LBB14_1180:
	s_mov_b32 s0, -1
                                        ; implicit-def: $vgpr2_vgpr3
.LBB14_1181:
	s_delay_alu instid0(SALU_CYCLE_1)
	s_and_b32 vcc_lo, exec_lo, s0
	s_cbranch_vccz .LBB14_1183
; %bb.1182:
	global_load_u8 v2, v[0:1], off
	s_waitcnt vmcnt(0)
	v_lshlrev_b32_e32 v2, 24, v2
	s_delay_alu instid0(VALU_DEP_1) | instskip(NEXT) | instid1(VALU_DEP_1)
	v_and_b32_e32 v3, 0x7f000000, v2
	v_clz_i32_u32_e32 v4, v3
	v_add_nc_u32_e32 v6, 0x1000000, v3
	v_cmp_ne_u32_e32 vcc_lo, 0, v3
	s_delay_alu instid0(VALU_DEP_3) | instskip(NEXT) | instid1(VALU_DEP_1)
	v_min_u32_e32 v4, 32, v4
	v_sub_nc_u32_e64 v4, v4, 4 clamp
	s_delay_alu instid0(VALU_DEP_1) | instskip(SKIP_1) | instid1(VALU_DEP_2)
	v_lshlrev_b32_e32 v5, v4, v3
	v_lshlrev_b32_e32 v4, 23, v4
	v_lshrrev_b32_e32 v5, 4, v5
	s_delay_alu instid0(VALU_DEP_1) | instskip(SKIP_1) | instid1(VALU_DEP_2)
	v_sub_nc_u32_e32 v4, v5, v4
	v_ashrrev_i32_e32 v5, 8, v6
	v_add_nc_u32_e32 v4, 0x3c000000, v4
	s_delay_alu instid0(VALU_DEP_1) | instskip(NEXT) | instid1(VALU_DEP_1)
	v_and_or_b32 v4, 0x7f800000, v5, v4
	v_cndmask_b32_e32 v3, 0, v4, vcc_lo
	s_delay_alu instid0(VALU_DEP_1) | instskip(NEXT) | instid1(VALU_DEP_1)
	v_and_or_b32 v2, 0x80000000, v2, v3
	v_cvt_f64_f32_e32 v[2:3], v2
.LBB14_1183:
	s_mov_b32 s0, 0
.LBB14_1184:
	s_delay_alu instid0(SALU_CYCLE_1)
	s_and_not1_b32 vcc_lo, exec_lo, s0
	s_cbranch_vccnz .LBB14_1186
; %bb.1185:
	global_load_u8 v2, v[0:1], off
	s_waitcnt vmcnt(0)
	v_lshlrev_b32_e32 v3, 25, v2
	v_lshlrev_b16 v2, 8, v2
	s_delay_alu instid0(VALU_DEP_2) | instskip(NEXT) | instid1(VALU_DEP_2)
	v_lshrrev_b32_e32 v4, 4, v3
	v_and_or_b32 v5, 0x7f00, v2, 0.5
	v_bfe_i32 v2, v2, 0, 16
	s_delay_alu instid0(VALU_DEP_3) | instskip(NEXT) | instid1(VALU_DEP_1)
	v_or_b32_e32 v4, 0x70000000, v4
	v_dual_add_f32 v5, -0.5, v5 :: v_dual_mul_f32 v4, 0x7800000, v4
	v_cmp_gt_u32_e32 vcc_lo, 0x8000000, v3
	s_delay_alu instid0(VALU_DEP_2) | instskip(NEXT) | instid1(VALU_DEP_1)
	v_cndmask_b32_e32 v3, v4, v5, vcc_lo
	v_and_or_b32 v2, 0x80000000, v2, v3
	s_delay_alu instid0(VALU_DEP_1)
	v_cvt_f64_f32_e32 v[2:3], v2
.LBB14_1186:
	s_mov_b32 s0, -1
	s_mov_b32 s11, 0
	s_cbranch_execnz .LBB14_1195
.LBB14_1187:
	v_cmp_lt_i16_e32 vcc_lo, 14, v12
	s_cbranch_vccz .LBB14_1190
; %bb.1188:
	v_cmp_eq_u16_e32 vcc_lo, 15, v12
	s_cbranch_vccz .LBB14_1191
; %bb.1189:
	global_load_u16 v2, v[0:1], off
	s_mov_b32 s10, 0
	s_mov_b32 s0, -1
	s_waitcnt vmcnt(0)
	v_lshlrev_b32_e32 v2, 16, v2
	s_delay_alu instid0(VALU_DEP_1)
	v_cvt_f64_f32_e32 v[2:3], v2
	s_branch .LBB14_1192
.LBB14_1190:
	s_mov_b32 s1, -1
                                        ; implicit-def: $vgpr2_vgpr3
	s_branch .LBB14_1193
.LBB14_1191:
	s_mov_b32 s10, -1
                                        ; implicit-def: $vgpr2_vgpr3
.LBB14_1192:
	s_mov_b32 s1, 0
.LBB14_1193:
	s_delay_alu instid0(SALU_CYCLE_1)
	s_and_b32 vcc_lo, exec_lo, s1
	s_cbranch_vccz .LBB14_1195
; %bb.1194:
	v_cmp_ne_u16_e64 s10, 11, v12
	s_mov_b32 s11, -1
                                        ; implicit-def: $vgpr2_vgpr3
.LBB14_1195:
	s_delay_alu instid0(VALU_DEP_1)
	s_and_b32 vcc_lo, exec_lo, s10
	s_mov_b32 s15, s12
	s_cbranch_vccnz .LBB14_1229
; %bb.1196:
	s_and_not1_b32 vcc_lo, exec_lo, s11
	s_cbranch_vccnz .LBB14_1198
.LBB14_1197:
	global_load_u8 v2, v[0:1], off
	s_mov_b32 s0, -1
	s_waitcnt vmcnt(0)
	v_cmp_ne_u16_e32 vcc_lo, 0, v2
	v_mov_b32_e32 v2, 0
	v_cndmask_b32_e64 v3, 0, 0x3ff00000, vcc_lo
.LBB14_1198:
.LBB14_1199:
	s_and_not1_b32 vcc_lo, exec_lo, s0
                                        ; implicit-def: $vgpr10_vgpr11
	s_cbranch_vccnz .LBB14_1639
.LBB14_1200:
	v_trunc_f64_e32 v[0:1], s[8:9]
	v_cmp_class_f64_e64 s0, s[8:9], 0x1f8
	s_delay_alu instid0(VALU_DEP_2) | instskip(NEXT) | instid1(VALU_DEP_2)
	v_ldexp_f64 v[4:5], v[0:1], 0xffffffe0
	s_and_b32 s0, s0, exec_lo
	s_delay_alu instid0(VALU_DEP_1) | instskip(NEXT) | instid1(VALU_DEP_1)
	v_floor_f64_e32 v[4:5], v[4:5]
	v_fma_f64 v[0:1], 0xc1f00000, v[4:5], v[0:1]
	v_cvt_i32_f64_e32 v4, v[4:5]
	s_delay_alu instid0(VALU_DEP_2) | instskip(NEXT) | instid1(VALU_DEP_2)
	v_cvt_u32_f64_e32 v0, v[0:1]
	v_readfirstlane_b32 s1, v4
	s_delay_alu instid0(VALU_DEP_1) | instskip(NEXT) | instid1(VALU_DEP_2)
	s_cselect_b32 s9, s1, -1
	v_readfirstlane_b32 s8, v0
	v_mov_b32_e32 v0, 0
	v_mov_b32_e32 v1, 0
	s_delay_alu instid0(VALU_DEP_3) | instskip(NEXT) | instid1(SALU_CYCLE_1)
	s_cselect_b32 s8, s8, -1
	v_cmp_lt_i64_e64 s0, s[8:9], 0
	v_cmp_gt_i64_e64 s16, s[8:9], -1
	s_delay_alu instid0(VALU_DEP_2)
	s_and_b32 vcc_lo, exec_lo, s0
	s_cbranch_vccnz .LBB14_1210
; %bb.1201:
	v_cmp_lt_i64_e64 s0, s[8:9], 1
	v_mov_b32_e32 v0, 0
	v_mov_b32_e32 v1, 0x3ff00000
	s_delay_alu instid0(VALU_DEP_3)
	s_and_b32 vcc_lo, exec_lo, s0
	s_cbranch_vccnz .LBB14_1210
; %bb.1202:
	s_cmp_lg_u64 s[8:9], 1
	s_cbranch_scc0 .LBB14_1207
; %bb.1203:
	v_cmp_lt_u64_e64 s0, 0x200, s[8:9]
	v_mov_b32_e32 v0, 0
	v_mov_b32_e32 v1, 0x7ff80000
	s_delay_alu instid0(VALU_DEP_3)
	s_and_b32 vcc_lo, exec_lo, s0
	s_cbranch_vccnz .LBB14_1206
; %bb.1204:
	s_waitcnt vmcnt(0)
	v_add_f64 v[4:5], v[2:3], v[2:3]
	v_mov_b32_e32 v6, 0
	v_mov_b32_e32 v7, 0x3ff00000
	s_lshl_b64 s[0:1], s[8:9], 1
	s_mov_b64 s[10:11], 2
	s_delay_alu instid0(VALU_DEP_3)
	v_dual_mov_b32 v0, v4 :: v_dual_mov_b32 v1, v5
	.p2align	6
.LBB14_1205:                            ; =>This Inner Loop Header: Depth=1
	v_cvt_f64_u32_e32 v[9:10], s11
	v_cvt_f64_u32_e32 v[15:16], s10
	s_add_u32 s10, s10, 2
	s_addc_u32 s11, s11, 0
	s_delay_alu instid0(SALU_CYCLE_1) | instskip(NEXT) | instid1(VALU_DEP_1)
	v_cmp_lt_u64_e64 s17, s[10:11], s[0:1]
	s_and_b32 vcc_lo, exec_lo, s17
	s_delay_alu instid0(VALU_DEP_3) | instskip(NEXT) | instid1(VALU_DEP_1)
	v_ldexp_f64 v[9:10], v[9:10], 32
	v_add_f64 v[9:10], v[9:10], v[15:16]
	s_delay_alu instid0(VALU_DEP_1) | instskip(SKIP_1) | instid1(VALU_DEP_1)
	v_mul_f64 v[6:7], v[6:7], v[9:10]
	v_dual_mov_b32 v10, v1 :: v_dual_mov_b32 v9, v0
	v_fma_f64 v[0:1], v[4:5], v[9:10], -v[6:7]
	v_dual_mov_b32 v6, v9 :: v_dual_mov_b32 v7, v10
	s_cbranch_vccnz .LBB14_1205
.LBB14_1206:
	s_mov_b32 s0, 0
	s_branch .LBB14_1208
.LBB14_1207:
	s_mov_b32 s0, -1
                                        ; implicit-def: $vgpr0_vgpr1
.LBB14_1208:
	s_delay_alu instid0(SALU_CYCLE_1)
	s_and_not1_b32 vcc_lo, exec_lo, s0
	s_cbranch_vccnz .LBB14_1210
; %bb.1209:
	s_waitcnt vmcnt(0)
	v_add_f64 v[0:1], v[2:3], v[2:3]
.LBB14_1210:
	s_lshl_b32 s3, s3, 7
	v_cmp_gt_i16_e32 vcc_lo, 11, v12
	v_add_nc_u32_e32 v10, s3, v8
	s_and_b32 vcc_lo, exec_lo, vcc_lo
	s_waitcnt vmcnt(0)
	s_delay_alu instid0(VALU_DEP_1) | instskip(SKIP_1) | instid1(VALU_DEP_1)
	v_ashrrev_i32_e32 v3, 31, v10
	v_add_co_u32 v2, s0, s6, v10
	v_add_co_ci_u32_e64 v3, s0, s7, v3, s0
	s_cbranch_vccnz .LBB14_1217
; %bb.1211:
	v_cmp_lt_i16_e32 vcc_lo, 25, v12
	s_mov_b32 s11, 0
	s_cbranch_vccz .LBB14_1223
; %bb.1212:
	v_cmp_lt_i16_e32 vcc_lo, 28, v12
	s_cbranch_vccz .LBB14_1225
; %bb.1213:
	v_cmp_lt_i16_e32 vcc_lo, 43, v12
	;; [unrolled: 3-line block ×3, first 2 shown]
	s_cbranch_vccz .LBB14_1233
; %bb.1215:
	v_cmp_eq_u16_e32 vcc_lo, 46, v12
	s_mov_b32 s1, 0
	s_cbranch_vccz .LBB14_1277
; %bb.1216:
	global_load_b32 v4, v[2:3], off
	s_mov_b32 s10, 0
	s_mov_b32 s0, -1
	s_waitcnt vmcnt(0)
	v_lshlrev_b32_e32 v4, 16, v4
	s_delay_alu instid0(VALU_DEP_1)
	v_cvt_f64_f32_e32 v[6:7], v4
	s_branch .LBB14_1279
.LBB14_1217:
	s_mov_b32 s0, 0
                                        ; implicit-def: $vgpr6_vgpr7
	s_cbranch_execz .LBB14_1344
; %bb.1218:
	v_cmp_gt_i16_e32 vcc_lo, 5, v12
	s_cbranch_vccnz .LBB14_1224
; %bb.1219:
	v_cmp_gt_i16_e32 vcc_lo, 8, v12
	s_cbranch_vccnz .LBB14_1226
	;; [unrolled: 3-line block ×3, first 2 shown]
; %bb.1221:
	v_cmp_lt_i16_e32 vcc_lo, 9, v12
	s_cbranch_vccz .LBB14_1234
; %bb.1222:
	global_load_b64 v[6:7], v[2:3], off
	s_mov_b32 s0, 0
	s_branch .LBB14_1235
.LBB14_1223:
	s_mov_b32 s0, 0
	s_mov_b32 s10, 0
                                        ; implicit-def: $vgpr6_vgpr7
	s_cbranch_execnz .LBB14_1310
	s_branch .LBB14_1340
.LBB14_1224:
                                        ; implicit-def: $vgpr6_vgpr7
	s_branch .LBB14_1253
.LBB14_1225:
	s_mov_b32 s1, -1
	s_mov_b32 s0, 0
	s_mov_b32 s10, 0
                                        ; implicit-def: $vgpr6_vgpr7
	s_branch .LBB14_1289
.LBB14_1226:
	s_mov_b32 s0, -1
                                        ; implicit-def: $vgpr6_vgpr7
	s_branch .LBB14_1241
.LBB14_1227:
	s_mov_b32 s1, -1
	s_mov_b32 s0, 0
	s_mov_b32 s10, 0
                                        ; implicit-def: $vgpr6_vgpr7
	s_branch .LBB14_1284
.LBB14_1228:
	s_mov_b32 s0, -1
                                        ; implicit-def: $vgpr6_vgpr7
	s_branch .LBB14_1238
.LBB14_1229:
	s_cbranch_execnz .LBB14_1273
; %bb.1230:
	s_or_b32 s15, s12, exec_lo
                                        ; implicit-def: $vgpr2_vgpr3
	s_cbranch_execz .LBB14_1197
	s_branch .LBB14_1198
.LBB14_1231:
	s_or_saveexec_b32 s11, s11
                                        ; implicit-def: $sgpr12
	s_delay_alu instid0(SALU_CYCLE_1)
	s_xor_b32 exec_lo, exec_lo, s11
	s_cbranch_execz .LBB14_983
.LBB14_1232:
	v_add_f32_e64 v3, 0x46000000, |v2|
	s_and_not1_b32 s10, s10, exec_lo
	s_mov_b32 s12, 0
	s_delay_alu instid0(VALU_DEP_1) | instskip(NEXT) | instid1(VALU_DEP_1)
	v_and_b32_e32 v3, 0xff, v3
	v_cmp_ne_u32_e32 vcc_lo, 0, v3
	s_and_b32 s13, vcc_lo, exec_lo
	s_delay_alu instid0(SALU_CYCLE_1)
	s_or_b32 s10, s10, s13
	s_or_b32 exec_lo, exec_lo, s11
	v_mov_b32_e32 v7, s12
	s_and_saveexec_b32 s11, s10
	s_cbranch_execnz .LBB14_984
	s_branch .LBB14_985
.LBB14_1233:
	s_mov_b32 s1, -1
	s_mov_b32 s0, 0
	s_mov_b32 s10, 0
	s_branch .LBB14_1278
.LBB14_1234:
	s_mov_b32 s0, -1
                                        ; implicit-def: $vgpr6_vgpr7
.LBB14_1235:
	s_delay_alu instid0(SALU_CYCLE_1)
	s_and_not1_b32 vcc_lo, exec_lo, s0
	s_cbranch_vccnz .LBB14_1237
; %bb.1236:
	global_load_b32 v4, v[2:3], off
	s_waitcnt vmcnt(0)
	v_cvt_f64_f32_e32 v[6:7], v4
.LBB14_1237:
	s_mov_b32 s0, 0
.LBB14_1238:
	s_delay_alu instid0(SALU_CYCLE_1)
	s_and_not1_b32 vcc_lo, exec_lo, s0
	s_cbranch_vccnz .LBB14_1240
; %bb.1239:
	global_load_b32 v4, v[2:3], off
	s_waitcnt vmcnt(0)
	v_cvt_f32_f16_e32 v4, v4
	s_delay_alu instid0(VALU_DEP_1)
	v_cvt_f64_f32_e32 v[6:7], v4
.LBB14_1240:
	s_mov_b32 s0, 0
.LBB14_1241:
	s_delay_alu instid0(SALU_CYCLE_1)
	s_and_not1_b32 vcc_lo, exec_lo, s0
	s_cbranch_vccnz .LBB14_1252
; %bb.1242:
	v_cmp_gt_i16_e32 vcc_lo, 6, v12
	s_cbranch_vccnz .LBB14_1245
; %bb.1243:
	v_cmp_lt_i16_e32 vcc_lo, 6, v12
	s_cbranch_vccz .LBB14_1246
; %bb.1244:
	global_load_b64 v[6:7], v[2:3], off
	s_mov_b32 s0, 0
	s_branch .LBB14_1247
.LBB14_1245:
	s_mov_b32 s0, -1
                                        ; implicit-def: $vgpr6_vgpr7
	s_branch .LBB14_1250
.LBB14_1246:
	s_mov_b32 s0, -1
                                        ; implicit-def: $vgpr6_vgpr7
.LBB14_1247:
	s_delay_alu instid0(SALU_CYCLE_1)
	s_and_not1_b32 vcc_lo, exec_lo, s0
	s_cbranch_vccnz .LBB14_1249
; %bb.1248:
	global_load_b32 v4, v[2:3], off
	s_waitcnt vmcnt(0)
	v_cvt_f64_f32_e32 v[6:7], v4
.LBB14_1249:
	s_mov_b32 s0, 0
.LBB14_1250:
	s_delay_alu instid0(SALU_CYCLE_1)
	s_and_not1_b32 vcc_lo, exec_lo, s0
	s_cbranch_vccnz .LBB14_1252
; %bb.1251:
	global_load_u16 v4, v[2:3], off
	s_waitcnt vmcnt(0)
	v_cvt_f32_f16_e32 v4, v4
	s_delay_alu instid0(VALU_DEP_1)
	v_cvt_f64_f32_e32 v[6:7], v4
.LBB14_1252:
	s_cbranch_execnz .LBB14_1272
.LBB14_1253:
	v_cmp_gt_i16_e32 vcc_lo, 2, v12
	s_cbranch_vccnz .LBB14_1257
; %bb.1254:
	v_cmp_gt_i16_e32 vcc_lo, 3, v12
	s_cbranch_vccnz .LBB14_1258
; %bb.1255:
	v_cmp_lt_i16_e32 vcc_lo, 3, v12
	s_cbranch_vccz .LBB14_1259
; %bb.1256:
	global_load_b64 v[4:5], v[2:3], off
	s_mov_b32 s0, 0
	s_waitcnt vmcnt(0)
	v_cvt_f64_i32_e32 v[5:6], v5
	v_cvt_f64_u32_e32 v[7:8], v4
	s_delay_alu instid0(VALU_DEP_2) | instskip(NEXT) | instid1(VALU_DEP_1)
	v_ldexp_f64 v[5:6], v[5:6], 32
	v_add_f64 v[6:7], v[5:6], v[7:8]
	s_branch .LBB14_1260
.LBB14_1257:
	s_mov_b32 s0, -1
                                        ; implicit-def: $vgpr6_vgpr7
	s_branch .LBB14_1266
.LBB14_1258:
	s_mov_b32 s0, -1
                                        ; implicit-def: $vgpr6_vgpr7
	s_branch .LBB14_1263
.LBB14_1259:
	s_mov_b32 s0, -1
                                        ; implicit-def: $vgpr6_vgpr7
.LBB14_1260:
	s_delay_alu instid0(SALU_CYCLE_1)
	s_and_not1_b32 vcc_lo, exec_lo, s0
	s_cbranch_vccnz .LBB14_1262
; %bb.1261:
	global_load_b32 v4, v[2:3], off
	s_waitcnt vmcnt(0)
	v_cvt_f64_i32_e32 v[6:7], v4
.LBB14_1262:
	s_mov_b32 s0, 0
.LBB14_1263:
	s_delay_alu instid0(SALU_CYCLE_1)
	s_and_not1_b32 vcc_lo, exec_lo, s0
	s_cbranch_vccnz .LBB14_1265
; %bb.1264:
	global_load_i16 v4, v[2:3], off
	s_waitcnt vmcnt(0)
	v_cvt_f64_i32_e32 v[6:7], v4
.LBB14_1265:
	s_mov_b32 s0, 0
.LBB14_1266:
	s_delay_alu instid0(SALU_CYCLE_1)
	s_and_not1_b32 vcc_lo, exec_lo, s0
	s_cbranch_vccnz .LBB14_1272
; %bb.1267:
	v_cmp_lt_i16_e32 vcc_lo, 0, v12
	s_mov_b32 s0, 0
	s_cbranch_vccz .LBB14_1269
; %bb.1268:
	global_load_i8 v4, v[2:3], off
	s_waitcnt vmcnt(0)
	v_cvt_f64_i32_e32 v[6:7], v4
	s_branch .LBB14_1270
.LBB14_1269:
	s_mov_b32 s0, -1
                                        ; implicit-def: $vgpr6_vgpr7
.LBB14_1270:
	s_delay_alu instid0(SALU_CYCLE_1)
	s_and_not1_b32 vcc_lo, exec_lo, s0
	s_cbranch_vccnz .LBB14_1272
; %bb.1271:
	global_load_u8 v2, v[2:3], off
	s_waitcnt vmcnt(0)
	v_cvt_f64_u32_e32 v[6:7], v2
.LBB14_1272:
	s_branch .LBB14_1345
.LBB14_1273:
	s_trap 2
	s_sendmsg_rtn_b32 s0, sendmsg(MSG_RTN_GET_DOORBELL)
	s_mov_b32 ttmp2, m0
	s_waitcnt lgkmcnt(0)
	s_and_b32 s0, s0, 0x3ff
	s_delay_alu instid0(SALU_CYCLE_1) | instskip(NEXT) | instid1(SALU_CYCLE_1)
	s_bitset1_b32 s0, 10
	s_mov_b32 m0, s0
	s_sendmsg sendmsg(MSG_INTERRUPT)
	s_mov_b32 m0, ttmp2
.LBB14_1274:                            ; =>This Inner Loop Header: Depth=1
	s_sethalt 5
	s_branch .LBB14_1274
.LBB14_1275:
	s_or_saveexec_b32 s12, s12
                                        ; implicit-def: $sgpr13
	s_delay_alu instid0(SALU_CYCLE_1)
	s_xor_b32 exec_lo, exec_lo, s12
	s_cbranch_execz .LBB14_995
.LBB14_1276:
	v_add_f32_e64 v3, 0x42800000, |v2|
	s_and_not1_b32 s11, s11, exec_lo
	s_mov_b32 s13, 0
	s_delay_alu instid0(VALU_DEP_1) | instskip(NEXT) | instid1(VALU_DEP_1)
	v_and_b32_e32 v3, 0xff, v3
	v_cmp_ne_u32_e32 vcc_lo, 0, v3
	s_and_b32 s17, vcc_lo, exec_lo
	s_delay_alu instid0(SALU_CYCLE_1)
	s_or_b32 s11, s11, s17
	s_or_b32 exec_lo, exec_lo, s12
	v_mov_b32_e32 v7, s13
	s_and_saveexec_b32 s12, s11
	s_cbranch_execnz .LBB14_996
	s_branch .LBB14_997
.LBB14_1277:
	s_mov_b32 s10, -1
	s_mov_b32 s0, 0
.LBB14_1278:
                                        ; implicit-def: $vgpr6_vgpr7
.LBB14_1279:
	s_and_b32 vcc_lo, exec_lo, s1
	s_cbranch_vccz .LBB14_1283
; %bb.1280:
	v_cmp_eq_u16_e32 vcc_lo, 44, v12
	s_cbranch_vccz .LBB14_1282
; %bb.1281:
	global_load_u8 v6, v[2:3], off
	s_mov_b32 s10, 0
	s_mov_b32 s0, -1
	s_waitcnt vmcnt(0)
	v_cmp_ne_u32_e32 vcc_lo, 0xff, v6
	v_lshlrev_b32_e32 v4, 23, v6
	s_delay_alu instid0(VALU_DEP_1) | instskip(NEXT) | instid1(VALU_DEP_1)
	v_cvt_f64_f32_e32 v[4:5], v4
	v_cndmask_b32_e32 v5, 0x7ff80000, v5, vcc_lo
	s_delay_alu instid0(VALU_DEP_2) | instskip(SKIP_1) | instid1(VALU_DEP_3)
	v_cndmask_b32_e32 v4, 0x20000000, v4, vcc_lo
	v_cmp_ne_u32_e32 vcc_lo, 0, v6
	v_cndmask_b32_e32 v7, 0x38000000, v5, vcc_lo
	s_delay_alu instid0(VALU_DEP_3)
	v_cndmask_b32_e32 v6, 0, v4, vcc_lo
	s_branch .LBB14_1283
.LBB14_1282:
	s_mov_b32 s10, -1
                                        ; implicit-def: $vgpr6_vgpr7
.LBB14_1283:
	s_mov_b32 s1, 0
.LBB14_1284:
	s_delay_alu instid0(SALU_CYCLE_1)
	s_and_b32 vcc_lo, exec_lo, s1
	s_cbranch_vccz .LBB14_1288
; %bb.1285:
	v_cmp_eq_u16_e32 vcc_lo, 29, v12
	s_cbranch_vccz .LBB14_1287
; %bb.1286:
	global_load_b64 v[4:5], v[2:3], off
	s_mov_b32 s10, 0
	s_mov_b32 s0, -1
	s_mov_b32 s1, 0
	s_waitcnt vmcnt(0)
	v_cvt_f64_u32_e32 v[5:6], v5
	v_cvt_f64_u32_e32 v[7:8], v4
	s_delay_alu instid0(VALU_DEP_2) | instskip(NEXT) | instid1(VALU_DEP_1)
	v_ldexp_f64 v[5:6], v[5:6], 32
	v_add_f64 v[6:7], v[5:6], v[7:8]
	s_branch .LBB14_1289
.LBB14_1287:
	s_mov_b32 s10, -1
                                        ; implicit-def: $vgpr6_vgpr7
.LBB14_1288:
	s_mov_b32 s1, 0
.LBB14_1289:
	s_delay_alu instid0(SALU_CYCLE_1)
	s_and_b32 vcc_lo, exec_lo, s1
	s_cbranch_vccz .LBB14_1309
; %bb.1290:
	v_cmp_gt_i16_e32 vcc_lo, 27, v12
	s_cbranch_vccnz .LBB14_1293
; %bb.1291:
	v_cmp_lt_i16_e32 vcc_lo, 27, v12
	s_cbranch_vccz .LBB14_1294
; %bb.1292:
	global_load_b32 v4, v[2:3], off
	s_mov_b32 s0, 0
	s_waitcnt vmcnt(0)
	v_cvt_f64_u32_e32 v[6:7], v4
	s_branch .LBB14_1295
.LBB14_1293:
	s_mov_b32 s0, -1
                                        ; implicit-def: $vgpr6_vgpr7
	s_branch .LBB14_1298
.LBB14_1294:
	s_mov_b32 s0, -1
                                        ; implicit-def: $vgpr6_vgpr7
.LBB14_1295:
	s_delay_alu instid0(SALU_CYCLE_1)
	s_and_not1_b32 vcc_lo, exec_lo, s0
	s_cbranch_vccnz .LBB14_1297
; %bb.1296:
	global_load_u16 v4, v[2:3], off
	s_waitcnt vmcnt(0)
	v_cvt_f64_u32_e32 v[6:7], v4
.LBB14_1297:
	s_mov_b32 s0, 0
.LBB14_1298:
	s_delay_alu instid0(SALU_CYCLE_1)
	s_and_not1_b32 vcc_lo, exec_lo, s0
	s_cbranch_vccnz .LBB14_1308
; %bb.1299:
	global_load_u8 v4, v[2:3], off
	s_mov_b32 s17, 0
	s_mov_b32 s18, exec_lo
                                        ; implicit-def: $sgpr0_sgpr1
	s_waitcnt vmcnt(0)
	v_cmpx_lt_i16_e32 0x7f, v4
	s_xor_b32 s18, exec_lo, s18
	s_cbranch_execz .LBB14_1303
; %bb.1300:
	s_mov_b32 s19, -1
	s_mov_b32 s17, exec_lo
                                        ; implicit-def: $sgpr0_sgpr1
	v_cmpx_eq_u16_e32 0x80, v4
; %bb.1301:
	s_mov_b32 s1, 0x7ff80000
	s_brev_b32 s0, 4
	s_xor_b32 s19, exec_lo, -1
; %bb.1302:
	s_or_b32 exec_lo, exec_lo, s17
	s_delay_alu instid0(SALU_CYCLE_1)
	s_and_b32 s17, s19, exec_lo
.LBB14_1303:
	s_or_saveexec_b32 s18, s18
	v_dual_mov_b32 v7, s1 :: v_dual_mov_b32 v6, s0
	s_xor_b32 exec_lo, exec_lo, s18
; %bb.1304:
	v_cmp_ne_u16_e32 vcc_lo, 0, v4
	v_mov_b32_e32 v6, 0
	v_mov_b32_e32 v7, 0
	s_and_not1_b32 s0, s17, exec_lo
	s_and_b32 s1, vcc_lo, exec_lo
	s_delay_alu instid0(SALU_CYCLE_1)
	s_or_b32 s17, s0, s1
; %bb.1305:
	s_or_b32 exec_lo, exec_lo, s18
	s_and_saveexec_b32 s0, s17
	s_cbranch_execz .LBB14_1307
; %bb.1306:
	v_and_b32_e32 v5, 0xffff, v4
	v_lshlrev_b32_e32 v4, 24, v4
	s_delay_alu instid0(VALU_DEP_2) | instskip(NEXT) | instid1(VALU_DEP_2)
	v_and_b32_e32 v6, 7, v5
	v_and_b32_e32 v4, 0x80000000, v4
	s_delay_alu instid0(VALU_DEP_2) | instskip(NEXT) | instid1(VALU_DEP_1)
	v_clz_i32_u32_e32 v7, v6
	v_min_u32_e32 v7, 32, v7
	s_delay_alu instid0(VALU_DEP_1) | instskip(SKIP_1) | instid1(VALU_DEP_2)
	v_subrev_nc_u32_e32 v8, 28, v7
	v_sub_nc_u32_e32 v7, 29, v7
	v_lshlrev_b32_e32 v8, v8, v5
	v_bfe_u32 v5, v5, 3, 4
	s_delay_alu instid0(VALU_DEP_2) | instskip(NEXT) | instid1(VALU_DEP_2)
	v_and_b32_e32 v8, 7, v8
	v_cmp_eq_u32_e32 vcc_lo, 0, v5
	s_delay_alu instid0(VALU_DEP_2) | instskip(NEXT) | instid1(VALU_DEP_1)
	v_dual_cndmask_b32 v5, v5, v7 :: v_dual_cndmask_b32 v6, v6, v8
	v_lshl_add_u32 v5, v5, 23, 0x3b800000
	s_delay_alu instid0(VALU_DEP_2) | instskip(NEXT) | instid1(VALU_DEP_1)
	v_lshlrev_b32_e32 v6, 20, v6
	v_or3_b32 v4, v4, v5, v6
	s_delay_alu instid0(VALU_DEP_1)
	v_cvt_f64_f32_e32 v[6:7], v4
.LBB14_1307:
	s_or_b32 exec_lo, exec_lo, s0
.LBB14_1308:
	s_mov_b32 s0, -1
.LBB14_1309:
	s_branch .LBB14_1340
.LBB14_1310:
	v_cmp_lt_i16_e32 vcc_lo, 22, v12
	s_cbranch_vccz .LBB14_1322
; %bb.1311:
	v_cmp_gt_i16_e32 vcc_lo, 24, v12
	s_cbranch_vccnz .LBB14_1323
; %bb.1312:
	v_cmp_lt_i16_e32 vcc_lo, 24, v12
	s_cbranch_vccz .LBB14_1324
; %bb.1313:
	global_load_u8 v4, v[2:3], off
	s_mov_b32 s17, exec_lo
                                        ; implicit-def: $sgpr0_sgpr1
	s_waitcnt vmcnt(0)
	v_cmpx_lt_i16_e32 0x7f, v4
	s_xor_b32 s17, exec_lo, s17
	s_cbranch_execz .LBB14_1317
; %bb.1314:
	s_mov_b32 s18, -1
	s_mov_b32 s11, exec_lo
                                        ; implicit-def: $sgpr0_sgpr1
	v_cmpx_eq_u16_e32 0x80, v4
; %bb.1315:
	s_mov_b32 s1, 0x7ff80000
	s_brev_b32 s0, 4
	s_xor_b32 s18, exec_lo, -1
; %bb.1316:
	s_or_b32 exec_lo, exec_lo, s11
	s_delay_alu instid0(SALU_CYCLE_1)
	s_and_b32 s11, s18, exec_lo
.LBB14_1317:
	s_or_saveexec_b32 s17, s17
	v_dual_mov_b32 v7, s1 :: v_dual_mov_b32 v6, s0
	s_xor_b32 exec_lo, exec_lo, s17
; %bb.1318:
	v_cmp_ne_u16_e32 vcc_lo, 0, v4
	v_mov_b32_e32 v6, 0
	v_mov_b32_e32 v7, 0
	s_and_not1_b32 s0, s11, exec_lo
	s_and_b32 s1, vcc_lo, exec_lo
	s_delay_alu instid0(SALU_CYCLE_1)
	s_or_b32 s11, s0, s1
; %bb.1319:
	s_or_b32 exec_lo, exec_lo, s17
	s_and_saveexec_b32 s0, s11
	s_cbranch_execz .LBB14_1321
; %bb.1320:
	v_and_b32_e32 v5, 0xffff, v4
	v_lshlrev_b32_e32 v4, 24, v4
	s_delay_alu instid0(VALU_DEP_2) | instskip(NEXT) | instid1(VALU_DEP_2)
	v_and_b32_e32 v6, 3, v5
	v_and_b32_e32 v4, 0x80000000, v4
	s_delay_alu instid0(VALU_DEP_2) | instskip(NEXT) | instid1(VALU_DEP_1)
	v_clz_i32_u32_e32 v7, v6
	v_min_u32_e32 v7, 32, v7
	s_delay_alu instid0(VALU_DEP_1) | instskip(SKIP_1) | instid1(VALU_DEP_2)
	v_subrev_nc_u32_e32 v8, 29, v7
	v_sub_nc_u32_e32 v7, 30, v7
	v_lshlrev_b32_e32 v8, v8, v5
	v_bfe_u32 v5, v5, 2, 5
	s_delay_alu instid0(VALU_DEP_2) | instskip(NEXT) | instid1(VALU_DEP_2)
	v_and_b32_e32 v8, 3, v8
	v_cmp_eq_u32_e32 vcc_lo, 0, v5
	s_delay_alu instid0(VALU_DEP_2) | instskip(NEXT) | instid1(VALU_DEP_1)
	v_dual_cndmask_b32 v5, v5, v7 :: v_dual_cndmask_b32 v6, v6, v8
	v_lshl_add_u32 v5, v5, 23, 0x37800000
	s_delay_alu instid0(VALU_DEP_2) | instskip(NEXT) | instid1(VALU_DEP_1)
	v_lshlrev_b32_e32 v6, 21, v6
	v_or3_b32 v4, v4, v5, v6
	s_delay_alu instid0(VALU_DEP_1)
	v_cvt_f64_f32_e32 v[6:7], v4
.LBB14_1321:
	s_or_b32 exec_lo, exec_lo, s0
	s_mov_b32 s0, 0
	s_branch .LBB14_1325
.LBB14_1322:
	s_mov_b32 s1, -1
                                        ; implicit-def: $vgpr6_vgpr7
	s_branch .LBB14_1331
.LBB14_1323:
	s_mov_b32 s0, -1
                                        ; implicit-def: $vgpr6_vgpr7
	s_branch .LBB14_1328
.LBB14_1324:
	s_mov_b32 s0, -1
                                        ; implicit-def: $vgpr6_vgpr7
.LBB14_1325:
	s_delay_alu instid0(SALU_CYCLE_1)
	s_and_b32 vcc_lo, exec_lo, s0
	s_cbranch_vccz .LBB14_1327
; %bb.1326:
	global_load_u8 v4, v[2:3], off
	s_waitcnt vmcnt(0)
	v_lshlrev_b32_e32 v4, 24, v4
	s_delay_alu instid0(VALU_DEP_1) | instskip(NEXT) | instid1(VALU_DEP_1)
	v_and_b32_e32 v5, 0x7f000000, v4
	v_clz_i32_u32_e32 v6, v5
	v_add_nc_u32_e32 v8, 0x1000000, v5
	v_cmp_ne_u32_e32 vcc_lo, 0, v5
	s_delay_alu instid0(VALU_DEP_3) | instskip(NEXT) | instid1(VALU_DEP_1)
	v_min_u32_e32 v6, 32, v6
	v_sub_nc_u32_e64 v6, v6, 4 clamp
	s_delay_alu instid0(VALU_DEP_1) | instskip(SKIP_1) | instid1(VALU_DEP_2)
	v_lshlrev_b32_e32 v7, v6, v5
	v_lshlrev_b32_e32 v6, 23, v6
	v_lshrrev_b32_e32 v7, 4, v7
	s_delay_alu instid0(VALU_DEP_1) | instskip(SKIP_1) | instid1(VALU_DEP_2)
	v_sub_nc_u32_e32 v6, v7, v6
	v_ashrrev_i32_e32 v7, 8, v8
	v_add_nc_u32_e32 v6, 0x3c000000, v6
	s_delay_alu instid0(VALU_DEP_1) | instskip(NEXT) | instid1(VALU_DEP_1)
	v_and_or_b32 v6, 0x7f800000, v7, v6
	v_cndmask_b32_e32 v5, 0, v6, vcc_lo
	s_delay_alu instid0(VALU_DEP_1) | instskip(NEXT) | instid1(VALU_DEP_1)
	v_and_or_b32 v4, 0x80000000, v4, v5
	v_cvt_f64_f32_e32 v[6:7], v4
.LBB14_1327:
	s_mov_b32 s0, 0
.LBB14_1328:
	s_delay_alu instid0(SALU_CYCLE_1)
	s_and_not1_b32 vcc_lo, exec_lo, s0
	s_cbranch_vccnz .LBB14_1330
; %bb.1329:
	global_load_u8 v4, v[2:3], off
	s_waitcnt vmcnt(0)
	v_lshlrev_b32_e32 v5, 25, v4
	v_lshlrev_b16 v4, 8, v4
	s_delay_alu instid0(VALU_DEP_2) | instskip(NEXT) | instid1(VALU_DEP_2)
	v_lshrrev_b32_e32 v6, 4, v5
	v_and_or_b32 v7, 0x7f00, v4, 0.5
	v_bfe_i32 v4, v4, 0, 16
	s_delay_alu instid0(VALU_DEP_3) | instskip(NEXT) | instid1(VALU_DEP_1)
	v_or_b32_e32 v6, 0x70000000, v6
	v_dual_add_f32 v7, -0.5, v7 :: v_dual_mul_f32 v6, 0x7800000, v6
	v_cmp_gt_u32_e32 vcc_lo, 0x8000000, v5
	s_delay_alu instid0(VALU_DEP_2) | instskip(NEXT) | instid1(VALU_DEP_1)
	v_cndmask_b32_e32 v5, v6, v7, vcc_lo
	v_and_or_b32 v4, 0x80000000, v4, v5
	s_delay_alu instid0(VALU_DEP_1)
	v_cvt_f64_f32_e32 v[6:7], v4
.LBB14_1330:
	s_mov_b32 s1, 0
	s_mov_b32 s0, -1
.LBB14_1331:
	s_and_not1_b32 vcc_lo, exec_lo, s1
	s_mov_b32 s11, 0
	s_cbranch_vccnz .LBB14_1340
; %bb.1332:
	v_cmp_lt_i16_e32 vcc_lo, 14, v12
	s_cbranch_vccz .LBB14_1335
; %bb.1333:
	v_cmp_eq_u16_e32 vcc_lo, 15, v12
	s_cbranch_vccz .LBB14_1336
; %bb.1334:
	global_load_u16 v4, v[2:3], off
	s_mov_b32 s10, 0
	s_mov_b32 s0, -1
	s_waitcnt vmcnt(0)
	v_lshlrev_b32_e32 v4, 16, v4
	s_delay_alu instid0(VALU_DEP_1)
	v_cvt_f64_f32_e32 v[6:7], v4
	s_branch .LBB14_1337
.LBB14_1335:
	s_mov_b32 s1, -1
                                        ; implicit-def: $vgpr6_vgpr7
	s_branch .LBB14_1338
.LBB14_1336:
	s_mov_b32 s10, -1
                                        ; implicit-def: $vgpr6_vgpr7
.LBB14_1337:
	s_mov_b32 s1, 0
.LBB14_1338:
	s_delay_alu instid0(SALU_CYCLE_1)
	s_and_b32 vcc_lo, exec_lo, s1
	s_cbranch_vccz .LBB14_1340
; %bb.1339:
	v_cmp_ne_u16_e64 s10, 11, v12
	s_mov_b32 s11, -1
                                        ; implicit-def: $vgpr6_vgpr7
.LBB14_1340:
	s_delay_alu instid0(VALU_DEP_1)
	s_and_b32 vcc_lo, exec_lo, s10
	s_cbranch_vccnz .LBB14_1374
; %bb.1341:
	s_and_not1_b32 vcc_lo, exec_lo, s11
	s_cbranch_vccnz .LBB14_1343
.LBB14_1342:
	global_load_u8 v4, v[2:3], off
	v_mov_b32_e32 v6, 0
	s_mov_b32 s0, -1
	s_waitcnt vmcnt(0)
	v_cmp_ne_u16_e32 vcc_lo, 0, v4
	v_cndmask_b32_e64 v7, 0, 0x3ff00000, vcc_lo
.LBB14_1343:
.LBB14_1344:
	s_and_not1_b32 vcc_lo, exec_lo, s0
	s_cbranch_vccnz .LBB14_1639
.LBB14_1345:
	v_mov_b32_e32 v4, 0
	v_cndmask_b32_e64 v13, 0, 1, s16
	v_mov_b32_e32 v5, 0
	s_and_not1_b32 vcc_lo, exec_lo, s16
	s_cbranch_vccnz .LBB14_1355
; %bb.1346:
	v_cmp_lt_i64_e64 s0, s[8:9], 1
	v_mov_b32_e32 v4, 0
	v_mov_b32_e32 v5, 0x3ff00000
	s_delay_alu instid0(VALU_DEP_3)
	s_and_b32 vcc_lo, exec_lo, s0
	s_cbranch_vccnz .LBB14_1355
; %bb.1347:
	s_cmp_lg_u64 s[8:9], 1
	s_cbranch_scc0 .LBB14_1352
; %bb.1348:
	v_cmp_lt_u64_e64 s0, 0x200, s[8:9]
	v_mov_b32_e32 v4, 0
	v_mov_b32_e32 v5, 0x7ff80000
	s_delay_alu instid0(VALU_DEP_3)
	s_and_b32 vcc_lo, exec_lo, s0
	s_cbranch_vccnz .LBB14_1351
; %bb.1349:
	s_waitcnt vmcnt(0)
	v_add_f64 v[2:3], v[6:7], v[6:7]
	v_mov_b32_e32 v8, 0
	v_mov_b32_e32 v9, 0x3ff00000
	s_lshl_b64 s[0:1], s[8:9], 1
	s_mov_b64 s[10:11], 2
	s_delay_alu instid0(VALU_DEP_3)
	v_dual_mov_b32 v5, v3 :: v_dual_mov_b32 v4, v2
	.p2align	6
.LBB14_1350:                            ; =>This Inner Loop Header: Depth=1
	v_cvt_f64_u32_e32 v[15:16], s11
	v_cvt_f64_u32_e32 v[17:18], s10
	s_add_u32 s10, s10, 2
	s_addc_u32 s11, s11, 0
	s_delay_alu instid0(SALU_CYCLE_1) | instskip(NEXT) | instid1(VALU_DEP_1)
	v_cmp_lt_u64_e64 s16, s[10:11], s[0:1]
	s_and_b32 vcc_lo, exec_lo, s16
	s_delay_alu instid0(VALU_DEP_3) | instskip(NEXT) | instid1(VALU_DEP_1)
	v_ldexp_f64 v[15:16], v[15:16], 32
	v_add_f64 v[15:16], v[15:16], v[17:18]
	s_delay_alu instid0(VALU_DEP_1) | instskip(SKIP_1) | instid1(VALU_DEP_1)
	v_mul_f64 v[8:9], v[8:9], v[15:16]
	v_dual_mov_b32 v16, v5 :: v_dual_mov_b32 v15, v4
	v_fma_f64 v[4:5], v[2:3], v[15:16], -v[8:9]
	v_dual_mov_b32 v8, v15 :: v_dual_mov_b32 v9, v16
	s_cbranch_vccnz .LBB14_1350
.LBB14_1351:
	s_mov_b32 s0, 0
	s_branch .LBB14_1353
.LBB14_1352:
	s_mov_b32 s0, -1
                                        ; implicit-def: $vgpr4_vgpr5
.LBB14_1353:
	s_delay_alu instid0(SALU_CYCLE_1)
	s_and_not1_b32 vcc_lo, exec_lo, s0
	s_cbranch_vccnz .LBB14_1355
; %bb.1354:
	s_waitcnt vmcnt(0)
	v_add_f64 v[4:5], v[6:7], v[6:7]
.LBB14_1355:
	v_add_nc_u32_e32 v15, s3, v10
	v_cmp_gt_i16_e32 vcc_lo, 11, v12
	s_delay_alu instid0(VALU_DEP_2) | instskip(SKIP_1) | instid1(VALU_DEP_1)
	v_ashrrev_i32_e32 v3, 31, v15
	v_add_co_u32 v2, s0, s6, v15
	v_add_co_ci_u32_e64 v3, s0, s7, v3, s0
	s_cbranch_vccnz .LBB14_1362
; %bb.1356:
	v_cmp_lt_i16_e32 vcc_lo, 25, v12
	s_mov_b32 s11, 0
	s_cbranch_vccz .LBB14_1368
; %bb.1357:
	v_cmp_lt_i16_e32 vcc_lo, 28, v12
	s_cbranch_vccz .LBB14_1370
; %bb.1358:
	v_cmp_lt_i16_e32 vcc_lo, 43, v12
	;; [unrolled: 3-line block ×3, first 2 shown]
	s_cbranch_vccz .LBB14_1376
; %bb.1360:
	v_cmp_eq_u16_e32 vcc_lo, 46, v12
	s_mov_b32 s1, 0
	s_cbranch_vccz .LBB14_1419
; %bb.1361:
	global_load_b32 v6, v[2:3], off
	s_mov_b32 s10, 0
	s_mov_b32 s0, -1
	s_waitcnt vmcnt(0)
	v_lshlrev_b32_e32 v6, 16, v6
	s_delay_alu instid0(VALU_DEP_1)
	v_cvt_f64_f32_e32 v[6:7], v6
	s_branch .LBB14_1421
.LBB14_1362:
	s_mov_b32 s0, 0
                                        ; implicit-def: $vgpr6_vgpr7
	s_cbranch_execz .LBB14_1487
; %bb.1363:
	v_cmp_gt_i16_e32 vcc_lo, 5, v12
	s_cbranch_vccnz .LBB14_1369
; %bb.1364:
	v_cmp_gt_i16_e32 vcc_lo, 8, v12
	s_cbranch_vccnz .LBB14_1371
	;; [unrolled: 3-line block ×3, first 2 shown]
; %bb.1366:
	v_cmp_lt_i16_e32 vcc_lo, 9, v12
	s_cbranch_vccz .LBB14_1377
; %bb.1367:
	global_load_b64 v[6:7], v[2:3], off
	s_mov_b32 s0, 0
	s_branch .LBB14_1378
.LBB14_1368:
	s_mov_b32 s1, -1
	s_mov_b32 s0, 0
	s_mov_b32 s10, 0
                                        ; implicit-def: $vgpr6_vgpr7
	s_branch .LBB14_1452
.LBB14_1369:
	s_mov_b32 s0, -1
                                        ; implicit-def: $vgpr6_vgpr7
	s_branch .LBB14_1396
.LBB14_1370:
	s_mov_b32 s1, -1
	s_mov_b32 s0, 0
	s_mov_b32 s10, 0
                                        ; implicit-def: $vgpr6_vgpr7
	s_branch .LBB14_1431
.LBB14_1371:
	s_mov_b32 s0, -1
                                        ; implicit-def: $vgpr6_vgpr7
	s_branch .LBB14_1384
.LBB14_1372:
	s_mov_b32 s1, -1
	s_mov_b32 s0, 0
	s_mov_b32 s10, 0
                                        ; implicit-def: $vgpr6_vgpr7
	s_branch .LBB14_1426
.LBB14_1373:
	s_mov_b32 s0, -1
                                        ; implicit-def: $vgpr6_vgpr7
	s_branch .LBB14_1381
.LBB14_1374:
	s_cbranch_execnz .LBB14_1417
; %bb.1375:
	s_or_b32 s15, s15, exec_lo
                                        ; implicit-def: $vgpr6_vgpr7
	s_cbranch_execz .LBB14_1342
	s_branch .LBB14_1343
.LBB14_1376:
	s_mov_b32 s1, -1
	s_mov_b32 s0, 0
	s_mov_b32 s10, 0
	s_branch .LBB14_1420
.LBB14_1377:
	s_mov_b32 s0, -1
                                        ; implicit-def: $vgpr6_vgpr7
.LBB14_1378:
	s_delay_alu instid0(SALU_CYCLE_1)
	s_and_not1_b32 vcc_lo, exec_lo, s0
	s_cbranch_vccnz .LBB14_1380
; %bb.1379:
	global_load_b32 v6, v[2:3], off
	s_waitcnt vmcnt(0)
	v_cvt_f64_f32_e32 v[6:7], v6
.LBB14_1380:
	s_mov_b32 s0, 0
.LBB14_1381:
	s_delay_alu instid0(SALU_CYCLE_1)
	s_and_not1_b32 vcc_lo, exec_lo, s0
	s_cbranch_vccnz .LBB14_1383
; %bb.1382:
	global_load_b32 v6, v[2:3], off
	s_waitcnt vmcnt(0)
	v_cvt_f32_f16_e32 v6, v6
	s_delay_alu instid0(VALU_DEP_1)
	v_cvt_f64_f32_e32 v[6:7], v6
.LBB14_1383:
	s_mov_b32 s0, 0
.LBB14_1384:
	s_delay_alu instid0(SALU_CYCLE_1)
	s_and_not1_b32 vcc_lo, exec_lo, s0
	s_cbranch_vccnz .LBB14_1395
; %bb.1385:
	v_cmp_gt_i16_e32 vcc_lo, 6, v12
	s_cbranch_vccnz .LBB14_1388
; %bb.1386:
	v_cmp_lt_i16_e32 vcc_lo, 6, v12
	s_cbranch_vccz .LBB14_1389
; %bb.1387:
	global_load_b64 v[6:7], v[2:3], off
	s_mov_b32 s0, 0
	s_branch .LBB14_1390
.LBB14_1388:
	s_mov_b32 s0, -1
                                        ; implicit-def: $vgpr6_vgpr7
	s_branch .LBB14_1393
.LBB14_1389:
	s_mov_b32 s0, -1
                                        ; implicit-def: $vgpr6_vgpr7
.LBB14_1390:
	s_delay_alu instid0(SALU_CYCLE_1)
	s_and_not1_b32 vcc_lo, exec_lo, s0
	s_cbranch_vccnz .LBB14_1392
; %bb.1391:
	global_load_b32 v6, v[2:3], off
	s_waitcnt vmcnt(0)
	v_cvt_f64_f32_e32 v[6:7], v6
.LBB14_1392:
	s_mov_b32 s0, 0
.LBB14_1393:
	s_delay_alu instid0(SALU_CYCLE_1)
	s_and_not1_b32 vcc_lo, exec_lo, s0
	s_cbranch_vccnz .LBB14_1395
; %bb.1394:
	global_load_u16 v6, v[2:3], off
	s_waitcnt vmcnt(0)
	v_cvt_f32_f16_e32 v6, v6
	s_delay_alu instid0(VALU_DEP_1)
	v_cvt_f64_f32_e32 v[6:7], v6
.LBB14_1395:
	s_mov_b32 s0, 0
.LBB14_1396:
	s_delay_alu instid0(SALU_CYCLE_1)
	s_and_not1_b32 vcc_lo, exec_lo, s0
	s_cbranch_vccnz .LBB14_1416
; %bb.1397:
	v_cmp_gt_i16_e32 vcc_lo, 2, v12
	s_cbranch_vccnz .LBB14_1401
; %bb.1398:
	v_cmp_gt_i16_e32 vcc_lo, 3, v12
	s_cbranch_vccnz .LBB14_1402
; %bb.1399:
	v_cmp_lt_i16_e32 vcc_lo, 3, v12
	s_cbranch_vccz .LBB14_1403
; %bb.1400:
	global_load_b64 v[6:7], v[2:3], off
	s_mov_b32 s0, 0
	s_waitcnt vmcnt(0)
	v_cvt_f64_i32_e32 v[7:8], v7
	v_cvt_f64_u32_e32 v[9:10], v6
	s_delay_alu instid0(VALU_DEP_2) | instskip(NEXT) | instid1(VALU_DEP_1)
	v_ldexp_f64 v[7:8], v[7:8], 32
	v_add_f64 v[6:7], v[7:8], v[9:10]
	s_branch .LBB14_1404
.LBB14_1401:
	s_mov_b32 s0, -1
                                        ; implicit-def: $vgpr6_vgpr7
	s_branch .LBB14_1410
.LBB14_1402:
	s_mov_b32 s0, -1
                                        ; implicit-def: $vgpr6_vgpr7
	s_branch .LBB14_1407
.LBB14_1403:
	s_mov_b32 s0, -1
                                        ; implicit-def: $vgpr6_vgpr7
.LBB14_1404:
	s_delay_alu instid0(SALU_CYCLE_1)
	s_and_not1_b32 vcc_lo, exec_lo, s0
	s_cbranch_vccnz .LBB14_1406
; %bb.1405:
	global_load_b32 v6, v[2:3], off
	s_waitcnt vmcnt(0)
	v_cvt_f64_i32_e32 v[6:7], v6
.LBB14_1406:
	s_mov_b32 s0, 0
.LBB14_1407:
	s_delay_alu instid0(SALU_CYCLE_1)
	s_and_not1_b32 vcc_lo, exec_lo, s0
	s_cbranch_vccnz .LBB14_1409
; %bb.1408:
	global_load_i16 v6, v[2:3], off
	s_waitcnt vmcnt(0)
	v_cvt_f64_i32_e32 v[6:7], v6
.LBB14_1409:
	s_mov_b32 s0, 0
.LBB14_1410:
	s_delay_alu instid0(SALU_CYCLE_1)
	s_and_not1_b32 vcc_lo, exec_lo, s0
	s_cbranch_vccnz .LBB14_1416
; %bb.1411:
	v_cmp_lt_i16_e32 vcc_lo, 0, v12
	s_mov_b32 s0, 0
	s_cbranch_vccz .LBB14_1413
; %bb.1412:
	global_load_i8 v6, v[2:3], off
	s_waitcnt vmcnt(0)
	v_cvt_f64_i32_e32 v[6:7], v6
	s_branch .LBB14_1414
.LBB14_1413:
	s_mov_b32 s0, -1
                                        ; implicit-def: $vgpr6_vgpr7
.LBB14_1414:
	s_delay_alu instid0(SALU_CYCLE_1)
	s_and_not1_b32 vcc_lo, exec_lo, s0
	s_cbranch_vccnz .LBB14_1416
; %bb.1415:
	global_load_u8 v2, v[2:3], off
	s_waitcnt vmcnt(0)
	v_cvt_f64_u32_e32 v[6:7], v2
.LBB14_1416:
	s_branch .LBB14_1488
.LBB14_1417:
	s_trap 2
	s_sendmsg_rtn_b32 s0, sendmsg(MSG_RTN_GET_DOORBELL)
	s_mov_b32 ttmp2, m0
	s_waitcnt lgkmcnt(0)
	s_and_b32 s0, s0, 0x3ff
	s_delay_alu instid0(SALU_CYCLE_1) | instskip(NEXT) | instid1(SALU_CYCLE_1)
	s_bitset1_b32 s0, 10
	s_mov_b32 m0, s0
	s_sendmsg sendmsg(MSG_INTERRUPT)
	s_mov_b32 m0, ttmp2
.LBB14_1418:                            ; =>This Inner Loop Header: Depth=1
	s_sethalt 5
	s_branch .LBB14_1418
.LBB14_1419:
	s_mov_b32 s10, -1
	s_mov_b32 s0, 0
.LBB14_1420:
                                        ; implicit-def: $vgpr6_vgpr7
.LBB14_1421:
	s_and_b32 vcc_lo, exec_lo, s1
	s_cbranch_vccz .LBB14_1425
; %bb.1422:
	v_cmp_eq_u16_e32 vcc_lo, 44, v12
	s_cbranch_vccz .LBB14_1424
; %bb.1423:
	global_load_u8 v8, v[2:3], off
	s_mov_b32 s10, 0
	s_mov_b32 s0, -1
	s_waitcnt vmcnt(0)
	v_cmp_ne_u32_e32 vcc_lo, 0xff, v8
	v_lshlrev_b32_e32 v6, 23, v8
	s_delay_alu instid0(VALU_DEP_1) | instskip(NEXT) | instid1(VALU_DEP_1)
	v_cvt_f64_f32_e32 v[6:7], v6
	v_cndmask_b32_e32 v7, 0x7ff80000, v7, vcc_lo
	s_delay_alu instid0(VALU_DEP_2) | instskip(SKIP_1) | instid1(VALU_DEP_3)
	v_cndmask_b32_e32 v6, 0x20000000, v6, vcc_lo
	v_cmp_ne_u32_e32 vcc_lo, 0, v8
	v_cndmask_b32_e32 v7, 0x38000000, v7, vcc_lo
	s_delay_alu instid0(VALU_DEP_3)
	v_cndmask_b32_e32 v6, 0, v6, vcc_lo
	s_branch .LBB14_1425
.LBB14_1424:
	s_mov_b32 s10, -1
                                        ; implicit-def: $vgpr6_vgpr7
.LBB14_1425:
	s_mov_b32 s1, 0
.LBB14_1426:
	s_delay_alu instid0(SALU_CYCLE_1)
	s_and_b32 vcc_lo, exec_lo, s1
	s_cbranch_vccz .LBB14_1430
; %bb.1427:
	v_cmp_eq_u16_e32 vcc_lo, 29, v12
	s_cbranch_vccz .LBB14_1429
; %bb.1428:
	global_load_b64 v[6:7], v[2:3], off
	s_mov_b32 s10, 0
	s_mov_b32 s0, -1
	s_mov_b32 s1, 0
	s_waitcnt vmcnt(0)
	v_cvt_f64_u32_e32 v[7:8], v7
	v_cvt_f64_u32_e32 v[9:10], v6
	s_delay_alu instid0(VALU_DEP_2) | instskip(NEXT) | instid1(VALU_DEP_1)
	v_ldexp_f64 v[7:8], v[7:8], 32
	v_add_f64 v[6:7], v[7:8], v[9:10]
	s_branch .LBB14_1431
.LBB14_1429:
	s_mov_b32 s10, -1
                                        ; implicit-def: $vgpr6_vgpr7
.LBB14_1430:
	s_mov_b32 s1, 0
.LBB14_1431:
	s_delay_alu instid0(SALU_CYCLE_1)
	s_and_b32 vcc_lo, exec_lo, s1
	s_cbranch_vccz .LBB14_1451
; %bb.1432:
	v_cmp_gt_i16_e32 vcc_lo, 27, v12
	s_cbranch_vccnz .LBB14_1435
; %bb.1433:
	v_cmp_lt_i16_e32 vcc_lo, 27, v12
	s_cbranch_vccz .LBB14_1436
; %bb.1434:
	global_load_b32 v6, v[2:3], off
	s_mov_b32 s0, 0
	s_waitcnt vmcnt(0)
	v_cvt_f64_u32_e32 v[6:7], v6
	s_branch .LBB14_1437
.LBB14_1435:
	s_mov_b32 s0, -1
                                        ; implicit-def: $vgpr6_vgpr7
	s_branch .LBB14_1440
.LBB14_1436:
	s_mov_b32 s0, -1
                                        ; implicit-def: $vgpr6_vgpr7
.LBB14_1437:
	s_delay_alu instid0(SALU_CYCLE_1)
	s_and_not1_b32 vcc_lo, exec_lo, s0
	s_cbranch_vccnz .LBB14_1439
; %bb.1438:
	global_load_u16 v6, v[2:3], off
	s_waitcnt vmcnt(0)
	v_cvt_f64_u32_e32 v[6:7], v6
.LBB14_1439:
	s_mov_b32 s0, 0
.LBB14_1440:
	s_delay_alu instid0(SALU_CYCLE_1)
	s_and_not1_b32 vcc_lo, exec_lo, s0
	s_cbranch_vccnz .LBB14_1450
; %bb.1441:
	global_load_u8 v8, v[2:3], off
	s_mov_b32 s16, 0
	s_mov_b32 s17, exec_lo
                                        ; implicit-def: $sgpr0_sgpr1
	s_waitcnt vmcnt(0)
	v_cmpx_lt_i16_e32 0x7f, v8
	s_xor_b32 s17, exec_lo, s17
	s_cbranch_execz .LBB14_1445
; %bb.1442:
	s_mov_b32 s18, -1
	s_mov_b32 s16, exec_lo
                                        ; implicit-def: $sgpr0_sgpr1
	v_cmpx_eq_u16_e32 0x80, v8
; %bb.1443:
	s_mov_b32 s1, 0x7ff80000
	s_brev_b32 s0, 4
	s_xor_b32 s18, exec_lo, -1
; %bb.1444:
	s_or_b32 exec_lo, exec_lo, s16
	s_delay_alu instid0(SALU_CYCLE_1)
	s_and_b32 s16, s18, exec_lo
.LBB14_1445:
	s_or_saveexec_b32 s17, s17
	v_dual_mov_b32 v7, s1 :: v_dual_mov_b32 v6, s0
	s_xor_b32 exec_lo, exec_lo, s17
; %bb.1446:
	v_cmp_ne_u16_e32 vcc_lo, 0, v8
	v_mov_b32_e32 v6, 0
	v_mov_b32_e32 v7, 0
	s_and_not1_b32 s0, s16, exec_lo
	s_and_b32 s1, vcc_lo, exec_lo
	s_delay_alu instid0(SALU_CYCLE_1)
	s_or_b32 s16, s0, s1
; %bb.1447:
	s_or_b32 exec_lo, exec_lo, s17
	s_and_saveexec_b32 s0, s16
	s_cbranch_execz .LBB14_1449
; %bb.1448:
	v_and_b32_e32 v6, 0xffff, v8
	v_lshlrev_b32_e32 v8, 24, v8
	s_delay_alu instid0(VALU_DEP_2) | instskip(NEXT) | instid1(VALU_DEP_2)
	v_and_b32_e32 v7, 7, v6
	v_and_b32_e32 v8, 0x80000000, v8
	s_delay_alu instid0(VALU_DEP_2) | instskip(NEXT) | instid1(VALU_DEP_1)
	v_clz_i32_u32_e32 v9, v7
	v_min_u32_e32 v9, 32, v9
	s_delay_alu instid0(VALU_DEP_1) | instskip(SKIP_1) | instid1(VALU_DEP_2)
	v_subrev_nc_u32_e32 v10, 28, v9
	v_sub_nc_u32_e32 v9, 29, v9
	v_lshlrev_b32_e32 v10, v10, v6
	v_bfe_u32 v6, v6, 3, 4
	s_delay_alu instid0(VALU_DEP_2) | instskip(NEXT) | instid1(VALU_DEP_2)
	v_and_b32_e32 v10, 7, v10
	v_cmp_eq_u32_e32 vcc_lo, 0, v6
	s_delay_alu instid0(VALU_DEP_2) | instskip(NEXT) | instid1(VALU_DEP_1)
	v_dual_cndmask_b32 v6, v6, v9 :: v_dual_cndmask_b32 v7, v7, v10
	v_lshl_add_u32 v6, v6, 23, 0x3b800000
	s_delay_alu instid0(VALU_DEP_2) | instskip(NEXT) | instid1(VALU_DEP_1)
	v_lshlrev_b32_e32 v7, 20, v7
	v_or3_b32 v6, v8, v6, v7
	s_delay_alu instid0(VALU_DEP_1)
	v_cvt_f64_f32_e32 v[6:7], v6
.LBB14_1449:
	s_or_b32 exec_lo, exec_lo, s0
.LBB14_1450:
	s_mov_b32 s0, -1
.LBB14_1451:
	s_mov_b32 s1, 0
.LBB14_1452:
	s_delay_alu instid0(SALU_CYCLE_1)
	s_and_b32 vcc_lo, exec_lo, s1
	s_cbranch_vccz .LBB14_1483
; %bb.1453:
	v_cmp_lt_i16_e32 vcc_lo, 22, v12
	s_cbranch_vccz .LBB14_1465
; %bb.1454:
	v_cmp_gt_i16_e32 vcc_lo, 24, v12
	s_cbranch_vccnz .LBB14_1466
; %bb.1455:
	v_cmp_lt_i16_e32 vcc_lo, 24, v12
	s_cbranch_vccz .LBB14_1467
; %bb.1456:
	global_load_u8 v8, v[2:3], off
	s_mov_b32 s16, exec_lo
                                        ; implicit-def: $sgpr0_sgpr1
	s_waitcnt vmcnt(0)
	v_cmpx_lt_i16_e32 0x7f, v8
	s_xor_b32 s16, exec_lo, s16
	s_cbranch_execz .LBB14_1460
; %bb.1457:
	s_mov_b32 s17, -1
	s_mov_b32 s11, exec_lo
                                        ; implicit-def: $sgpr0_sgpr1
	v_cmpx_eq_u16_e32 0x80, v8
; %bb.1458:
	s_mov_b32 s1, 0x7ff80000
	s_brev_b32 s0, 4
	s_xor_b32 s17, exec_lo, -1
; %bb.1459:
	s_or_b32 exec_lo, exec_lo, s11
	s_delay_alu instid0(SALU_CYCLE_1)
	s_and_b32 s11, s17, exec_lo
.LBB14_1460:
	s_or_saveexec_b32 s16, s16
	v_dual_mov_b32 v7, s1 :: v_dual_mov_b32 v6, s0
	s_xor_b32 exec_lo, exec_lo, s16
; %bb.1461:
	v_cmp_ne_u16_e32 vcc_lo, 0, v8
	v_mov_b32_e32 v6, 0
	v_mov_b32_e32 v7, 0
	s_and_not1_b32 s0, s11, exec_lo
	s_and_b32 s1, vcc_lo, exec_lo
	s_delay_alu instid0(SALU_CYCLE_1)
	s_or_b32 s11, s0, s1
; %bb.1462:
	s_or_b32 exec_lo, exec_lo, s16
	s_and_saveexec_b32 s0, s11
	s_cbranch_execz .LBB14_1464
; %bb.1463:
	v_and_b32_e32 v6, 0xffff, v8
	v_lshlrev_b32_e32 v8, 24, v8
	s_delay_alu instid0(VALU_DEP_2) | instskip(NEXT) | instid1(VALU_DEP_2)
	v_and_b32_e32 v7, 3, v6
	v_and_b32_e32 v8, 0x80000000, v8
	s_delay_alu instid0(VALU_DEP_2) | instskip(NEXT) | instid1(VALU_DEP_1)
	v_clz_i32_u32_e32 v9, v7
	v_min_u32_e32 v9, 32, v9
	s_delay_alu instid0(VALU_DEP_1) | instskip(SKIP_1) | instid1(VALU_DEP_2)
	v_subrev_nc_u32_e32 v10, 29, v9
	v_sub_nc_u32_e32 v9, 30, v9
	v_lshlrev_b32_e32 v10, v10, v6
	v_bfe_u32 v6, v6, 2, 5
	s_delay_alu instid0(VALU_DEP_2) | instskip(NEXT) | instid1(VALU_DEP_2)
	v_and_b32_e32 v10, 3, v10
	v_cmp_eq_u32_e32 vcc_lo, 0, v6
	s_delay_alu instid0(VALU_DEP_2) | instskip(NEXT) | instid1(VALU_DEP_1)
	v_dual_cndmask_b32 v6, v6, v9 :: v_dual_cndmask_b32 v7, v7, v10
	v_lshl_add_u32 v6, v6, 23, 0x37800000
	s_delay_alu instid0(VALU_DEP_2) | instskip(NEXT) | instid1(VALU_DEP_1)
	v_lshlrev_b32_e32 v7, 21, v7
	v_or3_b32 v6, v8, v6, v7
	s_delay_alu instid0(VALU_DEP_1)
	v_cvt_f64_f32_e32 v[6:7], v6
.LBB14_1464:
	s_or_b32 exec_lo, exec_lo, s0
	s_mov_b32 s0, 0
	s_branch .LBB14_1468
.LBB14_1465:
	s_mov_b32 s1, -1
                                        ; implicit-def: $vgpr6_vgpr7
	s_branch .LBB14_1474
.LBB14_1466:
	s_mov_b32 s0, -1
                                        ; implicit-def: $vgpr6_vgpr7
	s_branch .LBB14_1471
.LBB14_1467:
	s_mov_b32 s0, -1
                                        ; implicit-def: $vgpr6_vgpr7
.LBB14_1468:
	s_delay_alu instid0(SALU_CYCLE_1)
	s_and_b32 vcc_lo, exec_lo, s0
	s_cbranch_vccz .LBB14_1470
; %bb.1469:
	global_load_u8 v6, v[2:3], off
	s_waitcnt vmcnt(0)
	v_lshlrev_b32_e32 v6, 24, v6
	s_delay_alu instid0(VALU_DEP_1) | instskip(NEXT) | instid1(VALU_DEP_1)
	v_and_b32_e32 v7, 0x7f000000, v6
	v_clz_i32_u32_e32 v8, v7
	v_add_nc_u32_e32 v10, 0x1000000, v7
	v_cmp_ne_u32_e32 vcc_lo, 0, v7
	s_delay_alu instid0(VALU_DEP_3) | instskip(NEXT) | instid1(VALU_DEP_1)
	v_min_u32_e32 v8, 32, v8
	v_sub_nc_u32_e64 v8, v8, 4 clamp
	s_delay_alu instid0(VALU_DEP_1) | instskip(SKIP_1) | instid1(VALU_DEP_2)
	v_lshlrev_b32_e32 v9, v8, v7
	v_lshlrev_b32_e32 v8, 23, v8
	v_lshrrev_b32_e32 v9, 4, v9
	s_delay_alu instid0(VALU_DEP_1) | instskip(SKIP_1) | instid1(VALU_DEP_2)
	v_sub_nc_u32_e32 v8, v9, v8
	v_ashrrev_i32_e32 v9, 8, v10
	v_add_nc_u32_e32 v8, 0x3c000000, v8
	s_delay_alu instid0(VALU_DEP_1) | instskip(NEXT) | instid1(VALU_DEP_1)
	v_and_or_b32 v8, 0x7f800000, v9, v8
	v_cndmask_b32_e32 v7, 0, v8, vcc_lo
	s_delay_alu instid0(VALU_DEP_1) | instskip(NEXT) | instid1(VALU_DEP_1)
	v_and_or_b32 v6, 0x80000000, v6, v7
	v_cvt_f64_f32_e32 v[6:7], v6
.LBB14_1470:
	s_mov_b32 s0, 0
.LBB14_1471:
	s_delay_alu instid0(SALU_CYCLE_1)
	s_and_not1_b32 vcc_lo, exec_lo, s0
	s_cbranch_vccnz .LBB14_1473
; %bb.1472:
	global_load_u8 v6, v[2:3], off
	s_waitcnt vmcnt(0)
	v_lshlrev_b32_e32 v7, 25, v6
	v_lshlrev_b16 v6, 8, v6
	s_delay_alu instid0(VALU_DEP_2) | instskip(NEXT) | instid1(VALU_DEP_2)
	v_lshrrev_b32_e32 v8, 4, v7
	v_and_or_b32 v9, 0x7f00, v6, 0.5
	v_bfe_i32 v6, v6, 0, 16
	s_delay_alu instid0(VALU_DEP_3) | instskip(NEXT) | instid1(VALU_DEP_1)
	v_or_b32_e32 v8, 0x70000000, v8
	v_dual_add_f32 v9, -0.5, v9 :: v_dual_mul_f32 v8, 0x7800000, v8
	v_cmp_gt_u32_e32 vcc_lo, 0x8000000, v7
	s_delay_alu instid0(VALU_DEP_2) | instskip(NEXT) | instid1(VALU_DEP_1)
	v_cndmask_b32_e32 v7, v8, v9, vcc_lo
	v_and_or_b32 v6, 0x80000000, v6, v7
	s_delay_alu instid0(VALU_DEP_1)
	v_cvt_f64_f32_e32 v[6:7], v6
.LBB14_1473:
	s_mov_b32 s1, 0
	s_mov_b32 s0, -1
.LBB14_1474:
	s_and_not1_b32 vcc_lo, exec_lo, s1
	s_mov_b32 s11, 0
	s_cbranch_vccnz .LBB14_1483
; %bb.1475:
	v_cmp_lt_i16_e32 vcc_lo, 14, v12
	s_cbranch_vccz .LBB14_1478
; %bb.1476:
	v_cmp_eq_u16_e32 vcc_lo, 15, v12
	s_cbranch_vccz .LBB14_1479
; %bb.1477:
	global_load_u16 v6, v[2:3], off
	s_mov_b32 s10, 0
	s_mov_b32 s0, -1
	s_waitcnt vmcnt(0)
	v_lshlrev_b32_e32 v6, 16, v6
	s_delay_alu instid0(VALU_DEP_1)
	v_cvt_f64_f32_e32 v[6:7], v6
	s_branch .LBB14_1480
.LBB14_1478:
	s_mov_b32 s1, -1
                                        ; implicit-def: $vgpr6_vgpr7
	s_branch .LBB14_1481
.LBB14_1479:
	s_mov_b32 s10, -1
                                        ; implicit-def: $vgpr6_vgpr7
.LBB14_1480:
	s_mov_b32 s1, 0
.LBB14_1481:
	s_delay_alu instid0(SALU_CYCLE_1)
	s_and_b32 vcc_lo, exec_lo, s1
	s_cbranch_vccz .LBB14_1483
; %bb.1482:
	v_cmp_ne_u16_e64 s10, 11, v12
	s_mov_b32 s11, -1
                                        ; implicit-def: $vgpr6_vgpr7
.LBB14_1483:
	s_delay_alu instid0(VALU_DEP_1)
	s_and_b32 vcc_lo, exec_lo, s10
	s_cbranch_vccnz .LBB14_1509
; %bb.1484:
	s_and_not1_b32 vcc_lo, exec_lo, s11
	s_cbranch_vccnz .LBB14_1486
.LBB14_1485:
	global_load_u8 v6, v[2:3], off
	s_mov_b32 s0, -1
	s_waitcnt vmcnt(0)
	v_cmp_ne_u16_e32 vcc_lo, 0, v6
	v_mov_b32_e32 v6, 0
	v_cndmask_b32_e64 v7, 0, 0x3ff00000, vcc_lo
.LBB14_1486:
.LBB14_1487:
	s_and_not1_b32 vcc_lo, exec_lo, s0
	s_cbranch_vccnz .LBB14_1639
.LBB14_1488:
	v_cmp_ne_u32_e32 vcc_lo, 1, v13
	v_mov_b32_e32 v10, 0
	v_mov_b32_e32 v11, 0
	s_cbranch_vccnz .LBB14_1498
; %bb.1489:
	v_cmp_lt_i64_e64 s0, s[8:9], 1
	v_mov_b32_e32 v10, 0
	v_mov_b32_e32 v11, 0x3ff00000
	s_delay_alu instid0(VALU_DEP_3)
	s_and_b32 vcc_lo, exec_lo, s0
	s_cbranch_vccnz .LBB14_1498
; %bb.1490:
	s_cmp_lg_u64 s[8:9], 1
	s_cbranch_scc0 .LBB14_1495
; %bb.1491:
	v_cmp_lt_u64_e64 s0, 0x200, s[8:9]
	v_mov_b32_e32 v10, 0
	v_mov_b32_e32 v11, 0x7ff80000
	s_delay_alu instid0(VALU_DEP_3)
	s_and_b32 vcc_lo, exec_lo, s0
	s_cbranch_vccnz .LBB14_1494
; %bb.1492:
	s_waitcnt vmcnt(0)
	v_add_f64 v[2:3], v[6:7], v[6:7]
	v_mov_b32_e32 v8, 0
	v_mov_b32_e32 v9, 0x3ff00000
	s_lshl_b64 s[0:1], s[8:9], 1
	s_mov_b64 s[10:11], 2
	s_delay_alu instid0(VALU_DEP_3)
	v_dual_mov_b32 v11, v3 :: v_dual_mov_b32 v10, v2
.LBB14_1493:                            ; =>This Inner Loop Header: Depth=1
	v_cvt_f64_u32_e32 v[16:17], s11
	v_cvt_f64_u32_e32 v[18:19], s10
	s_add_u32 s10, s10, 2
	s_addc_u32 s11, s11, 0
	s_delay_alu instid0(SALU_CYCLE_1) | instskip(NEXT) | instid1(VALU_DEP_1)
	v_cmp_lt_u64_e64 s16, s[10:11], s[0:1]
	s_and_b32 vcc_lo, exec_lo, s16
	s_delay_alu instid0(VALU_DEP_3) | instskip(NEXT) | instid1(VALU_DEP_1)
	v_ldexp_f64 v[16:17], v[16:17], 32
	v_add_f64 v[16:17], v[16:17], v[18:19]
	s_delay_alu instid0(VALU_DEP_1) | instskip(SKIP_1) | instid1(VALU_DEP_1)
	v_mul_f64 v[8:9], v[8:9], v[16:17]
	v_dual_mov_b32 v17, v11 :: v_dual_mov_b32 v16, v10
	v_fma_f64 v[10:11], v[2:3], v[16:17], -v[8:9]
	v_dual_mov_b32 v8, v16 :: v_dual_mov_b32 v9, v17
	s_cbranch_vccnz .LBB14_1493
.LBB14_1494:
	s_mov_b32 s0, 0
	s_branch .LBB14_1496
.LBB14_1495:
	s_mov_b32 s0, -1
                                        ; implicit-def: $vgpr10_vgpr11
.LBB14_1496:
	s_delay_alu instid0(SALU_CYCLE_1)
	s_and_not1_b32 vcc_lo, exec_lo, s0
	s_cbranch_vccnz .LBB14_1498
; %bb.1497:
	s_waitcnt vmcnt(0)
	v_add_f64 v[10:11], v[6:7], v[6:7]
.LBB14_1498:
	v_add_nc_u32_e32 v2, s3, v15
	v_cmp_gt_i16_e32 vcc_lo, 11, v12
	s_delay_alu instid0(VALU_DEP_2) | instskip(SKIP_1) | instid1(VALU_DEP_1)
	v_ashrrev_i32_e32 v3, 31, v2
	v_add_co_u32 v2, s0, s6, v2
	v_add_co_ci_u32_e64 v3, s0, s7, v3, s0
	s_cbranch_vccnz .LBB14_1505
; %bb.1499:
	v_cmp_lt_i16_e32 vcc_lo, 25, v12
	s_mov_b32 s6, 0
	s_cbranch_vccz .LBB14_1506
; %bb.1500:
	v_cmp_lt_i16_e32 vcc_lo, 28, v12
	s_cbranch_vccz .LBB14_1507
; %bb.1501:
	v_cmp_lt_i16_e32 vcc_lo, 43, v12
	;; [unrolled: 3-line block ×3, first 2 shown]
	s_cbranch_vccz .LBB14_1511
; %bb.1503:
	v_cmp_eq_u16_e32 vcc_lo, 46, v12
	s_mov_b32 s1, 0
	s_cbranch_vccz .LBB14_1514
; %bb.1504:
	global_load_b32 v6, v[2:3], off
	s_mov_b32 s3, 0
	s_mov_b32 s0, -1
	s_waitcnt vmcnt(0)
	v_lshlrev_b32_e32 v6, 16, v6
	s_delay_alu instid0(VALU_DEP_1)
	v_cvt_f64_f32_e32 v[6:7], v6
	s_branch .LBB14_1516
.LBB14_1505:
	s_mov_b32 s1, -1
	s_mov_b32 s0, 0
                                        ; implicit-def: $vgpr6_vgpr7
	s_branch .LBB14_1582
.LBB14_1506:
	s_mov_b32 s1, -1
	s_mov_b32 s0, 0
	s_mov_b32 s3, 0
                                        ; implicit-def: $vgpr6_vgpr7
	s_branch .LBB14_1547
.LBB14_1507:
	s_mov_b32 s1, -1
	s_mov_b32 s0, 0
	s_mov_b32 s3, 0
                                        ; implicit-def: $vgpr6_vgpr7
	s_branch .LBB14_1526
.LBB14_1508:
	s_mov_b32 s1, -1
	s_mov_b32 s0, 0
	s_mov_b32 s3, 0
                                        ; implicit-def: $vgpr6_vgpr7
	s_branch .LBB14_1521
.LBB14_1509:
	s_cbranch_execnz .LBB14_1512
; %bb.1510:
	s_or_b32 s15, s15, exec_lo
                                        ; implicit-def: $vgpr6_vgpr7
	s_cbranch_execz .LBB14_1485
	s_branch .LBB14_1486
.LBB14_1511:
	s_mov_b32 s1, -1
	s_mov_b32 s0, 0
	s_mov_b32 s3, 0
	s_branch .LBB14_1515
.LBB14_1512:
	s_trap 2
	s_sendmsg_rtn_b32 s0, sendmsg(MSG_RTN_GET_DOORBELL)
	s_mov_b32 ttmp2, m0
	s_waitcnt lgkmcnt(0)
	s_and_b32 s0, s0, 0x3ff
	s_delay_alu instid0(SALU_CYCLE_1) | instskip(NEXT) | instid1(SALU_CYCLE_1)
	s_bitset1_b32 s0, 10
	s_mov_b32 m0, s0
	s_sendmsg sendmsg(MSG_INTERRUPT)
	s_mov_b32 m0, ttmp2
.LBB14_1513:                            ; =>This Inner Loop Header: Depth=1
	s_sethalt 5
	s_branch .LBB14_1513
.LBB14_1514:
	s_mov_b32 s3, -1
	s_mov_b32 s0, 0
.LBB14_1515:
                                        ; implicit-def: $vgpr6_vgpr7
.LBB14_1516:
	s_and_b32 vcc_lo, exec_lo, s1
	s_cbranch_vccz .LBB14_1520
; %bb.1517:
	v_cmp_eq_u16_e32 vcc_lo, 44, v12
	s_cbranch_vccz .LBB14_1519
; %bb.1518:
	global_load_u8 v8, v[2:3], off
	s_mov_b32 s3, 0
	s_mov_b32 s0, -1
	s_waitcnt vmcnt(0)
	v_cmp_ne_u32_e32 vcc_lo, 0xff, v8
	v_lshlrev_b32_e32 v6, 23, v8
	s_delay_alu instid0(VALU_DEP_1) | instskip(NEXT) | instid1(VALU_DEP_1)
	v_cvt_f64_f32_e32 v[6:7], v6
	v_cndmask_b32_e32 v7, 0x7ff80000, v7, vcc_lo
	s_delay_alu instid0(VALU_DEP_2) | instskip(SKIP_1) | instid1(VALU_DEP_3)
	v_cndmask_b32_e32 v6, 0x20000000, v6, vcc_lo
	v_cmp_ne_u32_e32 vcc_lo, 0, v8
	v_cndmask_b32_e32 v7, 0x38000000, v7, vcc_lo
	s_delay_alu instid0(VALU_DEP_3)
	v_cndmask_b32_e32 v6, 0, v6, vcc_lo
	s_branch .LBB14_1520
.LBB14_1519:
	s_mov_b32 s3, -1
                                        ; implicit-def: $vgpr6_vgpr7
.LBB14_1520:
	s_mov_b32 s1, 0
.LBB14_1521:
	s_delay_alu instid0(SALU_CYCLE_1)
	s_and_b32 vcc_lo, exec_lo, s1
	s_cbranch_vccz .LBB14_1525
; %bb.1522:
	v_cmp_eq_u16_e32 vcc_lo, 29, v12
	s_cbranch_vccz .LBB14_1524
; %bb.1523:
	global_load_b64 v[6:7], v[2:3], off
	s_mov_b32 s3, 0
	s_mov_b32 s0, -1
	s_mov_b32 s1, 0
	s_waitcnt vmcnt(0)
	v_cvt_f64_u32_e32 v[7:8], v7
	v_cvt_f64_u32_e32 v[15:16], v6
	s_delay_alu instid0(VALU_DEP_2) | instskip(NEXT) | instid1(VALU_DEP_1)
	v_ldexp_f64 v[7:8], v[7:8], 32
	v_add_f64 v[6:7], v[7:8], v[15:16]
	s_branch .LBB14_1526
.LBB14_1524:
	s_mov_b32 s3, -1
                                        ; implicit-def: $vgpr6_vgpr7
.LBB14_1525:
	s_mov_b32 s1, 0
.LBB14_1526:
	s_delay_alu instid0(SALU_CYCLE_1)
	s_and_b32 vcc_lo, exec_lo, s1
	s_cbranch_vccz .LBB14_1546
; %bb.1527:
	v_cmp_gt_i16_e32 vcc_lo, 27, v12
	s_cbranch_vccnz .LBB14_1530
; %bb.1528:
	v_cmp_lt_i16_e32 vcc_lo, 27, v12
	s_cbranch_vccz .LBB14_1531
; %bb.1529:
	global_load_b32 v6, v[2:3], off
	s_mov_b32 s0, 0
	s_waitcnt vmcnt(0)
	v_cvt_f64_u32_e32 v[6:7], v6
	s_branch .LBB14_1532
.LBB14_1530:
	s_mov_b32 s0, -1
                                        ; implicit-def: $vgpr6_vgpr7
	s_branch .LBB14_1535
.LBB14_1531:
	s_mov_b32 s0, -1
                                        ; implicit-def: $vgpr6_vgpr7
.LBB14_1532:
	s_delay_alu instid0(SALU_CYCLE_1)
	s_and_not1_b32 vcc_lo, exec_lo, s0
	s_cbranch_vccnz .LBB14_1534
; %bb.1533:
	global_load_u16 v6, v[2:3], off
	s_waitcnt vmcnt(0)
	v_cvt_f64_u32_e32 v[6:7], v6
.LBB14_1534:
	s_mov_b32 s0, 0
.LBB14_1535:
	s_delay_alu instid0(SALU_CYCLE_1)
	s_and_not1_b32 vcc_lo, exec_lo, s0
	s_cbranch_vccnz .LBB14_1545
; %bb.1536:
	global_load_u8 v8, v[2:3], off
	s_mov_b32 s7, 0
	s_mov_b32 s10, exec_lo
                                        ; implicit-def: $sgpr0_sgpr1
	s_waitcnt vmcnt(0)
	v_cmpx_lt_i16_e32 0x7f, v8
	s_xor_b32 s10, exec_lo, s10
	s_cbranch_execz .LBB14_1540
; %bb.1537:
	s_mov_b32 s11, -1
	s_mov_b32 s7, exec_lo
                                        ; implicit-def: $sgpr0_sgpr1
	v_cmpx_eq_u16_e32 0x80, v8
; %bb.1538:
	s_mov_b32 s1, 0x7ff80000
	s_brev_b32 s0, 4
	s_xor_b32 s11, exec_lo, -1
; %bb.1539:
	s_or_b32 exec_lo, exec_lo, s7
	s_delay_alu instid0(SALU_CYCLE_1)
	s_and_b32 s7, s11, exec_lo
.LBB14_1540:
	s_or_saveexec_b32 s10, s10
	v_dual_mov_b32 v7, s1 :: v_dual_mov_b32 v6, s0
	s_xor_b32 exec_lo, exec_lo, s10
; %bb.1541:
	v_cmp_ne_u16_e32 vcc_lo, 0, v8
	v_mov_b32_e32 v6, 0
	v_mov_b32_e32 v7, 0
	s_and_not1_b32 s0, s7, exec_lo
	s_and_b32 s1, vcc_lo, exec_lo
	s_delay_alu instid0(SALU_CYCLE_1)
	s_or_b32 s7, s0, s1
; %bb.1542:
	s_or_b32 exec_lo, exec_lo, s10
	s_and_saveexec_b32 s0, s7
	s_cbranch_execz .LBB14_1544
; %bb.1543:
	v_and_b32_e32 v6, 0xffff, v8
	v_lshlrev_b32_e32 v8, 24, v8
	s_delay_alu instid0(VALU_DEP_2) | instskip(NEXT) | instid1(VALU_DEP_2)
	v_and_b32_e32 v7, 7, v6
	v_and_b32_e32 v8, 0x80000000, v8
	s_delay_alu instid0(VALU_DEP_2) | instskip(NEXT) | instid1(VALU_DEP_1)
	v_clz_i32_u32_e32 v9, v7
	v_min_u32_e32 v9, 32, v9
	s_delay_alu instid0(VALU_DEP_1) | instskip(SKIP_1) | instid1(VALU_DEP_2)
	v_subrev_nc_u32_e32 v15, 28, v9
	v_sub_nc_u32_e32 v9, 29, v9
	v_lshlrev_b32_e32 v15, v15, v6
	v_bfe_u32 v6, v6, 3, 4
	s_delay_alu instid0(VALU_DEP_2) | instskip(NEXT) | instid1(VALU_DEP_2)
	v_and_b32_e32 v15, 7, v15
	v_cmp_eq_u32_e32 vcc_lo, 0, v6
	s_delay_alu instid0(VALU_DEP_2) | instskip(NEXT) | instid1(VALU_DEP_1)
	v_dual_cndmask_b32 v6, v6, v9 :: v_dual_cndmask_b32 v7, v7, v15
	v_lshl_add_u32 v6, v6, 23, 0x3b800000
	s_delay_alu instid0(VALU_DEP_2) | instskip(NEXT) | instid1(VALU_DEP_1)
	v_lshlrev_b32_e32 v7, 20, v7
	v_or3_b32 v6, v8, v6, v7
	s_delay_alu instid0(VALU_DEP_1)
	v_cvt_f64_f32_e32 v[6:7], v6
.LBB14_1544:
	s_or_b32 exec_lo, exec_lo, s0
.LBB14_1545:
	s_mov_b32 s0, -1
.LBB14_1546:
	s_mov_b32 s1, 0
.LBB14_1547:
	s_delay_alu instid0(SALU_CYCLE_1)
	s_and_b32 vcc_lo, exec_lo, s1
	s_cbranch_vccz .LBB14_1578
; %bb.1548:
	v_cmp_lt_i16_e32 vcc_lo, 22, v12
	s_cbranch_vccz .LBB14_1560
; %bb.1549:
	v_cmp_gt_i16_e32 vcc_lo, 24, v12
	s_cbranch_vccnz .LBB14_1561
; %bb.1550:
	v_cmp_lt_i16_e32 vcc_lo, 24, v12
	s_cbranch_vccz .LBB14_1562
; %bb.1551:
	global_load_u8 v8, v[2:3], off
	s_mov_b32 s7, exec_lo
                                        ; implicit-def: $sgpr0_sgpr1
	s_waitcnt vmcnt(0)
	v_cmpx_lt_i16_e32 0x7f, v8
	s_xor_b32 s7, exec_lo, s7
	s_cbranch_execz .LBB14_1555
; %bb.1552:
	s_mov_b32 s10, -1
	s_mov_b32 s6, exec_lo
                                        ; implicit-def: $sgpr0_sgpr1
	v_cmpx_eq_u16_e32 0x80, v8
; %bb.1553:
	s_mov_b32 s1, 0x7ff80000
	s_brev_b32 s0, 4
	s_xor_b32 s10, exec_lo, -1
; %bb.1554:
	s_or_b32 exec_lo, exec_lo, s6
	s_delay_alu instid0(SALU_CYCLE_1)
	s_and_b32 s6, s10, exec_lo
.LBB14_1555:
	s_or_saveexec_b32 s7, s7
	v_dual_mov_b32 v7, s1 :: v_dual_mov_b32 v6, s0
	s_xor_b32 exec_lo, exec_lo, s7
; %bb.1556:
	v_cmp_ne_u16_e32 vcc_lo, 0, v8
	v_mov_b32_e32 v6, 0
	v_mov_b32_e32 v7, 0
	s_and_not1_b32 s0, s6, exec_lo
	s_and_b32 s1, vcc_lo, exec_lo
	s_delay_alu instid0(SALU_CYCLE_1)
	s_or_b32 s6, s0, s1
; %bb.1557:
	s_or_b32 exec_lo, exec_lo, s7
	s_and_saveexec_b32 s0, s6
	s_cbranch_execz .LBB14_1559
; %bb.1558:
	v_and_b32_e32 v6, 0xffff, v8
	v_lshlrev_b32_e32 v8, 24, v8
	s_delay_alu instid0(VALU_DEP_2) | instskip(NEXT) | instid1(VALU_DEP_2)
	v_and_b32_e32 v7, 3, v6
	v_and_b32_e32 v8, 0x80000000, v8
	s_delay_alu instid0(VALU_DEP_2) | instskip(NEXT) | instid1(VALU_DEP_1)
	v_clz_i32_u32_e32 v9, v7
	v_min_u32_e32 v9, 32, v9
	s_delay_alu instid0(VALU_DEP_1) | instskip(SKIP_1) | instid1(VALU_DEP_2)
	v_subrev_nc_u32_e32 v15, 29, v9
	v_sub_nc_u32_e32 v9, 30, v9
	v_lshlrev_b32_e32 v15, v15, v6
	v_bfe_u32 v6, v6, 2, 5
	s_delay_alu instid0(VALU_DEP_2) | instskip(NEXT) | instid1(VALU_DEP_2)
	v_and_b32_e32 v15, 3, v15
	v_cmp_eq_u32_e32 vcc_lo, 0, v6
	s_delay_alu instid0(VALU_DEP_2) | instskip(NEXT) | instid1(VALU_DEP_1)
	v_dual_cndmask_b32 v6, v6, v9 :: v_dual_cndmask_b32 v7, v7, v15
	v_lshl_add_u32 v6, v6, 23, 0x37800000
	s_delay_alu instid0(VALU_DEP_2) | instskip(NEXT) | instid1(VALU_DEP_1)
	v_lshlrev_b32_e32 v7, 21, v7
	v_or3_b32 v6, v8, v6, v7
	s_delay_alu instid0(VALU_DEP_1)
	v_cvt_f64_f32_e32 v[6:7], v6
.LBB14_1559:
	s_or_b32 exec_lo, exec_lo, s0
	s_mov_b32 s0, 0
	s_branch .LBB14_1563
.LBB14_1560:
	s_mov_b32 s1, -1
                                        ; implicit-def: $vgpr6_vgpr7
	s_branch .LBB14_1569
.LBB14_1561:
	s_mov_b32 s0, -1
                                        ; implicit-def: $vgpr6_vgpr7
	s_branch .LBB14_1566
.LBB14_1562:
	s_mov_b32 s0, -1
                                        ; implicit-def: $vgpr6_vgpr7
.LBB14_1563:
	s_delay_alu instid0(SALU_CYCLE_1)
	s_and_b32 vcc_lo, exec_lo, s0
	s_cbranch_vccz .LBB14_1565
; %bb.1564:
	global_load_u8 v6, v[2:3], off
	s_waitcnt vmcnt(0)
	v_lshlrev_b32_e32 v6, 24, v6
	s_delay_alu instid0(VALU_DEP_1) | instskip(NEXT) | instid1(VALU_DEP_1)
	v_and_b32_e32 v7, 0x7f000000, v6
	v_clz_i32_u32_e32 v8, v7
	v_add_nc_u32_e32 v15, 0x1000000, v7
	v_cmp_ne_u32_e32 vcc_lo, 0, v7
	s_delay_alu instid0(VALU_DEP_3) | instskip(NEXT) | instid1(VALU_DEP_1)
	v_min_u32_e32 v8, 32, v8
	v_sub_nc_u32_e64 v8, v8, 4 clamp
	s_delay_alu instid0(VALU_DEP_1) | instskip(SKIP_1) | instid1(VALU_DEP_2)
	v_lshlrev_b32_e32 v9, v8, v7
	v_lshlrev_b32_e32 v8, 23, v8
	v_lshrrev_b32_e32 v9, 4, v9
	s_delay_alu instid0(VALU_DEP_1) | instskip(SKIP_1) | instid1(VALU_DEP_2)
	v_sub_nc_u32_e32 v8, v9, v8
	v_ashrrev_i32_e32 v9, 8, v15
	v_add_nc_u32_e32 v8, 0x3c000000, v8
	s_delay_alu instid0(VALU_DEP_1) | instskip(NEXT) | instid1(VALU_DEP_1)
	v_and_or_b32 v8, 0x7f800000, v9, v8
	v_cndmask_b32_e32 v7, 0, v8, vcc_lo
	s_delay_alu instid0(VALU_DEP_1) | instskip(NEXT) | instid1(VALU_DEP_1)
	v_and_or_b32 v6, 0x80000000, v6, v7
	v_cvt_f64_f32_e32 v[6:7], v6
.LBB14_1565:
	s_mov_b32 s0, 0
.LBB14_1566:
	s_delay_alu instid0(SALU_CYCLE_1)
	s_and_not1_b32 vcc_lo, exec_lo, s0
	s_cbranch_vccnz .LBB14_1568
; %bb.1567:
	global_load_u8 v6, v[2:3], off
	s_waitcnt vmcnt(0)
	v_lshlrev_b32_e32 v7, 25, v6
	v_lshlrev_b16 v6, 8, v6
	s_delay_alu instid0(VALU_DEP_2) | instskip(NEXT) | instid1(VALU_DEP_2)
	v_lshrrev_b32_e32 v8, 4, v7
	v_and_or_b32 v9, 0x7f00, v6, 0.5
	v_bfe_i32 v6, v6, 0, 16
	s_delay_alu instid0(VALU_DEP_3) | instskip(NEXT) | instid1(VALU_DEP_1)
	v_or_b32_e32 v8, 0x70000000, v8
	v_dual_add_f32 v9, -0.5, v9 :: v_dual_mul_f32 v8, 0x7800000, v8
	v_cmp_gt_u32_e32 vcc_lo, 0x8000000, v7
	s_delay_alu instid0(VALU_DEP_2) | instskip(NEXT) | instid1(VALU_DEP_1)
	v_cndmask_b32_e32 v7, v8, v9, vcc_lo
	v_and_or_b32 v6, 0x80000000, v6, v7
	s_delay_alu instid0(VALU_DEP_1)
	v_cvt_f64_f32_e32 v[6:7], v6
.LBB14_1568:
	s_mov_b32 s1, 0
	s_mov_b32 s0, -1
.LBB14_1569:
	s_and_not1_b32 vcc_lo, exec_lo, s1
	s_mov_b32 s6, 0
	s_cbranch_vccnz .LBB14_1578
; %bb.1570:
	v_cmp_lt_i16_e32 vcc_lo, 14, v12
	s_cbranch_vccz .LBB14_1573
; %bb.1571:
	v_cmp_eq_u16_e32 vcc_lo, 15, v12
	s_cbranch_vccz .LBB14_1574
; %bb.1572:
	global_load_u16 v6, v[2:3], off
	s_mov_b32 s3, 0
	s_mov_b32 s0, -1
	s_waitcnt vmcnt(0)
	v_lshlrev_b32_e32 v6, 16, v6
	s_delay_alu instid0(VALU_DEP_1)
	v_cvt_f64_f32_e32 v[6:7], v6
	s_branch .LBB14_1575
.LBB14_1573:
	s_mov_b32 s1, -1
                                        ; implicit-def: $vgpr6_vgpr7
	s_branch .LBB14_1576
.LBB14_1574:
	s_mov_b32 s3, -1
                                        ; implicit-def: $vgpr6_vgpr7
.LBB14_1575:
	s_mov_b32 s1, 0
.LBB14_1576:
	s_delay_alu instid0(SALU_CYCLE_1)
	s_and_b32 vcc_lo, exec_lo, s1
	s_cbranch_vccz .LBB14_1578
; %bb.1577:
	v_cmp_ne_u16_e64 s3, 11, v12
	s_mov_b32 s6, -1
                                        ; implicit-def: $vgpr6_vgpr7
.LBB14_1578:
	s_delay_alu instid0(VALU_DEP_1)
	s_and_b32 vcc_lo, exec_lo, s3
	s_cbranch_vccnz .LBB14_2122
; %bb.1579:
	s_and_not1_b32 vcc_lo, exec_lo, s6
	s_cbranch_vccnz .LBB14_1581
.LBB14_1580:
	global_load_u8 v6, v[2:3], off
	s_mov_b32 s0, -1
	s_waitcnt vmcnt(0)
	v_cmp_ne_u16_e32 vcc_lo, 0, v6
	v_mov_b32_e32 v6, 0
	v_cndmask_b32_e64 v7, 0, 0x3ff00000, vcc_lo
.LBB14_1581:
	s_mov_b32 s1, 0
.LBB14_1582:
	s_delay_alu instid0(SALU_CYCLE_1)
	s_and_b32 vcc_lo, exec_lo, s1
	s_cbranch_vccz .LBB14_1631
; %bb.1583:
	v_cmp_gt_i16_e32 vcc_lo, 5, v12
	s_cbranch_vccnz .LBB14_1588
; %bb.1584:
	v_cmp_gt_i16_e32 vcc_lo, 8, v12
	s_cbranch_vccnz .LBB14_1589
	;; [unrolled: 3-line block ×3, first 2 shown]
; %bb.1586:
	v_cmp_lt_i16_e32 vcc_lo, 9, v12
	s_cbranch_vccz .LBB14_1591
; %bb.1587:
	global_load_b64 v[6:7], v[2:3], off
	s_mov_b32 s0, 0
	s_branch .LBB14_1592
.LBB14_1588:
	s_mov_b32 s0, -1
                                        ; implicit-def: $vgpr6_vgpr7
	s_branch .LBB14_1610
.LBB14_1589:
	s_mov_b32 s0, -1
                                        ; implicit-def: $vgpr6_vgpr7
	s_branch .LBB14_1598
.LBB14_1590:
	s_mov_b32 s0, -1
                                        ; implicit-def: $vgpr6_vgpr7
	s_branch .LBB14_1595
.LBB14_1591:
	s_mov_b32 s0, -1
                                        ; implicit-def: $vgpr6_vgpr7
.LBB14_1592:
	s_delay_alu instid0(SALU_CYCLE_1)
	s_and_not1_b32 vcc_lo, exec_lo, s0
	s_cbranch_vccnz .LBB14_1594
; %bb.1593:
	global_load_b32 v6, v[2:3], off
	s_waitcnt vmcnt(0)
	v_cvt_f64_f32_e32 v[6:7], v6
.LBB14_1594:
	s_mov_b32 s0, 0
.LBB14_1595:
	s_delay_alu instid0(SALU_CYCLE_1)
	s_and_not1_b32 vcc_lo, exec_lo, s0
	s_cbranch_vccnz .LBB14_1597
; %bb.1596:
	global_load_b32 v6, v[2:3], off
	s_waitcnt vmcnt(0)
	v_cvt_f32_f16_e32 v6, v6
	s_delay_alu instid0(VALU_DEP_1)
	v_cvt_f64_f32_e32 v[6:7], v6
.LBB14_1597:
	s_mov_b32 s0, 0
.LBB14_1598:
	s_delay_alu instid0(SALU_CYCLE_1)
	s_and_not1_b32 vcc_lo, exec_lo, s0
	s_cbranch_vccnz .LBB14_1609
; %bb.1599:
	v_cmp_gt_i16_e32 vcc_lo, 6, v12
	s_cbranch_vccnz .LBB14_1602
; %bb.1600:
	v_cmp_lt_i16_e32 vcc_lo, 6, v12
	s_cbranch_vccz .LBB14_1603
; %bb.1601:
	global_load_b64 v[6:7], v[2:3], off
	s_mov_b32 s0, 0
	s_branch .LBB14_1604
.LBB14_1602:
	s_mov_b32 s0, -1
                                        ; implicit-def: $vgpr6_vgpr7
	s_branch .LBB14_1607
.LBB14_1603:
	s_mov_b32 s0, -1
                                        ; implicit-def: $vgpr6_vgpr7
.LBB14_1604:
	s_delay_alu instid0(SALU_CYCLE_1)
	s_and_not1_b32 vcc_lo, exec_lo, s0
	s_cbranch_vccnz .LBB14_1606
; %bb.1605:
	global_load_b32 v6, v[2:3], off
	s_waitcnt vmcnt(0)
	v_cvt_f64_f32_e32 v[6:7], v6
.LBB14_1606:
	s_mov_b32 s0, 0
.LBB14_1607:
	s_delay_alu instid0(SALU_CYCLE_1)
	s_and_not1_b32 vcc_lo, exec_lo, s0
	s_cbranch_vccnz .LBB14_1609
; %bb.1608:
	global_load_u16 v6, v[2:3], off
	s_waitcnt vmcnt(0)
	v_cvt_f32_f16_e32 v6, v6
	s_delay_alu instid0(VALU_DEP_1)
	v_cvt_f64_f32_e32 v[6:7], v6
.LBB14_1609:
	s_mov_b32 s0, 0
.LBB14_1610:
	s_delay_alu instid0(SALU_CYCLE_1)
	s_and_not1_b32 vcc_lo, exec_lo, s0
	s_cbranch_vccnz .LBB14_1630
; %bb.1611:
	v_cmp_gt_i16_e32 vcc_lo, 2, v12
	s_cbranch_vccnz .LBB14_1615
; %bb.1612:
	v_cmp_gt_i16_e32 vcc_lo, 3, v12
	s_cbranch_vccnz .LBB14_1616
; %bb.1613:
	v_cmp_lt_i16_e32 vcc_lo, 3, v12
	s_cbranch_vccz .LBB14_1617
; %bb.1614:
	global_load_b64 v[6:7], v[2:3], off
	s_mov_b32 s0, 0
	s_waitcnt vmcnt(0)
	v_cvt_f64_i32_e32 v[7:8], v7
	v_cvt_f64_u32_e32 v[15:16], v6
	s_delay_alu instid0(VALU_DEP_2) | instskip(NEXT) | instid1(VALU_DEP_1)
	v_ldexp_f64 v[7:8], v[7:8], 32
	v_add_f64 v[6:7], v[7:8], v[15:16]
	s_branch .LBB14_1618
.LBB14_1615:
	s_mov_b32 s0, -1
                                        ; implicit-def: $vgpr6_vgpr7
	s_branch .LBB14_1624
.LBB14_1616:
	s_mov_b32 s0, -1
                                        ; implicit-def: $vgpr6_vgpr7
	s_branch .LBB14_1621
.LBB14_1617:
	s_mov_b32 s0, -1
                                        ; implicit-def: $vgpr6_vgpr7
.LBB14_1618:
	s_delay_alu instid0(SALU_CYCLE_1)
	s_and_not1_b32 vcc_lo, exec_lo, s0
	s_cbranch_vccnz .LBB14_1620
; %bb.1619:
	global_load_b32 v6, v[2:3], off
	s_waitcnt vmcnt(0)
	v_cvt_f64_i32_e32 v[6:7], v6
.LBB14_1620:
	s_mov_b32 s0, 0
.LBB14_1621:
	s_delay_alu instid0(SALU_CYCLE_1)
	s_and_not1_b32 vcc_lo, exec_lo, s0
	s_cbranch_vccnz .LBB14_1623
; %bb.1622:
	global_load_i16 v6, v[2:3], off
	s_waitcnt vmcnt(0)
	v_cvt_f64_i32_e32 v[6:7], v6
.LBB14_1623:
	s_mov_b32 s0, 0
.LBB14_1624:
	s_delay_alu instid0(SALU_CYCLE_1)
	s_and_not1_b32 vcc_lo, exec_lo, s0
	s_cbranch_vccnz .LBB14_1630
; %bb.1625:
	v_cmp_lt_i16_e32 vcc_lo, 0, v12
	s_mov_b32 s0, 0
	s_cbranch_vccz .LBB14_1627
; %bb.1626:
	global_load_i8 v6, v[2:3], off
	s_waitcnt vmcnt(0)
	v_cvt_f64_i32_e32 v[6:7], v6
	s_branch .LBB14_1628
.LBB14_1627:
	s_mov_b32 s0, -1
                                        ; implicit-def: $vgpr6_vgpr7
.LBB14_1628:
	s_delay_alu instid0(SALU_CYCLE_1)
	s_and_not1_b32 vcc_lo, exec_lo, s0
	s_cbranch_vccnz .LBB14_1630
; %bb.1629:
	global_load_u8 v2, v[2:3], off
	s_waitcnt vmcnt(0)
	v_cvt_f64_u32_e32 v[6:7], v2
.LBB14_1630:
	s_mov_b32 s0, -1
.LBB14_1631:
	s_delay_alu instid0(SALU_CYCLE_1)
	s_and_not1_b32 vcc_lo, exec_lo, s0
	s_cbranch_vccnz .LBB14_1639
; %bb.1632:
	v_cmp_ne_u32_e32 vcc_lo, 1, v13
	v_mov_b32_e32 v8, 0
	v_mov_b32_e32 v9, 0
	s_cbranch_vccnz .LBB14_1687
; %bb.1633:
	v_cmp_lt_i64_e64 s0, s[8:9], 1
	v_mov_b32_e32 v8, 0
	v_mov_b32_e32 v9, 0x3ff00000
	s_delay_alu instid0(VALU_DEP_3)
	s_and_b32 vcc_lo, exec_lo, s0
	s_cbranch_vccnz .LBB14_1687
; %bb.1634:
	s_cmp_lg_u64 s[8:9], 1
	s_cbranch_scc0 .LBB14_1684
; %bb.1635:
	v_cmp_lt_u64_e64 s0, 0x200, s[8:9]
	v_mov_b32_e32 v8, 0
	v_mov_b32_e32 v9, 0x7ff80000
	s_delay_alu instid0(VALU_DEP_3)
	s_and_b32 vcc_lo, exec_lo, s0
	s_cbranch_vccnz .LBB14_1638
; %bb.1636:
	s_waitcnt vmcnt(0)
	v_add_f64 v[2:3], v[6:7], v[6:7]
	v_mov_b32_e32 v12, 0
	v_mov_b32_e32 v13, 0x3ff00000
	s_lshl_b64 s[0:1], s[8:9], 1
	s_mov_b64 s[6:7], 2
	s_delay_alu instid0(VALU_DEP_3)
	v_dual_mov_b32 v9, v3 :: v_dual_mov_b32 v8, v2
.LBB14_1637:                            ; =>This Inner Loop Header: Depth=1
	v_cvt_f64_u32_e32 v[15:16], s7
	v_cvt_f64_u32_e32 v[17:18], s6
	s_add_u32 s6, s6, 2
	s_addc_u32 s7, s7, 0
	s_delay_alu instid0(SALU_CYCLE_1) | instskip(NEXT) | instid1(VALU_DEP_1)
	v_cmp_lt_u64_e64 s3, s[6:7], s[0:1]
	s_and_b32 vcc_lo, exec_lo, s3
	s_delay_alu instid0(VALU_DEP_3) | instskip(NEXT) | instid1(VALU_DEP_1)
	v_ldexp_f64 v[15:16], v[15:16], 32
	v_add_f64 v[15:16], v[15:16], v[17:18]
	s_delay_alu instid0(VALU_DEP_1) | instskip(SKIP_1) | instid1(VALU_DEP_1)
	v_mul_f64 v[12:13], v[12:13], v[15:16]
	v_dual_mov_b32 v16, v9 :: v_dual_mov_b32 v15, v8
	v_fma_f64 v[8:9], v[2:3], v[15:16], -v[12:13]
	v_dual_mov_b32 v12, v15 :: v_dual_mov_b32 v13, v16
	s_cbranch_vccnz .LBB14_1637
.LBB14_1638:
	s_mov_b32 s0, 0
	s_branch .LBB14_1685
.LBB14_1639:
	s_mov_b32 s0, 0
	s_mov_b32 s1, 0
                                        ; implicit-def: $vgpr15
                                        ; implicit-def: $vgpr0_vgpr1
                                        ; implicit-def: $vgpr8_vgpr9
.LBB14_1640:
	s_and_not1_b32 s2, s12, exec_lo
	s_and_b32 s3, s15, exec_lo
	s_and_b32 s0, s0, exec_lo
	;; [unrolled: 1-line block ×3, first 2 shown]
	s_or_b32 s12, s2, s3
.LBB14_1641:
	s_or_b32 exec_lo, exec_lo, s13
	s_and_saveexec_b32 s1, s12
	s_cbranch_execz .LBB14_1644
; %bb.1642:
	; divergent unreachable
	s_or_b32 exec_lo, exec_lo, s1
	s_and_saveexec_b32 s1, s15
	s_delay_alu instid0(SALU_CYCLE_1)
	s_xor_b32 s1, exec_lo, s1
	s_cbranch_execnz .LBB14_1645
.LBB14_1643:
	s_or_b32 exec_lo, exec_lo, s1
	s_and_saveexec_b32 s1, s0
	s_cbranch_execnz .LBB14_1646
	s_branch .LBB14_1683
.LBB14_1644:
	s_or_b32 exec_lo, exec_lo, s1
	s_and_saveexec_b32 s1, s15
	s_delay_alu instid0(SALU_CYCLE_1)
	s_xor_b32 s1, exec_lo, s1
	s_cbranch_execz .LBB14_1643
.LBB14_1645:
	v_cmp_neq_f64_e32 vcc_lo, 0, v[8:9]
	s_waitcnt vmcnt(0)
	v_cndmask_b32_e64 v2, 0, 1, vcc_lo
	global_store_b8 v[0:1], v2, off
	s_or_b32 exec_lo, exec_lo, s1
	s_and_saveexec_b32 s1, s0
	s_cbranch_execz .LBB14_1683
.LBB14_1646:
	v_cmp_gt_i16_e32 vcc_lo, 5, v15
	s_mov_b32 s0, -1
	s_cbranch_vccnz .LBB14_1667
; %bb.1647:
	v_cmp_gt_i16_e32 vcc_lo, 8, v15
	s_cbranch_vccnz .LBB14_1657
; %bb.1648:
	v_cmp_gt_i16_e32 vcc_lo, 9, v15
	s_cbranch_vccnz .LBB14_1654
; %bb.1649:
	v_cmp_lt_i16_e32 vcc_lo, 9, v15
	s_cbranch_vccz .LBB14_1651
; %bb.1650:
	v_mov_b32_e32 v10, 0
	s_mov_b32 s0, 0
	s_delay_alu instid0(VALU_DEP_1)
	v_mov_b32_e32 v11, v10
	global_store_b128 v[0:1], v[8:11], off
.LBB14_1651:
	s_and_not1_b32 vcc_lo, exec_lo, s0
	s_cbranch_vccnz .LBB14_1653
; %bb.1652:
	s_waitcnt vmcnt(0)
	v_cvt_f32_f64_e32 v2, v[8:9]
	v_mov_b32_e32 v3, 0
	global_store_b64 v[0:1], v[2:3], off
.LBB14_1653:
	s_mov_b32 s0, 0
.LBB14_1654:
	s_delay_alu instid0(SALU_CYCLE_1)
	s_and_not1_b32 vcc_lo, exec_lo, s0
	s_cbranch_vccnz .LBB14_1656
; %bb.1655:
	s_waitcnt vmcnt(0)
	v_cvt_f32_f64_e32 v2, v[8:9]
	s_delay_alu instid0(VALU_DEP_1) | instskip(NEXT) | instid1(VALU_DEP_1)
	v_cvt_f16_f32_e32 v2, v2
	v_and_b32_e32 v2, 0xffff, v2
	global_store_b32 v[0:1], v2, off
.LBB14_1656:
	s_mov_b32 s0, 0
.LBB14_1657:
	s_delay_alu instid0(SALU_CYCLE_1)
	s_and_not1_b32 vcc_lo, exec_lo, s0
	s_cbranch_vccnz .LBB14_1666
; %bb.1658:
	v_cmp_gt_i16_e32 vcc_lo, 6, v15
	s_mov_b32 s0, -1
	s_cbranch_vccnz .LBB14_1664
; %bb.1659:
	v_cmp_lt_i16_e32 vcc_lo, 6, v15
	s_cbranch_vccz .LBB14_1661
; %bb.1660:
	s_mov_b32 s0, 0
	global_store_b64 v[0:1], v[8:9], off
.LBB14_1661:
	s_and_not1_b32 vcc_lo, exec_lo, s0
	s_cbranch_vccnz .LBB14_1663
; %bb.1662:
	s_waitcnt vmcnt(0)
	v_cvt_f32_f64_e32 v2, v[8:9]
	global_store_b32 v[0:1], v2, off
.LBB14_1663:
	s_mov_b32 s0, 0
.LBB14_1664:
	s_delay_alu instid0(SALU_CYCLE_1)
	s_and_not1_b32 vcc_lo, exec_lo, s0
	s_cbranch_vccnz .LBB14_1666
; %bb.1665:
	s_waitcnt vmcnt(0)
	v_cvt_f32_f64_e32 v2, v[8:9]
	s_delay_alu instid0(VALU_DEP_1)
	v_cvt_f16_f32_e32 v2, v2
	global_store_b16 v[0:1], v2, off
.LBB14_1666:
	s_mov_b32 s0, 0
.LBB14_1667:
	s_delay_alu instid0(SALU_CYCLE_1)
	s_and_not1_b32 vcc_lo, exec_lo, s0
	s_cbranch_vccnz .LBB14_1683
; %bb.1668:
	v_cmp_gt_i16_e32 vcc_lo, 2, v15
	s_mov_b32 s0, -1
	s_cbranch_vccnz .LBB14_1678
; %bb.1669:
	v_cmp_gt_i16_e32 vcc_lo, 3, v15
	s_cbranch_vccnz .LBB14_1675
; %bb.1670:
	v_cmp_lt_i16_e32 vcc_lo, 3, v15
	s_cbranch_vccz .LBB14_1672
; %bb.1671:
	s_waitcnt vmcnt(0)
	v_trunc_f64_e32 v[2:3], v[8:9]
	s_mov_b32 s0, 0
	s_delay_alu instid0(VALU_DEP_1) | instskip(NEXT) | instid1(VALU_DEP_1)
	v_ldexp_f64 v[4:5], v[2:3], 0xffffffe0
	v_floor_f64_e32 v[4:5], v[4:5]
	s_delay_alu instid0(VALU_DEP_1) | instskip(SKIP_1) | instid1(VALU_DEP_2)
	v_fma_f64 v[2:3], 0xc1f00000, v[4:5], v[2:3]
	v_cvt_i32_f64_e32 v4, v[4:5]
	v_cvt_u32_f64_e32 v3, v[2:3]
	global_store_b64 v[0:1], v[3:4], off
.LBB14_1672:
	s_and_not1_b32 vcc_lo, exec_lo, s0
	s_cbranch_vccnz .LBB14_1674
; %bb.1673:
	s_waitcnt vmcnt(0)
	v_cvt_i32_f64_e32 v2, v[8:9]
	global_store_b32 v[0:1], v2, off
.LBB14_1674:
	s_mov_b32 s0, 0
.LBB14_1675:
	s_delay_alu instid0(SALU_CYCLE_1)
	s_and_not1_b32 vcc_lo, exec_lo, s0
	s_cbranch_vccnz .LBB14_1677
; %bb.1676:
	s_waitcnt vmcnt(0)
	v_cvt_i32_f64_e32 v2, v[8:9]
	global_store_b16 v[0:1], v2, off
.LBB14_1677:
	s_mov_b32 s0, 0
.LBB14_1678:
	s_delay_alu instid0(SALU_CYCLE_1)
	s_and_not1_b32 vcc_lo, exec_lo, s0
	s_cbranch_vccnz .LBB14_1683
; %bb.1679:
	v_cmp_lt_i16_e32 vcc_lo, 0, v15
	s_mov_b32 s0, -1
	s_cbranch_vccz .LBB14_1681
; %bb.1680:
	s_waitcnt vmcnt(0)
	v_cvt_i32_f64_e32 v2, v[8:9]
	s_mov_b32 s0, 0
	global_store_b8 v[0:1], v2, off
.LBB14_1681:
	s_and_not1_b32 vcc_lo, exec_lo, s0
	s_cbranch_vccnz .LBB14_1683
; %bb.1682:
	s_waitcnt vmcnt(0)
	v_trunc_f64_e32 v[2:3], v[8:9]
	s_delay_alu instid0(VALU_DEP_1) | instskip(NEXT) | instid1(VALU_DEP_1)
	v_ldexp_f64 v[4:5], v[2:3], 0xffffffe0
	v_floor_f64_e32 v[4:5], v[4:5]
	s_delay_alu instid0(VALU_DEP_1) | instskip(NEXT) | instid1(VALU_DEP_1)
	v_fma_f64 v[2:3], 0xc1f00000, v[4:5], v[2:3]
	v_cvt_u32_f64_e32 v2, v[2:3]
	global_store_b8 v[0:1], v2, off
	s_nop 0
	s_sendmsg sendmsg(MSG_DEALLOC_VGPRS)
	s_endpgm
.LBB14_1683:
	s_nop 0
	s_sendmsg sendmsg(MSG_DEALLOC_VGPRS)
	s_endpgm
.LBB14_1684:
	s_mov_b32 s0, -1
                                        ; implicit-def: $vgpr8_vgpr9
.LBB14_1685:
	s_delay_alu instid0(SALU_CYCLE_1)
	s_and_not1_b32 vcc_lo, exec_lo, s0
	s_cbranch_vccnz .LBB14_1687
; %bb.1686:
	s_waitcnt vmcnt(0)
	v_add_f64 v[8:9], v[6:7], v[6:7]
.LBB14_1687:
	v_mul_lo_u32 v12, s2, v14
	v_and_b32_e64 v15, 0xff, s14
	s_delay_alu instid0(VALU_DEP_1) | instskip(NEXT) | instid1(VALU_DEP_3)
	v_cmp_gt_i16_e32 vcc_lo, 11, v15
	v_ashrrev_i32_e32 v2, 31, v12
	s_waitcnt vmcnt(0)
	v_add_co_u32 v6, s0, s4, v12
	s_delay_alu instid0(VALU_DEP_1)
	v_add_co_ci_u32_e64 v7, s0, s5, v2, s0
	s_cbranch_vccnz .LBB14_1765
; %bb.1688:
	v_cmp_lt_i16_e32 vcc_lo, 25, v15
	s_mov_b32 s6, -1
	s_mov_b32 s1, 0
	s_mov_b32 s3, 0
	;; [unrolled: 1-line block ×3, first 2 shown]
	s_cbranch_vccz .LBB14_1721
; %bb.1689:
	v_cmp_lt_i16_e32 vcc_lo, 28, v15
	s_cbranch_vccz .LBB14_1704
; %bb.1690:
	v_cmp_lt_i16_e32 vcc_lo, 43, v15
	;; [unrolled: 3-line block ×3, first 2 shown]
	s_cbranch_vccz .LBB14_1694
; %bb.1692:
	v_cmp_eq_u16_e32 vcc_lo, 46, v15
	s_mov_b32 s0, -1
	s_mov_b32 s6, 0
	s_cbranch_vccz .LBB14_1694
; %bb.1693:
	v_cvt_f32_f64_e32 v2, v[0:1]
	s_mov_b32 s0, 0
	s_mov_b32 s3, -1
	s_delay_alu instid0(VALU_DEP_1) | instskip(SKIP_1) | instid1(VALU_DEP_2)
	v_bfe_u32 v3, v2, 16, 1
	v_cmp_o_f32_e32 vcc_lo, v2, v2
	v_add3_u32 v3, v2, v3, 0x7fff
	s_delay_alu instid0(VALU_DEP_1) | instskip(NEXT) | instid1(VALU_DEP_1)
	v_lshrrev_b32_e32 v3, 16, v3
	v_cndmask_b32_e32 v2, 0x7fc0, v3, vcc_lo
	global_store_b32 v[6:7], v2, off
.LBB14_1694:
	s_and_b32 vcc_lo, exec_lo, s6
	s_cbranch_vccz .LBB14_1699
; %bb.1695:
	v_cmp_eq_u16_e32 vcc_lo, 44, v15
	s_mov_b32 s0, -1
	s_cbranch_vccz .LBB14_1699
; %bb.1696:
	v_cvt_f32_f64_e32 v2, v[0:1]
	v_mov_b32_e32 v3, 0xff
	s_mov_b32 s3, exec_lo
	s_delay_alu instid0(VALU_DEP_2) | instskip(NEXT) | instid1(VALU_DEP_1)
	v_bfe_u32 v13, v2, 23, 8
	v_cmpx_ne_u32_e32 0xff, v13
; %bb.1697:
	v_and_b32_e32 v3, 0x400000, v2
	v_and_or_b32 v13, 0x3fffff, v2, v13
	v_lshrrev_b32_e32 v2, 23, v2
	s_delay_alu instid0(VALU_DEP_3) | instskip(NEXT) | instid1(VALU_DEP_3)
	v_cmp_ne_u32_e32 vcc_lo, 0, v3
	v_cmp_ne_u32_e64 s0, 0, v13
	s_delay_alu instid0(VALU_DEP_1) | instskip(NEXT) | instid1(SALU_CYCLE_1)
	s_and_b32 s0, vcc_lo, s0
	v_cndmask_b32_e64 v3, 0, 1, s0
	s_delay_alu instid0(VALU_DEP_1)
	v_add_nc_u32_e32 v3, v2, v3
; %bb.1698:
	s_or_b32 exec_lo, exec_lo, s3
	s_mov_b32 s0, 0
	s_mov_b32 s3, -1
	global_store_b8 v[6:7], v3, off
.LBB14_1699:
	s_mov_b32 s6, 0
.LBB14_1700:
	s_delay_alu instid0(SALU_CYCLE_1)
	s_and_b32 vcc_lo, exec_lo, s6
	s_cbranch_vccz .LBB14_1703
; %bb.1701:
	v_cmp_eq_u16_e32 vcc_lo, 29, v15
	s_mov_b32 s0, -1
	s_cbranch_vccz .LBB14_1703
; %bb.1702:
	v_trunc_f64_e32 v[2:3], v[0:1]
	s_mov_b32 s0, 0
	s_mov_b32 s3, -1
	s_delay_alu instid0(VALU_DEP_1) | instskip(NEXT) | instid1(VALU_DEP_1)
	v_ldexp_f64 v[13:14], v[2:3], 0xffffffe0
	v_floor_f64_e32 v[13:14], v[13:14]
	s_delay_alu instid0(VALU_DEP_1) | instskip(SKIP_1) | instid1(VALU_DEP_2)
	v_fma_f64 v[2:3], 0xc1f00000, v[13:14], v[2:3]
	v_cvt_u32_f64_e32 v14, v[13:14]
	v_cvt_u32_f64_e32 v13, v[2:3]
	global_store_b64 v[6:7], v[13:14], off
.LBB14_1703:
	s_mov_b32 s6, 0
.LBB14_1704:
	s_delay_alu instid0(SALU_CYCLE_1)
	s_and_b32 vcc_lo, exec_lo, s6
	s_cbranch_vccz .LBB14_1720
; %bb.1705:
	v_cmp_gt_i16_e32 vcc_lo, 27, v15
	s_mov_b32 s3, -1
	s_cbranch_vccnz .LBB14_1711
; %bb.1706:
	v_cvt_u32_f64_e32 v2, v[0:1]
	v_cmp_lt_i16_e32 vcc_lo, 27, v15
	s_cbranch_vccz .LBB14_1708
; %bb.1707:
	s_mov_b32 s3, 0
	global_store_b32 v[6:7], v2, off
.LBB14_1708:
	s_and_not1_b32 vcc_lo, exec_lo, s3
	s_cbranch_vccnz .LBB14_1710
; %bb.1709:
	global_store_b16 v[6:7], v2, off
.LBB14_1710:
	s_mov_b32 s3, 0
.LBB14_1711:
	s_delay_alu instid0(SALU_CYCLE_1)
	s_and_not1_b32 vcc_lo, exec_lo, s3
	s_cbranch_vccnz .LBB14_1719
; %bb.1712:
	v_cvt_f32_f64_e32 v2, v[0:1]
	v_mov_b32_e32 v13, 0x80
	s_mov_b32 s3, exec_lo
	s_delay_alu instid0(VALU_DEP_2) | instskip(NEXT) | instid1(VALU_DEP_1)
	v_and_b32_e32 v3, 0x7fffffff, v2
	v_cmpx_gt_u32_e32 0x43800000, v3
	s_cbranch_execz .LBB14_1718
; %bb.1713:
	v_cmp_lt_u32_e32 vcc_lo, 0x3bffffff, v3
	s_mov_b32 s6, 0
                                        ; implicit-def: $vgpr3
	s_and_saveexec_b32 s7, vcc_lo
	s_delay_alu instid0(SALU_CYCLE_1)
	s_xor_b32 s7, exec_lo, s7
	s_cbranch_execz .LBB14_2124
; %bb.1714:
	v_bfe_u32 v3, v2, 20, 1
	s_mov_b32 s6, exec_lo
	s_delay_alu instid0(VALU_DEP_1) | instskip(NEXT) | instid1(VALU_DEP_1)
	v_add3_u32 v3, v2, v3, 0x487ffff
	v_lshrrev_b32_e32 v3, 20, v3
	s_or_saveexec_b32 s7, s7
                                        ; implicit-def: $sgpr8
	s_delay_alu instid0(SALU_CYCLE_1)
	s_xor_b32 exec_lo, exec_lo, s7
	s_cbranch_execnz .LBB14_2125
.LBB14_1715:
	s_or_b32 exec_lo, exec_lo, s7
	v_mov_b32_e32 v13, s8
	s_and_saveexec_b32 s7, s6
.LBB14_1716:
	v_lshrrev_b32_e32 v2, 24, v2
	s_delay_alu instid0(VALU_DEP_1)
	v_and_or_b32 v13, 0x80, v2, v3
.LBB14_1717:
	s_or_b32 exec_lo, exec_lo, s7
.LBB14_1718:
	s_delay_alu instid0(SALU_CYCLE_1)
	s_or_b32 exec_lo, exec_lo, s3
	global_store_b8 v[6:7], v13, off
.LBB14_1719:
	s_mov_b32 s3, -1
.LBB14_1720:
	s_mov_b32 s6, 0
.LBB14_1721:
	s_delay_alu instid0(SALU_CYCLE_1)
	s_and_b32 vcc_lo, exec_lo, s6
	s_cbranch_vccz .LBB14_1761
; %bb.1722:
	v_cmp_lt_i16_e32 vcc_lo, 22, v15
	s_mov_b32 s1, -1
	s_cbranch_vccz .LBB14_1754
; %bb.1723:
	v_cmp_gt_i16_e32 vcc_lo, 24, v15
	s_cbranch_vccnz .LBB14_1743
; %bb.1724:
	v_cmp_lt_i16_e32 vcc_lo, 24, v15
	s_cbranch_vccz .LBB14_1732
; %bb.1725:
	v_cvt_f32_f64_e32 v2, v[0:1]
	v_mov_b32_e32 v13, 0x80
	s_mov_b32 s1, exec_lo
	s_delay_alu instid0(VALU_DEP_2) | instskip(NEXT) | instid1(VALU_DEP_1)
	v_and_b32_e32 v3, 0x7fffffff, v2
	v_cmpx_gt_u32_e32 0x47800000, v3
	s_cbranch_execz .LBB14_1731
; %bb.1726:
	v_cmp_lt_u32_e32 vcc_lo, 0x37ffffff, v3
	s_mov_b32 s3, 0
                                        ; implicit-def: $vgpr3
	s_and_saveexec_b32 s6, vcc_lo
	s_delay_alu instid0(SALU_CYCLE_1)
	s_xor_b32 s6, exec_lo, s6
	s_cbranch_execz .LBB14_2130
; %bb.1727:
	v_bfe_u32 v3, v2, 21, 1
	s_mov_b32 s3, exec_lo
	s_delay_alu instid0(VALU_DEP_1) | instskip(NEXT) | instid1(VALU_DEP_1)
	v_add3_u32 v3, v2, v3, 0x88fffff
	v_lshrrev_b32_e32 v3, 21, v3
	s_or_saveexec_b32 s6, s6
                                        ; implicit-def: $sgpr7
	s_delay_alu instid0(SALU_CYCLE_1)
	s_xor_b32 exec_lo, exec_lo, s6
	s_cbranch_execnz .LBB14_2131
.LBB14_1728:
	s_or_b32 exec_lo, exec_lo, s6
	v_mov_b32_e32 v13, s7
	s_and_saveexec_b32 s6, s3
.LBB14_1729:
	v_lshrrev_b32_e32 v2, 24, v2
	s_delay_alu instid0(VALU_DEP_1)
	v_and_or_b32 v13, 0x80, v2, v3
.LBB14_1730:
	s_or_b32 exec_lo, exec_lo, s6
.LBB14_1731:
	s_delay_alu instid0(SALU_CYCLE_1)
	s_or_b32 exec_lo, exec_lo, s1
	s_mov_b32 s1, 0
	global_store_b8 v[6:7], v13, off
.LBB14_1732:
	s_and_b32 vcc_lo, exec_lo, s1
	s_cbranch_vccz .LBB14_1742
; %bb.1733:
	v_cvt_f32_f64_e32 v2, v[0:1]
	s_mov_b32 s1, exec_lo
                                        ; implicit-def: $vgpr3
	s_delay_alu instid0(VALU_DEP_1) | instskip(NEXT) | instid1(VALU_DEP_1)
	v_and_b32_e32 v13, 0x7fffffff, v2
	v_cmpx_gt_u32_e32 0x43f00000, v13
	s_xor_b32 s1, exec_lo, s1
	s_cbranch_execz .LBB14_1739
; %bb.1734:
	s_mov_b32 s3, exec_lo
                                        ; implicit-def: $vgpr3
	v_cmpx_lt_u32_e32 0x3c7fffff, v13
	s_xor_b32 s3, exec_lo, s3
; %bb.1735:
	v_bfe_u32 v3, v2, 20, 1
	s_delay_alu instid0(VALU_DEP_1) | instskip(NEXT) | instid1(VALU_DEP_1)
	v_add3_u32 v3, v2, v3, 0x407ffff
	v_and_b32_e32 v13, 0xff00000, v3
	v_lshrrev_b32_e32 v3, 20, v3
	s_delay_alu instid0(VALU_DEP_2) | instskip(NEXT) | instid1(VALU_DEP_2)
	v_cmp_ne_u32_e32 vcc_lo, 0x7f00000, v13
	v_cndmask_b32_e32 v3, 0x7e, v3, vcc_lo
; %bb.1736:
	s_and_not1_saveexec_b32 s3, s3
; %bb.1737:
	v_add_f32_e64 v3, 0x46800000, |v2|
; %bb.1738:
	s_or_b32 exec_lo, exec_lo, s3
                                        ; implicit-def: $vgpr13
.LBB14_1739:
	s_and_not1_saveexec_b32 s1, s1
; %bb.1740:
	v_mov_b32_e32 v3, 0x7f
	v_cmp_lt_u32_e32 vcc_lo, 0x7f800000, v13
	s_delay_alu instid0(VALU_DEP_2)
	v_cndmask_b32_e32 v3, 0x7e, v3, vcc_lo
; %bb.1741:
	s_or_b32 exec_lo, exec_lo, s1
	v_lshrrev_b32_e32 v2, 24, v2
	s_delay_alu instid0(VALU_DEP_1)
	v_and_or_b32 v2, 0x80, v2, v3
	global_store_b8 v[6:7], v2, off
.LBB14_1742:
	s_mov_b32 s1, 0
.LBB14_1743:
	s_delay_alu instid0(SALU_CYCLE_1)
	s_and_not1_b32 vcc_lo, exec_lo, s1
	s_cbranch_vccnz .LBB14_1753
; %bb.1744:
	v_cvt_f32_f64_e32 v2, v[0:1]
	s_mov_b32 s1, exec_lo
                                        ; implicit-def: $vgpr3
	s_delay_alu instid0(VALU_DEP_1) | instskip(NEXT) | instid1(VALU_DEP_1)
	v_and_b32_e32 v13, 0x7fffffff, v2
	v_cmpx_gt_u32_e32 0x47800000, v13
	s_xor_b32 s1, exec_lo, s1
	s_cbranch_execz .LBB14_1750
; %bb.1745:
	s_mov_b32 s3, exec_lo
                                        ; implicit-def: $vgpr3
	v_cmpx_lt_u32_e32 0x387fffff, v13
	s_xor_b32 s3, exec_lo, s3
; %bb.1746:
	v_bfe_u32 v3, v2, 21, 1
	s_delay_alu instid0(VALU_DEP_1) | instskip(NEXT) | instid1(VALU_DEP_1)
	v_add3_u32 v3, v2, v3, 0x80fffff
	v_lshrrev_b32_e32 v3, 21, v3
; %bb.1747:
	s_and_not1_saveexec_b32 s3, s3
; %bb.1748:
	v_add_f32_e64 v3, 0x43000000, |v2|
; %bb.1749:
	s_or_b32 exec_lo, exec_lo, s3
                                        ; implicit-def: $vgpr13
.LBB14_1750:
	s_and_not1_saveexec_b32 s1, s1
; %bb.1751:
	v_mov_b32_e32 v3, 0x7f
	v_cmp_lt_u32_e32 vcc_lo, 0x7f800000, v13
	s_delay_alu instid0(VALU_DEP_2)
	v_cndmask_b32_e32 v3, 0x7c, v3, vcc_lo
; %bb.1752:
	s_or_b32 exec_lo, exec_lo, s1
	v_lshrrev_b32_e32 v2, 24, v2
	s_delay_alu instid0(VALU_DEP_1)
	v_and_or_b32 v2, 0x80, v2, v3
	global_store_b8 v[6:7], v2, off
.LBB14_1753:
	s_mov_b32 s1, 0
	s_mov_b32 s3, -1
.LBB14_1754:
	s_and_not1_b32 vcc_lo, exec_lo, s1
	s_mov_b32 s1, 0
	s_cbranch_vccnz .LBB14_1761
; %bb.1755:
	v_cmp_lt_i16_e32 vcc_lo, 14, v15
	s_mov_b32 s1, -1
	s_cbranch_vccz .LBB14_1759
; %bb.1756:
	v_cmp_eq_u16_e32 vcc_lo, 15, v15
	s_mov_b32 s0, -1
	s_cbranch_vccz .LBB14_1758
; %bb.1757:
	v_cvt_f32_f64_e32 v2, v[0:1]
	s_mov_b32 s0, 0
	s_mov_b32 s3, -1
	s_delay_alu instid0(VALU_DEP_1) | instskip(SKIP_1) | instid1(VALU_DEP_2)
	v_bfe_u32 v3, v2, 16, 1
	v_cmp_o_f32_e32 vcc_lo, v2, v2
	v_add3_u32 v3, v2, v3, 0x7fff
	s_delay_alu instid0(VALU_DEP_1) | instskip(NEXT) | instid1(VALU_DEP_1)
	v_lshrrev_b32_e32 v3, 16, v3
	v_cndmask_b32_e32 v2, 0x7fc0, v3, vcc_lo
	global_store_b16 v[6:7], v2, off
.LBB14_1758:
	s_mov_b32 s1, 0
.LBB14_1759:
	s_delay_alu instid0(SALU_CYCLE_1)
	s_and_b32 vcc_lo, exec_lo, s1
	s_mov_b32 s1, 0
	s_cbranch_vccz .LBB14_1761
; %bb.1760:
	v_cmp_ne_u16_e64 s0, 11, v15
	s_mov_b32 s1, -1
.LBB14_1761:
	s_delay_alu instid0(VALU_DEP_1)
	s_and_b32 vcc_lo, exec_lo, s0
	s_cbranch_vccnz .LBB14_2128
; %bb.1762:
	s_and_not1_b32 vcc_lo, exec_lo, s1
	s_cbranch_vccnz .LBB14_1764
.LBB14_1763:
	v_cmp_neq_f64_e32 vcc_lo, 0, v[0:1]
	s_mov_b32 s3, -1
	v_cndmask_b32_e64 v2, 0, 1, vcc_lo
	global_store_b8 v[6:7], v2, off
.LBB14_1764:
	s_mov_b32 s0, 0
	s_branch .LBB14_1766
.LBB14_1765:
	s_mov_b32 s0, -1
	s_mov_b32 s3, 0
.LBB14_1766:
	s_and_b32 vcc_lo, exec_lo, s0
	s_cbranch_vccz .LBB14_1805
; %bb.1767:
	v_cmp_gt_i16_e32 vcc_lo, 5, v15
	s_mov_b32 s0, -1
	s_cbranch_vccnz .LBB14_1788
; %bb.1768:
	v_cmp_gt_i16_e32 vcc_lo, 8, v15
	s_cbranch_vccnz .LBB14_1778
; %bb.1769:
	v_cmp_gt_i16_e32 vcc_lo, 9, v15
	s_cbranch_vccnz .LBB14_1775
; %bb.1770:
	v_cmp_lt_i16_e32 vcc_lo, 9, v15
	s_cbranch_vccz .LBB14_1772
; %bb.1771:
	v_mov_b32_e32 v2, 0
	s_mov_b32 s0, 0
	s_delay_alu instid0(VALU_DEP_1)
	v_mov_b32_e32 v3, v2
	global_store_b128 v[6:7], v[0:3], off
.LBB14_1772:
	s_and_not1_b32 vcc_lo, exec_lo, s0
	s_cbranch_vccnz .LBB14_1774
; %bb.1773:
	v_cvt_f32_f64_e32 v2, v[0:1]
	v_mov_b32_e32 v3, 0
	global_store_b64 v[6:7], v[2:3], off
.LBB14_1774:
	s_mov_b32 s0, 0
.LBB14_1775:
	s_delay_alu instid0(SALU_CYCLE_1)
	s_and_not1_b32 vcc_lo, exec_lo, s0
	s_cbranch_vccnz .LBB14_1777
; %bb.1776:
	v_cvt_f32_f64_e32 v2, v[0:1]
	s_delay_alu instid0(VALU_DEP_1) | instskip(NEXT) | instid1(VALU_DEP_1)
	v_cvt_f16_f32_e32 v2, v2
	v_and_b32_e32 v2, 0xffff, v2
	global_store_b32 v[6:7], v2, off
.LBB14_1777:
	s_mov_b32 s0, 0
.LBB14_1778:
	s_delay_alu instid0(SALU_CYCLE_1)
	s_and_not1_b32 vcc_lo, exec_lo, s0
	s_cbranch_vccnz .LBB14_1787
; %bb.1779:
	v_cmp_gt_i16_e32 vcc_lo, 6, v15
	s_mov_b32 s0, -1
	s_cbranch_vccnz .LBB14_1785
; %bb.1780:
	v_cmp_lt_i16_e32 vcc_lo, 6, v15
	s_cbranch_vccz .LBB14_1782
; %bb.1781:
	s_mov_b32 s0, 0
	global_store_b64 v[6:7], v[0:1], off
.LBB14_1782:
	s_and_not1_b32 vcc_lo, exec_lo, s0
	s_cbranch_vccnz .LBB14_1784
; %bb.1783:
	v_cvt_f32_f64_e32 v2, v[0:1]
	global_store_b32 v[6:7], v2, off
.LBB14_1784:
	s_mov_b32 s0, 0
.LBB14_1785:
	s_delay_alu instid0(SALU_CYCLE_1)
	s_and_not1_b32 vcc_lo, exec_lo, s0
	s_cbranch_vccnz .LBB14_1787
; %bb.1786:
	v_cvt_f32_f64_e32 v2, v[0:1]
	s_delay_alu instid0(VALU_DEP_1)
	v_cvt_f16_f32_e32 v2, v2
	global_store_b16 v[6:7], v2, off
.LBB14_1787:
	s_mov_b32 s0, 0
.LBB14_1788:
	s_delay_alu instid0(SALU_CYCLE_1)
	s_and_not1_b32 vcc_lo, exec_lo, s0
	s_cbranch_vccnz .LBB14_1804
; %bb.1789:
	v_cmp_gt_i16_e32 vcc_lo, 2, v15
	s_mov_b32 s0, -1
	s_cbranch_vccnz .LBB14_1799
; %bb.1790:
	v_cmp_gt_i16_e32 vcc_lo, 3, v15
	s_cbranch_vccnz .LBB14_1796
; %bb.1791:
	v_cmp_lt_i16_e32 vcc_lo, 3, v15
	s_cbranch_vccz .LBB14_1793
; %bb.1792:
	v_trunc_f64_e32 v[2:3], v[0:1]
	s_mov_b32 s0, 0
	s_delay_alu instid0(VALU_DEP_1) | instskip(NEXT) | instid1(VALU_DEP_1)
	v_ldexp_f64 v[13:14], v[2:3], 0xffffffe0
	v_floor_f64_e32 v[13:14], v[13:14]
	s_delay_alu instid0(VALU_DEP_1) | instskip(SKIP_1) | instid1(VALU_DEP_2)
	v_fma_f64 v[2:3], 0xc1f00000, v[13:14], v[2:3]
	v_cvt_i32_f64_e32 v14, v[13:14]
	v_cvt_u32_f64_e32 v13, v[2:3]
	global_store_b64 v[6:7], v[13:14], off
.LBB14_1793:
	s_and_not1_b32 vcc_lo, exec_lo, s0
	s_cbranch_vccnz .LBB14_1795
; %bb.1794:
	v_cvt_i32_f64_e32 v2, v[0:1]
	global_store_b32 v[6:7], v2, off
.LBB14_1795:
	s_mov_b32 s0, 0
.LBB14_1796:
	s_delay_alu instid0(SALU_CYCLE_1)
	s_and_not1_b32 vcc_lo, exec_lo, s0
	s_cbranch_vccnz .LBB14_1798
; %bb.1797:
	v_cvt_i32_f64_e32 v2, v[0:1]
	global_store_b16 v[6:7], v2, off
.LBB14_1798:
	s_mov_b32 s0, 0
.LBB14_1799:
	s_delay_alu instid0(SALU_CYCLE_1)
	s_and_not1_b32 vcc_lo, exec_lo, s0
	s_cbranch_vccnz .LBB14_1804
; %bb.1800:
	v_cmp_lt_i16_e32 vcc_lo, 0, v15
	s_mov_b32 s0, -1
	s_cbranch_vccz .LBB14_1802
; %bb.1801:
	v_cvt_i32_f64_e32 v2, v[0:1]
	s_mov_b32 s0, 0
	global_store_b8 v[6:7], v2, off
.LBB14_1802:
	s_and_not1_b32 vcc_lo, exec_lo, s0
	s_cbranch_vccnz .LBB14_1804
; %bb.1803:
	v_trunc_f64_e32 v[0:1], v[0:1]
	s_delay_alu instid0(VALU_DEP_1) | instskip(NEXT) | instid1(VALU_DEP_1)
	v_ldexp_f64 v[2:3], v[0:1], 0xffffffe0
	v_floor_f64_e32 v[2:3], v[2:3]
	s_delay_alu instid0(VALU_DEP_1) | instskip(NEXT) | instid1(VALU_DEP_1)
	v_fma_f64 v[0:1], 0xc1f00000, v[2:3], v[0:1]
	v_cvt_u32_f64_e32 v0, v[0:1]
	global_store_b8 v[6:7], v0, off
.LBB14_1804:
	s_mov_b32 s3, -1
.LBB14_1805:
	s_delay_alu instid0(SALU_CYCLE_1)
	s_and_not1_b32 vcc_lo, exec_lo, s3
	s_cbranch_vccnz .LBB14_2120
; %bb.1806:
	s_lshl_b32 s1, s2, 7
	v_cmp_gt_i16_e32 vcc_lo, 11, v15
	v_add_nc_u32_e32 v2, s1, v12
	s_delay_alu instid0(VALU_DEP_1) | instskip(SKIP_1) | instid1(VALU_DEP_1)
	v_ashrrev_i32_e32 v1, 31, v2
	v_add_co_u32 v0, s0, s4, v2
	v_add_co_ci_u32_e64 v1, s0, s5, v1, s0
	s_cbranch_vccnz .LBB14_1884
; %bb.1807:
	v_cmp_lt_i16_e32 vcc_lo, 25, v15
	s_mov_b32 s6, -1
	s_mov_b32 s2, 0
	s_mov_b32 s3, 0
	;; [unrolled: 1-line block ×3, first 2 shown]
	s_cbranch_vccz .LBB14_1840
; %bb.1808:
	v_cmp_lt_i16_e32 vcc_lo, 28, v15
	s_cbranch_vccz .LBB14_1823
; %bb.1809:
	v_cmp_lt_i16_e32 vcc_lo, 43, v15
	;; [unrolled: 3-line block ×3, first 2 shown]
	s_cbranch_vccz .LBB14_1813
; %bb.1811:
	v_cmp_eq_u16_e32 vcc_lo, 46, v15
	s_mov_b32 s0, -1
	s_mov_b32 s6, 0
	s_cbranch_vccz .LBB14_1813
; %bb.1812:
	v_cvt_f32_f64_e32 v3, v[4:5]
	s_mov_b32 s0, 0
	s_mov_b32 s3, -1
	s_delay_alu instid0(VALU_DEP_1) | instskip(SKIP_1) | instid1(VALU_DEP_2)
	v_bfe_u32 v6, v3, 16, 1
	v_cmp_o_f32_e32 vcc_lo, v3, v3
	v_add3_u32 v6, v3, v6, 0x7fff
	s_delay_alu instid0(VALU_DEP_1) | instskip(NEXT) | instid1(VALU_DEP_1)
	v_lshrrev_b32_e32 v6, 16, v6
	v_cndmask_b32_e32 v3, 0x7fc0, v6, vcc_lo
	global_store_b32 v[0:1], v3, off
.LBB14_1813:
	s_and_b32 vcc_lo, exec_lo, s6
	s_cbranch_vccz .LBB14_1818
; %bb.1814:
	v_cmp_eq_u16_e32 vcc_lo, 44, v15
	s_mov_b32 s0, -1
	s_cbranch_vccz .LBB14_1818
; %bb.1815:
	v_cvt_f32_f64_e32 v3, v[4:5]
	v_mov_b32_e32 v6, 0xff
	s_mov_b32 s3, exec_lo
	s_delay_alu instid0(VALU_DEP_2) | instskip(NEXT) | instid1(VALU_DEP_1)
	v_bfe_u32 v7, v3, 23, 8
	v_cmpx_ne_u32_e32 0xff, v7
; %bb.1816:
	v_and_b32_e32 v6, 0x400000, v3
	v_and_or_b32 v7, 0x3fffff, v3, v7
	v_lshrrev_b32_e32 v3, 23, v3
	s_delay_alu instid0(VALU_DEP_3) | instskip(NEXT) | instid1(VALU_DEP_3)
	v_cmp_ne_u32_e32 vcc_lo, 0, v6
	v_cmp_ne_u32_e64 s0, 0, v7
	s_delay_alu instid0(VALU_DEP_1) | instskip(NEXT) | instid1(SALU_CYCLE_1)
	s_and_b32 s0, vcc_lo, s0
	v_cndmask_b32_e64 v6, 0, 1, s0
	s_delay_alu instid0(VALU_DEP_1)
	v_add_nc_u32_e32 v6, v3, v6
; %bb.1817:
	s_or_b32 exec_lo, exec_lo, s3
	s_mov_b32 s0, 0
	s_mov_b32 s3, -1
	global_store_b8 v[0:1], v6, off
.LBB14_1818:
	s_mov_b32 s6, 0
.LBB14_1819:
	s_delay_alu instid0(SALU_CYCLE_1)
	s_and_b32 vcc_lo, exec_lo, s6
	s_cbranch_vccz .LBB14_1822
; %bb.1820:
	v_cmp_eq_u16_e32 vcc_lo, 29, v15
	s_mov_b32 s0, -1
	s_cbranch_vccz .LBB14_1822
; %bb.1821:
	v_trunc_f64_e32 v[6:7], v[4:5]
	s_mov_b32 s0, 0
	s_mov_b32 s3, -1
	s_delay_alu instid0(VALU_DEP_1) | instskip(NEXT) | instid1(VALU_DEP_1)
	v_ldexp_f64 v[12:13], v[6:7], 0xffffffe0
	v_floor_f64_e32 v[12:13], v[12:13]
	s_delay_alu instid0(VALU_DEP_1) | instskip(SKIP_1) | instid1(VALU_DEP_2)
	v_fma_f64 v[6:7], 0xc1f00000, v[12:13], v[6:7]
	v_cvt_u32_f64_e32 v13, v[12:13]
	v_cvt_u32_f64_e32 v12, v[6:7]
	global_store_b64 v[0:1], v[12:13], off
.LBB14_1822:
	s_mov_b32 s6, 0
.LBB14_1823:
	s_delay_alu instid0(SALU_CYCLE_1)
	s_and_b32 vcc_lo, exec_lo, s6
	s_cbranch_vccz .LBB14_1839
; %bb.1824:
	v_cmp_gt_i16_e32 vcc_lo, 27, v15
	s_mov_b32 s3, -1
	s_cbranch_vccnz .LBB14_1830
; %bb.1825:
	v_cvt_u32_f64_e32 v3, v[4:5]
	v_cmp_lt_i16_e32 vcc_lo, 27, v15
	s_cbranch_vccz .LBB14_1827
; %bb.1826:
	s_mov_b32 s3, 0
	global_store_b32 v[0:1], v3, off
.LBB14_1827:
	s_and_not1_b32 vcc_lo, exec_lo, s3
	s_cbranch_vccnz .LBB14_1829
; %bb.1828:
	global_store_b16 v[0:1], v3, off
.LBB14_1829:
	s_mov_b32 s3, 0
.LBB14_1830:
	s_delay_alu instid0(SALU_CYCLE_1)
	s_and_not1_b32 vcc_lo, exec_lo, s3
	s_cbranch_vccnz .LBB14_1838
; %bb.1831:
	v_cvt_f32_f64_e32 v3, v[4:5]
	v_mov_b32_e32 v7, 0x80
	s_mov_b32 s3, exec_lo
	s_delay_alu instid0(VALU_DEP_2) | instskip(NEXT) | instid1(VALU_DEP_1)
	v_and_b32_e32 v6, 0x7fffffff, v3
	v_cmpx_gt_u32_e32 0x43800000, v6
	s_cbranch_execz .LBB14_1837
; %bb.1832:
	v_cmp_lt_u32_e32 vcc_lo, 0x3bffffff, v6
	s_mov_b32 s6, 0
                                        ; implicit-def: $vgpr6
	s_and_saveexec_b32 s7, vcc_lo
	s_delay_alu instid0(SALU_CYCLE_1)
	s_xor_b32 s7, exec_lo, s7
	s_cbranch_execz .LBB14_2132
; %bb.1833:
	v_bfe_u32 v6, v3, 20, 1
	s_mov_b32 s6, exec_lo
	s_delay_alu instid0(VALU_DEP_1) | instskip(NEXT) | instid1(VALU_DEP_1)
	v_add3_u32 v6, v3, v6, 0x487ffff
	v_lshrrev_b32_e32 v6, 20, v6
	s_or_saveexec_b32 s7, s7
                                        ; implicit-def: $sgpr8
	s_delay_alu instid0(SALU_CYCLE_1)
	s_xor_b32 exec_lo, exec_lo, s7
	s_cbranch_execnz .LBB14_2133
.LBB14_1834:
	s_or_b32 exec_lo, exec_lo, s7
	v_mov_b32_e32 v7, s8
	s_and_saveexec_b32 s7, s6
.LBB14_1835:
	v_lshrrev_b32_e32 v3, 24, v3
	s_delay_alu instid0(VALU_DEP_1)
	v_and_or_b32 v7, 0x80, v3, v6
.LBB14_1836:
	s_or_b32 exec_lo, exec_lo, s7
.LBB14_1837:
	s_delay_alu instid0(SALU_CYCLE_1)
	s_or_b32 exec_lo, exec_lo, s3
	global_store_b8 v[0:1], v7, off
.LBB14_1838:
	s_mov_b32 s3, -1
.LBB14_1839:
	s_mov_b32 s6, 0
.LBB14_1840:
	s_delay_alu instid0(SALU_CYCLE_1)
	s_and_b32 vcc_lo, exec_lo, s6
	s_cbranch_vccz .LBB14_1880
; %bb.1841:
	v_cmp_lt_i16_e32 vcc_lo, 22, v15
	s_mov_b32 s2, -1
	s_cbranch_vccz .LBB14_1873
; %bb.1842:
	v_cmp_gt_i16_e32 vcc_lo, 24, v15
	s_cbranch_vccnz .LBB14_1862
; %bb.1843:
	v_cmp_lt_i16_e32 vcc_lo, 24, v15
	s_cbranch_vccz .LBB14_1851
; %bb.1844:
	v_cvt_f32_f64_e32 v3, v[4:5]
	v_mov_b32_e32 v7, 0x80
	s_mov_b32 s2, exec_lo
	s_delay_alu instid0(VALU_DEP_2) | instskip(NEXT) | instid1(VALU_DEP_1)
	v_and_b32_e32 v6, 0x7fffffff, v3
	v_cmpx_gt_u32_e32 0x47800000, v6
	s_cbranch_execz .LBB14_1850
; %bb.1845:
	v_cmp_lt_u32_e32 vcc_lo, 0x37ffffff, v6
	s_mov_b32 s3, 0
                                        ; implicit-def: $vgpr6
	s_and_saveexec_b32 s6, vcc_lo
	s_delay_alu instid0(SALU_CYCLE_1)
	s_xor_b32 s6, exec_lo, s6
	s_cbranch_execz .LBB14_2138
; %bb.1846:
	v_bfe_u32 v6, v3, 21, 1
	s_mov_b32 s3, exec_lo
	s_delay_alu instid0(VALU_DEP_1) | instskip(NEXT) | instid1(VALU_DEP_1)
	v_add3_u32 v6, v3, v6, 0x88fffff
	v_lshrrev_b32_e32 v6, 21, v6
	s_or_saveexec_b32 s6, s6
                                        ; implicit-def: $sgpr7
	s_delay_alu instid0(SALU_CYCLE_1)
	s_xor_b32 exec_lo, exec_lo, s6
	s_cbranch_execnz .LBB14_2139
.LBB14_1847:
	s_or_b32 exec_lo, exec_lo, s6
	v_mov_b32_e32 v7, s7
	s_and_saveexec_b32 s6, s3
.LBB14_1848:
	v_lshrrev_b32_e32 v3, 24, v3
	s_delay_alu instid0(VALU_DEP_1)
	v_and_or_b32 v7, 0x80, v3, v6
.LBB14_1849:
	s_or_b32 exec_lo, exec_lo, s6
.LBB14_1850:
	s_delay_alu instid0(SALU_CYCLE_1)
	s_or_b32 exec_lo, exec_lo, s2
	s_mov_b32 s2, 0
	global_store_b8 v[0:1], v7, off
.LBB14_1851:
	s_and_b32 vcc_lo, exec_lo, s2
	s_cbranch_vccz .LBB14_1861
; %bb.1852:
	v_cvt_f32_f64_e32 v3, v[4:5]
	s_mov_b32 s2, exec_lo
                                        ; implicit-def: $vgpr6
	s_delay_alu instid0(VALU_DEP_1) | instskip(NEXT) | instid1(VALU_DEP_1)
	v_and_b32_e32 v7, 0x7fffffff, v3
	v_cmpx_gt_u32_e32 0x43f00000, v7
	s_xor_b32 s2, exec_lo, s2
	s_cbranch_execz .LBB14_1858
; %bb.1853:
	s_mov_b32 s3, exec_lo
                                        ; implicit-def: $vgpr6
	v_cmpx_lt_u32_e32 0x3c7fffff, v7
	s_xor_b32 s3, exec_lo, s3
; %bb.1854:
	v_bfe_u32 v6, v3, 20, 1
	s_delay_alu instid0(VALU_DEP_1) | instskip(NEXT) | instid1(VALU_DEP_1)
	v_add3_u32 v6, v3, v6, 0x407ffff
	v_and_b32_e32 v7, 0xff00000, v6
	v_lshrrev_b32_e32 v6, 20, v6
	s_delay_alu instid0(VALU_DEP_2) | instskip(NEXT) | instid1(VALU_DEP_2)
	v_cmp_ne_u32_e32 vcc_lo, 0x7f00000, v7
	v_cndmask_b32_e32 v6, 0x7e, v6, vcc_lo
; %bb.1855:
	s_and_not1_saveexec_b32 s3, s3
; %bb.1856:
	v_add_f32_e64 v6, 0x46800000, |v3|
; %bb.1857:
	s_or_b32 exec_lo, exec_lo, s3
                                        ; implicit-def: $vgpr7
.LBB14_1858:
	s_and_not1_saveexec_b32 s2, s2
; %bb.1859:
	v_mov_b32_e32 v6, 0x7f
	v_cmp_lt_u32_e32 vcc_lo, 0x7f800000, v7
	s_delay_alu instid0(VALU_DEP_2)
	v_cndmask_b32_e32 v6, 0x7e, v6, vcc_lo
; %bb.1860:
	s_or_b32 exec_lo, exec_lo, s2
	v_lshrrev_b32_e32 v3, 24, v3
	s_delay_alu instid0(VALU_DEP_1)
	v_and_or_b32 v3, 0x80, v3, v6
	global_store_b8 v[0:1], v3, off
.LBB14_1861:
	s_mov_b32 s2, 0
.LBB14_1862:
	s_delay_alu instid0(SALU_CYCLE_1)
	s_and_not1_b32 vcc_lo, exec_lo, s2
	s_cbranch_vccnz .LBB14_1872
; %bb.1863:
	v_cvt_f32_f64_e32 v3, v[4:5]
	s_mov_b32 s2, exec_lo
                                        ; implicit-def: $vgpr6
	s_delay_alu instid0(VALU_DEP_1) | instskip(NEXT) | instid1(VALU_DEP_1)
	v_and_b32_e32 v7, 0x7fffffff, v3
	v_cmpx_gt_u32_e32 0x47800000, v7
	s_xor_b32 s2, exec_lo, s2
	s_cbranch_execz .LBB14_1869
; %bb.1864:
	s_mov_b32 s3, exec_lo
                                        ; implicit-def: $vgpr6
	v_cmpx_lt_u32_e32 0x387fffff, v7
	s_xor_b32 s3, exec_lo, s3
; %bb.1865:
	v_bfe_u32 v6, v3, 21, 1
	s_delay_alu instid0(VALU_DEP_1) | instskip(NEXT) | instid1(VALU_DEP_1)
	v_add3_u32 v6, v3, v6, 0x80fffff
	v_lshrrev_b32_e32 v6, 21, v6
; %bb.1866:
	s_and_not1_saveexec_b32 s3, s3
; %bb.1867:
	v_add_f32_e64 v6, 0x43000000, |v3|
; %bb.1868:
	s_or_b32 exec_lo, exec_lo, s3
                                        ; implicit-def: $vgpr7
.LBB14_1869:
	s_and_not1_saveexec_b32 s2, s2
; %bb.1870:
	v_mov_b32_e32 v6, 0x7f
	v_cmp_lt_u32_e32 vcc_lo, 0x7f800000, v7
	s_delay_alu instid0(VALU_DEP_2)
	v_cndmask_b32_e32 v6, 0x7c, v6, vcc_lo
; %bb.1871:
	s_or_b32 exec_lo, exec_lo, s2
	v_lshrrev_b32_e32 v3, 24, v3
	s_delay_alu instid0(VALU_DEP_1)
	v_and_or_b32 v3, 0x80, v3, v6
	global_store_b8 v[0:1], v3, off
.LBB14_1872:
	s_mov_b32 s2, 0
	s_mov_b32 s3, -1
.LBB14_1873:
	s_and_not1_b32 vcc_lo, exec_lo, s2
	s_mov_b32 s2, 0
	s_cbranch_vccnz .LBB14_1880
; %bb.1874:
	v_cmp_lt_i16_e32 vcc_lo, 14, v15
	s_mov_b32 s2, -1
	s_cbranch_vccz .LBB14_1878
; %bb.1875:
	v_cmp_eq_u16_e32 vcc_lo, 15, v15
	s_mov_b32 s0, -1
	s_cbranch_vccz .LBB14_1877
; %bb.1876:
	v_cvt_f32_f64_e32 v3, v[4:5]
	s_mov_b32 s0, 0
	s_mov_b32 s3, -1
	s_delay_alu instid0(VALU_DEP_1) | instskip(SKIP_1) | instid1(VALU_DEP_2)
	v_bfe_u32 v6, v3, 16, 1
	v_cmp_o_f32_e32 vcc_lo, v3, v3
	v_add3_u32 v6, v3, v6, 0x7fff
	s_delay_alu instid0(VALU_DEP_1) | instskip(NEXT) | instid1(VALU_DEP_1)
	v_lshrrev_b32_e32 v6, 16, v6
	v_cndmask_b32_e32 v3, 0x7fc0, v6, vcc_lo
	global_store_b16 v[0:1], v3, off
.LBB14_1877:
	s_mov_b32 s2, 0
.LBB14_1878:
	s_delay_alu instid0(SALU_CYCLE_1)
	s_and_b32 vcc_lo, exec_lo, s2
	s_mov_b32 s2, 0
	s_cbranch_vccz .LBB14_1880
; %bb.1879:
	v_cmp_ne_u16_e64 s0, 11, v15
	s_mov_b32 s2, -1
.LBB14_1880:
	s_delay_alu instid0(VALU_DEP_1)
	s_and_b32 vcc_lo, exec_lo, s0
	s_cbranch_vccnz .LBB14_2136
; %bb.1881:
	s_and_not1_b32 vcc_lo, exec_lo, s2
	s_cbranch_vccnz .LBB14_1883
.LBB14_1882:
	v_cmp_neq_f64_e32 vcc_lo, 0, v[4:5]
	s_mov_b32 s3, -1
	v_cndmask_b32_e64 v3, 0, 1, vcc_lo
	global_store_b8 v[0:1], v3, off
.LBB14_1883:
	s_mov_b32 s0, 0
	s_branch .LBB14_1885
.LBB14_1884:
	s_mov_b32 s0, -1
	s_mov_b32 s3, 0
.LBB14_1885:
	s_and_b32 vcc_lo, exec_lo, s0
	s_cbranch_vccz .LBB14_1924
; %bb.1886:
	v_cmp_gt_i16_e32 vcc_lo, 5, v15
	s_mov_b32 s0, -1
	s_cbranch_vccnz .LBB14_1907
; %bb.1887:
	v_cmp_gt_i16_e32 vcc_lo, 8, v15
	s_cbranch_vccnz .LBB14_1897
; %bb.1888:
	v_cmp_gt_i16_e32 vcc_lo, 9, v15
	s_cbranch_vccnz .LBB14_1894
; %bb.1889:
	v_cmp_lt_i16_e32 vcc_lo, 9, v15
	s_cbranch_vccz .LBB14_1891
; %bb.1890:
	v_mov_b32_e32 v6, 0
	s_mov_b32 s0, 0
	s_delay_alu instid0(VALU_DEP_1)
	v_mov_b32_e32 v7, v6
	global_store_b128 v[0:1], v[4:7], off
.LBB14_1891:
	s_and_not1_b32 vcc_lo, exec_lo, s0
	s_cbranch_vccnz .LBB14_1893
; %bb.1892:
	v_cvt_f32_f64_e32 v6, v[4:5]
	v_mov_b32_e32 v7, 0
	global_store_b64 v[0:1], v[6:7], off
.LBB14_1893:
	s_mov_b32 s0, 0
.LBB14_1894:
	s_delay_alu instid0(SALU_CYCLE_1)
	s_and_not1_b32 vcc_lo, exec_lo, s0
	s_cbranch_vccnz .LBB14_1896
; %bb.1895:
	v_cvt_f32_f64_e32 v3, v[4:5]
	s_delay_alu instid0(VALU_DEP_1) | instskip(NEXT) | instid1(VALU_DEP_1)
	v_cvt_f16_f32_e32 v3, v3
	v_and_b32_e32 v3, 0xffff, v3
	global_store_b32 v[0:1], v3, off
.LBB14_1896:
	s_mov_b32 s0, 0
.LBB14_1897:
	s_delay_alu instid0(SALU_CYCLE_1)
	s_and_not1_b32 vcc_lo, exec_lo, s0
	s_cbranch_vccnz .LBB14_1906
; %bb.1898:
	v_cmp_gt_i16_e32 vcc_lo, 6, v15
	s_mov_b32 s0, -1
	s_cbranch_vccnz .LBB14_1904
; %bb.1899:
	v_cmp_lt_i16_e32 vcc_lo, 6, v15
	s_cbranch_vccz .LBB14_1901
; %bb.1900:
	s_mov_b32 s0, 0
	global_store_b64 v[0:1], v[4:5], off
.LBB14_1901:
	s_and_not1_b32 vcc_lo, exec_lo, s0
	s_cbranch_vccnz .LBB14_1903
; %bb.1902:
	v_cvt_f32_f64_e32 v3, v[4:5]
	global_store_b32 v[0:1], v3, off
.LBB14_1903:
	s_mov_b32 s0, 0
.LBB14_1904:
	s_delay_alu instid0(SALU_CYCLE_1)
	s_and_not1_b32 vcc_lo, exec_lo, s0
	s_cbranch_vccnz .LBB14_1906
; %bb.1905:
	v_cvt_f32_f64_e32 v3, v[4:5]
	s_delay_alu instid0(VALU_DEP_1)
	v_cvt_f16_f32_e32 v3, v3
	global_store_b16 v[0:1], v3, off
.LBB14_1906:
	s_mov_b32 s0, 0
.LBB14_1907:
	s_delay_alu instid0(SALU_CYCLE_1)
	s_and_not1_b32 vcc_lo, exec_lo, s0
	s_cbranch_vccnz .LBB14_1923
; %bb.1908:
	v_cmp_gt_i16_e32 vcc_lo, 2, v15
	s_mov_b32 s0, -1
	s_cbranch_vccnz .LBB14_1918
; %bb.1909:
	v_cmp_gt_i16_e32 vcc_lo, 3, v15
	s_cbranch_vccnz .LBB14_1915
; %bb.1910:
	v_cmp_lt_i16_e32 vcc_lo, 3, v15
	s_cbranch_vccz .LBB14_1912
; %bb.1911:
	v_trunc_f64_e32 v[6:7], v[4:5]
	s_mov_b32 s0, 0
	s_delay_alu instid0(VALU_DEP_1) | instskip(NEXT) | instid1(VALU_DEP_1)
	v_ldexp_f64 v[12:13], v[6:7], 0xffffffe0
	v_floor_f64_e32 v[12:13], v[12:13]
	s_delay_alu instid0(VALU_DEP_1) | instskip(SKIP_1) | instid1(VALU_DEP_2)
	v_fma_f64 v[6:7], 0xc1f00000, v[12:13], v[6:7]
	v_cvt_i32_f64_e32 v13, v[12:13]
	v_cvt_u32_f64_e32 v12, v[6:7]
	global_store_b64 v[0:1], v[12:13], off
.LBB14_1912:
	s_and_not1_b32 vcc_lo, exec_lo, s0
	s_cbranch_vccnz .LBB14_1914
; %bb.1913:
	v_cvt_i32_f64_e32 v3, v[4:5]
	global_store_b32 v[0:1], v3, off
.LBB14_1914:
	s_mov_b32 s0, 0
.LBB14_1915:
	s_delay_alu instid0(SALU_CYCLE_1)
	s_and_not1_b32 vcc_lo, exec_lo, s0
	s_cbranch_vccnz .LBB14_1917
; %bb.1916:
	v_cvt_i32_f64_e32 v3, v[4:5]
	global_store_b16 v[0:1], v3, off
.LBB14_1917:
	s_mov_b32 s0, 0
.LBB14_1918:
	s_delay_alu instid0(SALU_CYCLE_1)
	s_and_not1_b32 vcc_lo, exec_lo, s0
	s_cbranch_vccnz .LBB14_1923
; %bb.1919:
	v_cmp_lt_i16_e32 vcc_lo, 0, v15
	s_mov_b32 s0, -1
	s_cbranch_vccz .LBB14_1921
; %bb.1920:
	v_cvt_i32_f64_e32 v3, v[4:5]
	s_mov_b32 s0, 0
	global_store_b8 v[0:1], v3, off
.LBB14_1921:
	s_and_not1_b32 vcc_lo, exec_lo, s0
	s_cbranch_vccnz .LBB14_1923
; %bb.1922:
	v_trunc_f64_e32 v[3:4], v[4:5]
	s_delay_alu instid0(VALU_DEP_1) | instskip(NEXT) | instid1(VALU_DEP_1)
	v_ldexp_f64 v[5:6], v[3:4], 0xffffffe0
	v_floor_f64_e32 v[5:6], v[5:6]
	s_delay_alu instid0(VALU_DEP_1) | instskip(NEXT) | instid1(VALU_DEP_1)
	v_fma_f64 v[3:4], 0xc1f00000, v[5:6], v[3:4]
	v_cvt_u32_f64_e32 v3, v[3:4]
	global_store_b8 v[0:1], v3, off
.LBB14_1923:
	s_mov_b32 s3, -1
.LBB14_1924:
	s_delay_alu instid0(SALU_CYCLE_1)
	s_and_not1_b32 vcc_lo, exec_lo, s3
	s_cbranch_vccnz .LBB14_2120
; %bb.1925:
	v_add_nc_u32_e32 v2, s1, v2
	v_cmp_gt_i16_e32 vcc_lo, 11, v15
	s_delay_alu instid0(VALU_DEP_2) | instskip(SKIP_1) | instid1(VALU_DEP_1)
	v_ashrrev_i32_e32 v1, 31, v2
	v_add_co_u32 v0, s0, s4, v2
	v_add_co_ci_u32_e64 v1, s0, s5, v1, s0
	s_cbranch_vccnz .LBB14_2003
; %bb.1926:
	v_cmp_lt_i16_e32 vcc_lo, 25, v15
	s_mov_b32 s6, -1
	s_mov_b32 s2, 0
	s_mov_b32 s3, 0
	;; [unrolled: 1-line block ×3, first 2 shown]
	s_cbranch_vccz .LBB14_1959
; %bb.1927:
	v_cmp_lt_i16_e32 vcc_lo, 28, v15
	s_cbranch_vccz .LBB14_1942
; %bb.1928:
	v_cmp_lt_i16_e32 vcc_lo, 43, v15
	;; [unrolled: 3-line block ×3, first 2 shown]
	s_cbranch_vccz .LBB14_1932
; %bb.1930:
	v_cmp_eq_u16_e32 vcc_lo, 46, v15
	s_mov_b32 s0, -1
	s_mov_b32 s6, 0
	s_cbranch_vccz .LBB14_1932
; %bb.1931:
	v_cvt_f32_f64_e32 v3, v[10:11]
	s_mov_b32 s0, 0
	s_mov_b32 s3, -1
	s_delay_alu instid0(VALU_DEP_1) | instskip(SKIP_1) | instid1(VALU_DEP_2)
	v_bfe_u32 v4, v3, 16, 1
	v_cmp_o_f32_e32 vcc_lo, v3, v3
	v_add3_u32 v4, v3, v4, 0x7fff
	s_delay_alu instid0(VALU_DEP_1) | instskip(NEXT) | instid1(VALU_DEP_1)
	v_lshrrev_b32_e32 v4, 16, v4
	v_cndmask_b32_e32 v3, 0x7fc0, v4, vcc_lo
	global_store_b32 v[0:1], v3, off
.LBB14_1932:
	s_and_b32 vcc_lo, exec_lo, s6
	s_cbranch_vccz .LBB14_1937
; %bb.1933:
	v_cmp_eq_u16_e32 vcc_lo, 44, v15
	s_mov_b32 s0, -1
	s_cbranch_vccz .LBB14_1937
; %bb.1934:
	v_cvt_f32_f64_e32 v3, v[10:11]
	v_mov_b32_e32 v4, 0xff
	s_mov_b32 s3, exec_lo
	s_delay_alu instid0(VALU_DEP_2) | instskip(NEXT) | instid1(VALU_DEP_1)
	v_bfe_u32 v5, v3, 23, 8
	v_cmpx_ne_u32_e32 0xff, v5
; %bb.1935:
	v_and_b32_e32 v4, 0x400000, v3
	v_and_or_b32 v5, 0x3fffff, v3, v5
	v_lshrrev_b32_e32 v3, 23, v3
	s_delay_alu instid0(VALU_DEP_3) | instskip(NEXT) | instid1(VALU_DEP_3)
	v_cmp_ne_u32_e32 vcc_lo, 0, v4
	v_cmp_ne_u32_e64 s0, 0, v5
	s_delay_alu instid0(VALU_DEP_1) | instskip(NEXT) | instid1(SALU_CYCLE_1)
	s_and_b32 s0, vcc_lo, s0
	v_cndmask_b32_e64 v4, 0, 1, s0
	s_delay_alu instid0(VALU_DEP_1)
	v_add_nc_u32_e32 v4, v3, v4
; %bb.1936:
	s_or_b32 exec_lo, exec_lo, s3
	s_mov_b32 s0, 0
	s_mov_b32 s3, -1
	global_store_b8 v[0:1], v4, off
.LBB14_1937:
	s_mov_b32 s6, 0
.LBB14_1938:
	s_delay_alu instid0(SALU_CYCLE_1)
	s_and_b32 vcc_lo, exec_lo, s6
	s_cbranch_vccz .LBB14_1941
; %bb.1939:
	v_cmp_eq_u16_e32 vcc_lo, 29, v15
	s_mov_b32 s0, -1
	s_cbranch_vccz .LBB14_1941
; %bb.1940:
	v_trunc_f64_e32 v[3:4], v[10:11]
	s_mov_b32 s0, 0
	s_mov_b32 s3, -1
	s_delay_alu instid0(VALU_DEP_1) | instskip(NEXT) | instid1(VALU_DEP_1)
	v_ldexp_f64 v[5:6], v[3:4], 0xffffffe0
	v_floor_f64_e32 v[5:6], v[5:6]
	s_delay_alu instid0(VALU_DEP_1) | instskip(SKIP_1) | instid1(VALU_DEP_2)
	v_fma_f64 v[3:4], 0xc1f00000, v[5:6], v[3:4]
	v_cvt_u32_f64_e32 v5, v[5:6]
	v_cvt_u32_f64_e32 v4, v[3:4]
	global_store_b64 v[0:1], v[4:5], off
.LBB14_1941:
	s_mov_b32 s6, 0
.LBB14_1942:
	s_delay_alu instid0(SALU_CYCLE_1)
	s_and_b32 vcc_lo, exec_lo, s6
	s_cbranch_vccz .LBB14_1958
; %bb.1943:
	v_cmp_gt_i16_e32 vcc_lo, 27, v15
	s_mov_b32 s3, -1
	s_cbranch_vccnz .LBB14_1949
; %bb.1944:
	v_cvt_u32_f64_e32 v3, v[10:11]
	v_cmp_lt_i16_e32 vcc_lo, 27, v15
	s_cbranch_vccz .LBB14_1946
; %bb.1945:
	s_mov_b32 s3, 0
	global_store_b32 v[0:1], v3, off
.LBB14_1946:
	s_and_not1_b32 vcc_lo, exec_lo, s3
	s_cbranch_vccnz .LBB14_1948
; %bb.1947:
	global_store_b16 v[0:1], v3, off
.LBB14_1948:
	s_mov_b32 s3, 0
.LBB14_1949:
	s_delay_alu instid0(SALU_CYCLE_1)
	s_and_not1_b32 vcc_lo, exec_lo, s3
	s_cbranch_vccnz .LBB14_1957
; %bb.1950:
	v_cvt_f32_f64_e32 v3, v[10:11]
	v_mov_b32_e32 v5, 0x80
	s_mov_b32 s3, exec_lo
	s_delay_alu instid0(VALU_DEP_2) | instskip(NEXT) | instid1(VALU_DEP_1)
	v_and_b32_e32 v4, 0x7fffffff, v3
	v_cmpx_gt_u32_e32 0x43800000, v4
	s_cbranch_execz .LBB14_1956
; %bb.1951:
	v_cmp_lt_u32_e32 vcc_lo, 0x3bffffff, v4
	s_mov_b32 s6, 0
                                        ; implicit-def: $vgpr4
	s_and_saveexec_b32 s7, vcc_lo
	s_delay_alu instid0(SALU_CYCLE_1)
	s_xor_b32 s7, exec_lo, s7
	s_cbranch_execz .LBB14_2140
; %bb.1952:
	v_bfe_u32 v4, v3, 20, 1
	s_mov_b32 s6, exec_lo
	s_delay_alu instid0(VALU_DEP_1) | instskip(NEXT) | instid1(VALU_DEP_1)
	v_add3_u32 v4, v3, v4, 0x487ffff
	v_lshrrev_b32_e32 v4, 20, v4
	s_or_saveexec_b32 s7, s7
                                        ; implicit-def: $sgpr8
	s_delay_alu instid0(SALU_CYCLE_1)
	s_xor_b32 exec_lo, exec_lo, s7
	s_cbranch_execnz .LBB14_2141
.LBB14_1953:
	s_or_b32 exec_lo, exec_lo, s7
	v_mov_b32_e32 v5, s8
	s_and_saveexec_b32 s7, s6
.LBB14_1954:
	v_lshrrev_b32_e32 v3, 24, v3
	s_delay_alu instid0(VALU_DEP_1)
	v_and_or_b32 v5, 0x80, v3, v4
.LBB14_1955:
	s_or_b32 exec_lo, exec_lo, s7
.LBB14_1956:
	s_delay_alu instid0(SALU_CYCLE_1)
	s_or_b32 exec_lo, exec_lo, s3
	global_store_b8 v[0:1], v5, off
.LBB14_1957:
	s_mov_b32 s3, -1
.LBB14_1958:
	s_mov_b32 s6, 0
.LBB14_1959:
	s_delay_alu instid0(SALU_CYCLE_1)
	s_and_b32 vcc_lo, exec_lo, s6
	s_cbranch_vccz .LBB14_1999
; %bb.1960:
	v_cmp_lt_i16_e32 vcc_lo, 22, v15
	s_mov_b32 s2, -1
	s_cbranch_vccz .LBB14_1992
; %bb.1961:
	v_cmp_gt_i16_e32 vcc_lo, 24, v15
	s_cbranch_vccnz .LBB14_1981
; %bb.1962:
	v_cmp_lt_i16_e32 vcc_lo, 24, v15
	s_cbranch_vccz .LBB14_1970
; %bb.1963:
	v_cvt_f32_f64_e32 v3, v[10:11]
	v_mov_b32_e32 v5, 0x80
	s_mov_b32 s2, exec_lo
	s_delay_alu instid0(VALU_DEP_2) | instskip(NEXT) | instid1(VALU_DEP_1)
	v_and_b32_e32 v4, 0x7fffffff, v3
	v_cmpx_gt_u32_e32 0x47800000, v4
	s_cbranch_execz .LBB14_1969
; %bb.1964:
	v_cmp_lt_u32_e32 vcc_lo, 0x37ffffff, v4
	s_mov_b32 s3, 0
                                        ; implicit-def: $vgpr4
	s_and_saveexec_b32 s6, vcc_lo
	s_delay_alu instid0(SALU_CYCLE_1)
	s_xor_b32 s6, exec_lo, s6
	s_cbranch_execz .LBB14_2146
; %bb.1965:
	v_bfe_u32 v4, v3, 21, 1
	s_mov_b32 s3, exec_lo
	s_delay_alu instid0(VALU_DEP_1) | instskip(NEXT) | instid1(VALU_DEP_1)
	v_add3_u32 v4, v3, v4, 0x88fffff
	v_lshrrev_b32_e32 v4, 21, v4
	s_or_saveexec_b32 s6, s6
                                        ; implicit-def: $sgpr7
	s_delay_alu instid0(SALU_CYCLE_1)
	s_xor_b32 exec_lo, exec_lo, s6
	s_cbranch_execnz .LBB14_2147
.LBB14_1966:
	s_or_b32 exec_lo, exec_lo, s6
	v_mov_b32_e32 v5, s7
	s_and_saveexec_b32 s6, s3
.LBB14_1967:
	v_lshrrev_b32_e32 v3, 24, v3
	s_delay_alu instid0(VALU_DEP_1)
	v_and_or_b32 v5, 0x80, v3, v4
.LBB14_1968:
	s_or_b32 exec_lo, exec_lo, s6
.LBB14_1969:
	s_delay_alu instid0(SALU_CYCLE_1)
	s_or_b32 exec_lo, exec_lo, s2
	s_mov_b32 s2, 0
	global_store_b8 v[0:1], v5, off
.LBB14_1970:
	s_and_b32 vcc_lo, exec_lo, s2
	s_cbranch_vccz .LBB14_1980
; %bb.1971:
	v_cvt_f32_f64_e32 v3, v[10:11]
	s_mov_b32 s2, exec_lo
                                        ; implicit-def: $vgpr4
	s_delay_alu instid0(VALU_DEP_1) | instskip(NEXT) | instid1(VALU_DEP_1)
	v_and_b32_e32 v5, 0x7fffffff, v3
	v_cmpx_gt_u32_e32 0x43f00000, v5
	s_xor_b32 s2, exec_lo, s2
	s_cbranch_execz .LBB14_1977
; %bb.1972:
	s_mov_b32 s3, exec_lo
                                        ; implicit-def: $vgpr4
	v_cmpx_lt_u32_e32 0x3c7fffff, v5
	s_xor_b32 s3, exec_lo, s3
; %bb.1973:
	v_bfe_u32 v4, v3, 20, 1
	s_delay_alu instid0(VALU_DEP_1) | instskip(NEXT) | instid1(VALU_DEP_1)
	v_add3_u32 v4, v3, v4, 0x407ffff
	v_and_b32_e32 v5, 0xff00000, v4
	v_lshrrev_b32_e32 v4, 20, v4
	s_delay_alu instid0(VALU_DEP_2) | instskip(NEXT) | instid1(VALU_DEP_2)
	v_cmp_ne_u32_e32 vcc_lo, 0x7f00000, v5
	v_cndmask_b32_e32 v4, 0x7e, v4, vcc_lo
; %bb.1974:
	s_and_not1_saveexec_b32 s3, s3
; %bb.1975:
	v_add_f32_e64 v4, 0x46800000, |v3|
; %bb.1976:
	s_or_b32 exec_lo, exec_lo, s3
                                        ; implicit-def: $vgpr5
.LBB14_1977:
	s_and_not1_saveexec_b32 s2, s2
; %bb.1978:
	v_mov_b32_e32 v4, 0x7f
	v_cmp_lt_u32_e32 vcc_lo, 0x7f800000, v5
	s_delay_alu instid0(VALU_DEP_2)
	v_cndmask_b32_e32 v4, 0x7e, v4, vcc_lo
; %bb.1979:
	s_or_b32 exec_lo, exec_lo, s2
	v_lshrrev_b32_e32 v3, 24, v3
	s_delay_alu instid0(VALU_DEP_1)
	v_and_or_b32 v3, 0x80, v3, v4
	global_store_b8 v[0:1], v3, off
.LBB14_1980:
	s_mov_b32 s2, 0
.LBB14_1981:
	s_delay_alu instid0(SALU_CYCLE_1)
	s_and_not1_b32 vcc_lo, exec_lo, s2
	s_cbranch_vccnz .LBB14_1991
; %bb.1982:
	v_cvt_f32_f64_e32 v3, v[10:11]
	s_mov_b32 s2, exec_lo
                                        ; implicit-def: $vgpr4
	s_delay_alu instid0(VALU_DEP_1) | instskip(NEXT) | instid1(VALU_DEP_1)
	v_and_b32_e32 v5, 0x7fffffff, v3
	v_cmpx_gt_u32_e32 0x47800000, v5
	s_xor_b32 s2, exec_lo, s2
	s_cbranch_execz .LBB14_1988
; %bb.1983:
	s_mov_b32 s3, exec_lo
                                        ; implicit-def: $vgpr4
	v_cmpx_lt_u32_e32 0x387fffff, v5
	s_xor_b32 s3, exec_lo, s3
; %bb.1984:
	v_bfe_u32 v4, v3, 21, 1
	s_delay_alu instid0(VALU_DEP_1) | instskip(NEXT) | instid1(VALU_DEP_1)
	v_add3_u32 v4, v3, v4, 0x80fffff
	v_lshrrev_b32_e32 v4, 21, v4
; %bb.1985:
	s_and_not1_saveexec_b32 s3, s3
; %bb.1986:
	v_add_f32_e64 v4, 0x43000000, |v3|
; %bb.1987:
	s_or_b32 exec_lo, exec_lo, s3
                                        ; implicit-def: $vgpr5
.LBB14_1988:
	s_and_not1_saveexec_b32 s2, s2
; %bb.1989:
	v_mov_b32_e32 v4, 0x7f
	v_cmp_lt_u32_e32 vcc_lo, 0x7f800000, v5
	s_delay_alu instid0(VALU_DEP_2)
	v_cndmask_b32_e32 v4, 0x7c, v4, vcc_lo
; %bb.1990:
	s_or_b32 exec_lo, exec_lo, s2
	v_lshrrev_b32_e32 v3, 24, v3
	s_delay_alu instid0(VALU_DEP_1)
	v_and_or_b32 v3, 0x80, v3, v4
	global_store_b8 v[0:1], v3, off
.LBB14_1991:
	s_mov_b32 s2, 0
	s_mov_b32 s3, -1
.LBB14_1992:
	s_and_not1_b32 vcc_lo, exec_lo, s2
	s_mov_b32 s2, 0
	s_cbranch_vccnz .LBB14_1999
; %bb.1993:
	v_cmp_lt_i16_e32 vcc_lo, 14, v15
	s_mov_b32 s2, -1
	s_cbranch_vccz .LBB14_1997
; %bb.1994:
	v_cmp_eq_u16_e32 vcc_lo, 15, v15
	s_mov_b32 s0, -1
	s_cbranch_vccz .LBB14_1996
; %bb.1995:
	v_cvt_f32_f64_e32 v3, v[10:11]
	s_mov_b32 s0, 0
	s_mov_b32 s3, -1
	s_delay_alu instid0(VALU_DEP_1) | instskip(SKIP_1) | instid1(VALU_DEP_2)
	v_bfe_u32 v4, v3, 16, 1
	v_cmp_o_f32_e32 vcc_lo, v3, v3
	v_add3_u32 v4, v3, v4, 0x7fff
	s_delay_alu instid0(VALU_DEP_1) | instskip(NEXT) | instid1(VALU_DEP_1)
	v_lshrrev_b32_e32 v4, 16, v4
	v_cndmask_b32_e32 v3, 0x7fc0, v4, vcc_lo
	global_store_b16 v[0:1], v3, off
.LBB14_1996:
	s_mov_b32 s2, 0
.LBB14_1997:
	s_delay_alu instid0(SALU_CYCLE_1)
	s_and_b32 vcc_lo, exec_lo, s2
	s_mov_b32 s2, 0
	s_cbranch_vccz .LBB14_1999
; %bb.1998:
	v_cmp_ne_u16_e64 s0, 11, v15
	s_mov_b32 s2, -1
.LBB14_1999:
	s_delay_alu instid0(VALU_DEP_1)
	s_and_b32 vcc_lo, exec_lo, s0
	s_cbranch_vccnz .LBB14_2144
; %bb.2000:
	s_and_not1_b32 vcc_lo, exec_lo, s2
	s_cbranch_vccnz .LBB14_2002
.LBB14_2001:
	v_cmp_neq_f64_e32 vcc_lo, 0, v[10:11]
	s_mov_b32 s3, -1
	v_cndmask_b32_e64 v3, 0, 1, vcc_lo
	global_store_b8 v[0:1], v3, off
.LBB14_2002:
	s_mov_b32 s0, 0
	s_branch .LBB14_2004
.LBB14_2003:
	s_mov_b32 s0, -1
	s_mov_b32 s3, 0
.LBB14_2004:
	s_and_b32 vcc_lo, exec_lo, s0
	s_cbranch_vccz .LBB14_2043
; %bb.2005:
	v_cmp_gt_i16_e32 vcc_lo, 5, v15
	s_mov_b32 s0, -1
	s_cbranch_vccnz .LBB14_2026
; %bb.2006:
	v_cmp_gt_i16_e32 vcc_lo, 8, v15
	s_cbranch_vccnz .LBB14_2016
; %bb.2007:
	v_cmp_gt_i16_e32 vcc_lo, 9, v15
	s_cbranch_vccnz .LBB14_2013
; %bb.2008:
	v_cmp_lt_i16_e32 vcc_lo, 9, v15
	s_cbranch_vccz .LBB14_2010
; %bb.2009:
	v_mov_b32_e32 v12, 0
	s_mov_b32 s0, 0
	s_delay_alu instid0(VALU_DEP_1)
	v_mov_b32_e32 v13, v12
	global_store_b128 v[0:1], v[10:13], off
.LBB14_2010:
	s_and_not1_b32 vcc_lo, exec_lo, s0
	s_cbranch_vccnz .LBB14_2012
; %bb.2011:
	v_cvt_f32_f64_e32 v3, v[10:11]
	v_mov_b32_e32 v4, 0
	global_store_b64 v[0:1], v[3:4], off
.LBB14_2012:
	s_mov_b32 s0, 0
.LBB14_2013:
	s_delay_alu instid0(SALU_CYCLE_1)
	s_and_not1_b32 vcc_lo, exec_lo, s0
	s_cbranch_vccnz .LBB14_2015
; %bb.2014:
	v_cvt_f32_f64_e32 v3, v[10:11]
	s_delay_alu instid0(VALU_DEP_1) | instskip(NEXT) | instid1(VALU_DEP_1)
	v_cvt_f16_f32_e32 v3, v3
	v_and_b32_e32 v3, 0xffff, v3
	global_store_b32 v[0:1], v3, off
.LBB14_2015:
	s_mov_b32 s0, 0
.LBB14_2016:
	s_delay_alu instid0(SALU_CYCLE_1)
	s_and_not1_b32 vcc_lo, exec_lo, s0
	s_cbranch_vccnz .LBB14_2025
; %bb.2017:
	v_cmp_gt_i16_e32 vcc_lo, 6, v15
	s_mov_b32 s0, -1
	s_cbranch_vccnz .LBB14_2023
; %bb.2018:
	v_cmp_lt_i16_e32 vcc_lo, 6, v15
	s_cbranch_vccz .LBB14_2020
; %bb.2019:
	s_mov_b32 s0, 0
	global_store_b64 v[0:1], v[10:11], off
.LBB14_2020:
	s_and_not1_b32 vcc_lo, exec_lo, s0
	s_cbranch_vccnz .LBB14_2022
; %bb.2021:
	v_cvt_f32_f64_e32 v3, v[10:11]
	global_store_b32 v[0:1], v3, off
.LBB14_2022:
	s_mov_b32 s0, 0
.LBB14_2023:
	s_delay_alu instid0(SALU_CYCLE_1)
	s_and_not1_b32 vcc_lo, exec_lo, s0
	s_cbranch_vccnz .LBB14_2025
; %bb.2024:
	v_cvt_f32_f64_e32 v3, v[10:11]
	s_delay_alu instid0(VALU_DEP_1)
	v_cvt_f16_f32_e32 v3, v3
	global_store_b16 v[0:1], v3, off
.LBB14_2025:
	s_mov_b32 s0, 0
.LBB14_2026:
	s_delay_alu instid0(SALU_CYCLE_1)
	s_and_not1_b32 vcc_lo, exec_lo, s0
	s_cbranch_vccnz .LBB14_2042
; %bb.2027:
	v_cmp_gt_i16_e32 vcc_lo, 2, v15
	s_mov_b32 s0, -1
	s_cbranch_vccnz .LBB14_2037
; %bb.2028:
	v_cmp_gt_i16_e32 vcc_lo, 3, v15
	s_cbranch_vccnz .LBB14_2034
; %bb.2029:
	v_cmp_lt_i16_e32 vcc_lo, 3, v15
	s_cbranch_vccz .LBB14_2031
; %bb.2030:
	v_trunc_f64_e32 v[3:4], v[10:11]
	s_mov_b32 s0, 0
	s_delay_alu instid0(VALU_DEP_1) | instskip(NEXT) | instid1(VALU_DEP_1)
	v_ldexp_f64 v[5:6], v[3:4], 0xffffffe0
	v_floor_f64_e32 v[5:6], v[5:6]
	s_delay_alu instid0(VALU_DEP_1) | instskip(SKIP_1) | instid1(VALU_DEP_2)
	v_fma_f64 v[3:4], 0xc1f00000, v[5:6], v[3:4]
	v_cvt_i32_f64_e32 v5, v[5:6]
	v_cvt_u32_f64_e32 v4, v[3:4]
	global_store_b64 v[0:1], v[4:5], off
.LBB14_2031:
	s_and_not1_b32 vcc_lo, exec_lo, s0
	s_cbranch_vccnz .LBB14_2033
; %bb.2032:
	v_cvt_i32_f64_e32 v3, v[10:11]
	global_store_b32 v[0:1], v3, off
.LBB14_2033:
	s_mov_b32 s0, 0
.LBB14_2034:
	s_delay_alu instid0(SALU_CYCLE_1)
	s_and_not1_b32 vcc_lo, exec_lo, s0
	s_cbranch_vccnz .LBB14_2036
; %bb.2035:
	v_cvt_i32_f64_e32 v3, v[10:11]
	global_store_b16 v[0:1], v3, off
.LBB14_2036:
	s_mov_b32 s0, 0
.LBB14_2037:
	s_delay_alu instid0(SALU_CYCLE_1)
	s_and_not1_b32 vcc_lo, exec_lo, s0
	s_cbranch_vccnz .LBB14_2042
; %bb.2038:
	v_cmp_lt_i16_e32 vcc_lo, 0, v15
	s_mov_b32 s0, -1
	s_cbranch_vccz .LBB14_2040
; %bb.2039:
	v_cvt_i32_f64_e32 v3, v[10:11]
	s_mov_b32 s0, 0
	global_store_b8 v[0:1], v3, off
.LBB14_2040:
	s_and_not1_b32 vcc_lo, exec_lo, s0
	s_cbranch_vccnz .LBB14_2042
; %bb.2041:
	v_trunc_f64_e32 v[3:4], v[10:11]
	s_delay_alu instid0(VALU_DEP_1) | instskip(NEXT) | instid1(VALU_DEP_1)
	v_ldexp_f64 v[5:6], v[3:4], 0xffffffe0
	v_floor_f64_e32 v[5:6], v[5:6]
	s_delay_alu instid0(VALU_DEP_1) | instskip(NEXT) | instid1(VALU_DEP_1)
	v_fma_f64 v[3:4], 0xc1f00000, v[5:6], v[3:4]
	v_cvt_u32_f64_e32 v3, v[3:4]
	global_store_b8 v[0:1], v3, off
.LBB14_2042:
	s_mov_b32 s3, -1
.LBB14_2043:
	s_delay_alu instid0(SALU_CYCLE_1)
	s_and_not1_b32 vcc_lo, exec_lo, s3
	s_cbranch_vccnz .LBB14_2120
; %bb.2044:
	v_add_nc_u32_e32 v0, s1, v2
	v_cmp_gt_i16_e32 vcc_lo, 11, v15
	s_delay_alu instid0(VALU_DEP_2) | instskip(SKIP_1) | instid1(VALU_DEP_1)
	v_ashrrev_i32_e32 v1, 31, v0
	v_add_co_u32 v0, s0, s4, v0
	v_add_co_ci_u32_e64 v1, s0, s5, v1, s0
	s_cbranch_vccnz .LBB14_2121
; %bb.2045:
	v_cmp_lt_i16_e32 vcc_lo, 25, v15
	s_mov_b32 s2, -1
	s_mov_b32 s1, 0
	s_mov_b32 s0, 0
	s_cbranch_vccz .LBB14_2078
; %bb.2046:
	v_cmp_lt_i16_e32 vcc_lo, 28, v15
	s_cbranch_vccz .LBB14_2062
; %bb.2047:
	v_cmp_lt_i16_e32 vcc_lo, 43, v15
	;; [unrolled: 3-line block ×3, first 2 shown]
	s_cbranch_vccz .LBB14_2052
; %bb.2049:
	v_cmp_eq_u16_e32 vcc_lo, 46, v15
	s_mov_b32 s0, -1
	s_cbranch_vccz .LBB14_2051
; %bb.2050:
	v_cvt_f32_f64_e32 v2, v[8:9]
	s_mov_b32 s0, 0
	s_delay_alu instid0(VALU_DEP_1) | instskip(SKIP_1) | instid1(VALU_DEP_2)
	v_bfe_u32 v3, v2, 16, 1
	v_cmp_o_f32_e32 vcc_lo, v2, v2
	v_add3_u32 v3, v2, v3, 0x7fff
	s_delay_alu instid0(VALU_DEP_1) | instskip(NEXT) | instid1(VALU_DEP_1)
	v_lshrrev_b32_e32 v3, 16, v3
	v_cndmask_b32_e32 v2, 0x7fc0, v3, vcc_lo
	global_store_b32 v[0:1], v2, off
.LBB14_2051:
	s_mov_b32 s2, 0
.LBB14_2052:
	s_delay_alu instid0(SALU_CYCLE_1)
	s_and_b32 vcc_lo, exec_lo, s2
	s_cbranch_vccz .LBB14_2057
; %bb.2053:
	v_cmp_eq_u16_e32 vcc_lo, 44, v15
	s_mov_b32 s0, -1
	s_cbranch_vccz .LBB14_2057
; %bb.2054:
	v_cvt_f32_f64_e32 v2, v[8:9]
	v_mov_b32_e32 v3, 0xff
	s_mov_b32 s2, exec_lo
	s_delay_alu instid0(VALU_DEP_2) | instskip(NEXT) | instid1(VALU_DEP_1)
	v_bfe_u32 v4, v2, 23, 8
	v_cmpx_ne_u32_e32 0xff, v4
; %bb.2055:
	v_and_b32_e32 v3, 0x400000, v2
	v_and_or_b32 v4, 0x3fffff, v2, v4
	v_lshrrev_b32_e32 v2, 23, v2
	s_delay_alu instid0(VALU_DEP_3) | instskip(NEXT) | instid1(VALU_DEP_3)
	v_cmp_ne_u32_e32 vcc_lo, 0, v3
	v_cmp_ne_u32_e64 s0, 0, v4
	s_delay_alu instid0(VALU_DEP_1) | instskip(NEXT) | instid1(SALU_CYCLE_1)
	s_and_b32 s0, vcc_lo, s0
	v_cndmask_b32_e64 v3, 0, 1, s0
	s_delay_alu instid0(VALU_DEP_1)
	v_add_nc_u32_e32 v3, v2, v3
; %bb.2056:
	s_or_b32 exec_lo, exec_lo, s2
	s_mov_b32 s0, 0
	global_store_b8 v[0:1], v3, off
.LBB14_2057:
	s_mov_b32 s2, 0
.LBB14_2058:
	s_delay_alu instid0(SALU_CYCLE_1)
	s_and_b32 vcc_lo, exec_lo, s2
	s_cbranch_vccz .LBB14_2061
; %bb.2059:
	v_cmp_eq_u16_e32 vcc_lo, 29, v15
	s_mov_b32 s0, -1
	s_cbranch_vccz .LBB14_2061
; %bb.2060:
	v_trunc_f64_e32 v[2:3], v[8:9]
	s_mov_b32 s0, 0
	s_delay_alu instid0(VALU_DEP_1) | instskip(NEXT) | instid1(VALU_DEP_1)
	v_ldexp_f64 v[4:5], v[2:3], 0xffffffe0
	v_floor_f64_e32 v[4:5], v[4:5]
	s_delay_alu instid0(VALU_DEP_1) | instskip(SKIP_1) | instid1(VALU_DEP_2)
	v_fma_f64 v[2:3], 0xc1f00000, v[4:5], v[2:3]
	v_cvt_u32_f64_e32 v4, v[4:5]
	v_cvt_u32_f64_e32 v3, v[2:3]
	global_store_b64 v[0:1], v[3:4], off
.LBB14_2061:
	s_mov_b32 s2, 0
.LBB14_2062:
	s_delay_alu instid0(SALU_CYCLE_1)
	s_and_b32 vcc_lo, exec_lo, s2
	s_cbranch_vccz .LBB14_2077
; %bb.2063:
	v_cmp_gt_i16_e32 vcc_lo, 27, v15
	s_mov_b32 s2, -1
	s_cbranch_vccnz .LBB14_2069
; %bb.2064:
	v_cvt_u32_f64_e32 v2, v[8:9]
	v_cmp_lt_i16_e32 vcc_lo, 27, v15
	s_cbranch_vccz .LBB14_2066
; %bb.2065:
	s_mov_b32 s2, 0
	global_store_b32 v[0:1], v2, off
.LBB14_2066:
	s_and_not1_b32 vcc_lo, exec_lo, s2
	s_cbranch_vccnz .LBB14_2068
; %bb.2067:
	global_store_b16 v[0:1], v2, off
.LBB14_2068:
	s_mov_b32 s2, 0
.LBB14_2069:
	s_delay_alu instid0(SALU_CYCLE_1)
	s_and_not1_b32 vcc_lo, exec_lo, s2
	s_cbranch_vccnz .LBB14_2077
; %bb.2070:
	v_cvt_f32_f64_e32 v2, v[8:9]
	v_mov_b32_e32 v4, 0x80
	s_mov_b32 s2, exec_lo
	s_delay_alu instid0(VALU_DEP_2) | instskip(NEXT) | instid1(VALU_DEP_1)
	v_and_b32_e32 v3, 0x7fffffff, v2
	v_cmpx_gt_u32_e32 0x43800000, v3
	s_cbranch_execz .LBB14_2076
; %bb.2071:
	v_cmp_lt_u32_e32 vcc_lo, 0x3bffffff, v3
	s_mov_b32 s3, 0
                                        ; implicit-def: $vgpr3
	s_and_saveexec_b32 s4, vcc_lo
	s_delay_alu instid0(SALU_CYCLE_1)
	s_xor_b32 s4, exec_lo, s4
	s_cbranch_execz .LBB14_2148
; %bb.2072:
	v_bfe_u32 v3, v2, 20, 1
	s_mov_b32 s3, exec_lo
	s_delay_alu instid0(VALU_DEP_1) | instskip(NEXT) | instid1(VALU_DEP_1)
	v_add3_u32 v3, v2, v3, 0x487ffff
	v_lshrrev_b32_e32 v3, 20, v3
	s_or_saveexec_b32 s4, s4
                                        ; implicit-def: $sgpr5
	s_delay_alu instid0(SALU_CYCLE_1)
	s_xor_b32 exec_lo, exec_lo, s4
	s_cbranch_execnz .LBB14_2149
.LBB14_2073:
	s_or_b32 exec_lo, exec_lo, s4
	v_mov_b32_e32 v4, s5
	s_and_saveexec_b32 s4, s3
.LBB14_2074:
	v_lshrrev_b32_e32 v2, 24, v2
	s_delay_alu instid0(VALU_DEP_1)
	v_and_or_b32 v4, 0x80, v2, v3
.LBB14_2075:
	s_or_b32 exec_lo, exec_lo, s4
.LBB14_2076:
	s_delay_alu instid0(SALU_CYCLE_1)
	s_or_b32 exec_lo, exec_lo, s2
	global_store_b8 v[0:1], v4, off
.LBB14_2077:
	s_mov_b32 s2, 0
.LBB14_2078:
	s_delay_alu instid0(SALU_CYCLE_1)
	s_and_b32 vcc_lo, exec_lo, s2
	s_cbranch_vccz .LBB14_2118
; %bb.2079:
	v_cmp_lt_i16_e32 vcc_lo, 22, v15
	s_mov_b32 s1, -1
	s_cbranch_vccz .LBB14_2111
; %bb.2080:
	v_cmp_gt_i16_e32 vcc_lo, 24, v15
	s_cbranch_vccnz .LBB14_2100
; %bb.2081:
	v_cmp_lt_i16_e32 vcc_lo, 24, v15
	s_cbranch_vccz .LBB14_2089
; %bb.2082:
	v_cvt_f32_f64_e32 v2, v[8:9]
	v_mov_b32_e32 v4, 0x80
	s_mov_b32 s1, exec_lo
	s_delay_alu instid0(VALU_DEP_2) | instskip(NEXT) | instid1(VALU_DEP_1)
	v_and_b32_e32 v3, 0x7fffffff, v2
	v_cmpx_gt_u32_e32 0x47800000, v3
	s_cbranch_execz .LBB14_2088
; %bb.2083:
	v_cmp_lt_u32_e32 vcc_lo, 0x37ffffff, v3
	s_mov_b32 s2, 0
                                        ; implicit-def: $vgpr3
	s_and_saveexec_b32 s3, vcc_lo
	s_delay_alu instid0(SALU_CYCLE_1)
	s_xor_b32 s3, exec_lo, s3
	s_cbranch_execz .LBB14_2154
; %bb.2084:
	v_bfe_u32 v3, v2, 21, 1
	s_mov_b32 s2, exec_lo
	s_delay_alu instid0(VALU_DEP_1) | instskip(NEXT) | instid1(VALU_DEP_1)
	v_add3_u32 v3, v2, v3, 0x88fffff
	v_lshrrev_b32_e32 v3, 21, v3
	s_or_saveexec_b32 s3, s3
                                        ; implicit-def: $sgpr4
	s_delay_alu instid0(SALU_CYCLE_1)
	s_xor_b32 exec_lo, exec_lo, s3
	s_cbranch_execnz .LBB14_2155
.LBB14_2085:
	s_or_b32 exec_lo, exec_lo, s3
	v_mov_b32_e32 v4, s4
	s_and_saveexec_b32 s3, s2
.LBB14_2086:
	v_lshrrev_b32_e32 v2, 24, v2
	s_delay_alu instid0(VALU_DEP_1)
	v_and_or_b32 v4, 0x80, v2, v3
.LBB14_2087:
	s_or_b32 exec_lo, exec_lo, s3
.LBB14_2088:
	s_delay_alu instid0(SALU_CYCLE_1)
	s_or_b32 exec_lo, exec_lo, s1
	s_mov_b32 s1, 0
	global_store_b8 v[0:1], v4, off
.LBB14_2089:
	s_and_b32 vcc_lo, exec_lo, s1
	s_cbranch_vccz .LBB14_2099
; %bb.2090:
	v_cvt_f32_f64_e32 v2, v[8:9]
	s_mov_b32 s1, exec_lo
                                        ; implicit-def: $vgpr3
	s_delay_alu instid0(VALU_DEP_1) | instskip(NEXT) | instid1(VALU_DEP_1)
	v_and_b32_e32 v4, 0x7fffffff, v2
	v_cmpx_gt_u32_e32 0x43f00000, v4
	s_xor_b32 s1, exec_lo, s1
	s_cbranch_execz .LBB14_2096
; %bb.2091:
	s_mov_b32 s2, exec_lo
                                        ; implicit-def: $vgpr3
	v_cmpx_lt_u32_e32 0x3c7fffff, v4
	s_xor_b32 s2, exec_lo, s2
; %bb.2092:
	v_bfe_u32 v3, v2, 20, 1
	s_delay_alu instid0(VALU_DEP_1) | instskip(NEXT) | instid1(VALU_DEP_1)
	v_add3_u32 v3, v2, v3, 0x407ffff
	v_and_b32_e32 v4, 0xff00000, v3
	v_lshrrev_b32_e32 v3, 20, v3
	s_delay_alu instid0(VALU_DEP_2) | instskip(NEXT) | instid1(VALU_DEP_2)
	v_cmp_ne_u32_e32 vcc_lo, 0x7f00000, v4
	v_cndmask_b32_e32 v3, 0x7e, v3, vcc_lo
; %bb.2093:
	s_and_not1_saveexec_b32 s2, s2
; %bb.2094:
	v_add_f32_e64 v3, 0x46800000, |v2|
; %bb.2095:
	s_or_b32 exec_lo, exec_lo, s2
                                        ; implicit-def: $vgpr4
.LBB14_2096:
	s_and_not1_saveexec_b32 s1, s1
; %bb.2097:
	v_mov_b32_e32 v3, 0x7f
	v_cmp_lt_u32_e32 vcc_lo, 0x7f800000, v4
	s_delay_alu instid0(VALU_DEP_2)
	v_cndmask_b32_e32 v3, 0x7e, v3, vcc_lo
; %bb.2098:
	s_or_b32 exec_lo, exec_lo, s1
	v_lshrrev_b32_e32 v2, 24, v2
	s_delay_alu instid0(VALU_DEP_1)
	v_and_or_b32 v2, 0x80, v2, v3
	global_store_b8 v[0:1], v2, off
.LBB14_2099:
	s_mov_b32 s1, 0
.LBB14_2100:
	s_delay_alu instid0(SALU_CYCLE_1)
	s_and_not1_b32 vcc_lo, exec_lo, s1
	s_cbranch_vccnz .LBB14_2110
; %bb.2101:
	v_cvt_f32_f64_e32 v2, v[8:9]
	s_mov_b32 s1, exec_lo
                                        ; implicit-def: $vgpr3
	s_delay_alu instid0(VALU_DEP_1) | instskip(NEXT) | instid1(VALU_DEP_1)
	v_and_b32_e32 v4, 0x7fffffff, v2
	v_cmpx_gt_u32_e32 0x47800000, v4
	s_xor_b32 s1, exec_lo, s1
	s_cbranch_execz .LBB14_2107
; %bb.2102:
	s_mov_b32 s2, exec_lo
                                        ; implicit-def: $vgpr3
	v_cmpx_lt_u32_e32 0x387fffff, v4
	s_xor_b32 s2, exec_lo, s2
; %bb.2103:
	v_bfe_u32 v3, v2, 21, 1
	s_delay_alu instid0(VALU_DEP_1) | instskip(NEXT) | instid1(VALU_DEP_1)
	v_add3_u32 v3, v2, v3, 0x80fffff
	v_lshrrev_b32_e32 v3, 21, v3
; %bb.2104:
	s_and_not1_saveexec_b32 s2, s2
; %bb.2105:
	v_add_f32_e64 v3, 0x43000000, |v2|
; %bb.2106:
	s_or_b32 exec_lo, exec_lo, s2
                                        ; implicit-def: $vgpr4
.LBB14_2107:
	s_and_not1_saveexec_b32 s1, s1
; %bb.2108:
	v_mov_b32_e32 v3, 0x7f
	v_cmp_lt_u32_e32 vcc_lo, 0x7f800000, v4
	s_delay_alu instid0(VALU_DEP_2)
	v_cndmask_b32_e32 v3, 0x7c, v3, vcc_lo
; %bb.2109:
	s_or_b32 exec_lo, exec_lo, s1
	v_lshrrev_b32_e32 v2, 24, v2
	s_delay_alu instid0(VALU_DEP_1)
	v_and_or_b32 v2, 0x80, v2, v3
	global_store_b8 v[0:1], v2, off
.LBB14_2110:
	s_mov_b32 s1, 0
.LBB14_2111:
	s_delay_alu instid0(SALU_CYCLE_1)
	s_and_not1_b32 vcc_lo, exec_lo, s1
	s_mov_b32 s1, 0
	s_cbranch_vccnz .LBB14_2118
; %bb.2112:
	v_cmp_lt_i16_e32 vcc_lo, 14, v15
	s_mov_b32 s1, -1
	s_cbranch_vccz .LBB14_2116
; %bb.2113:
	v_cmp_eq_u16_e32 vcc_lo, 15, v15
	s_mov_b32 s0, -1
	s_cbranch_vccz .LBB14_2115
; %bb.2114:
	v_cvt_f32_f64_e32 v2, v[8:9]
	s_mov_b32 s0, 0
	s_delay_alu instid0(VALU_DEP_1) | instskip(SKIP_1) | instid1(VALU_DEP_2)
	v_bfe_u32 v3, v2, 16, 1
	v_cmp_o_f32_e32 vcc_lo, v2, v2
	v_add3_u32 v3, v2, v3, 0x7fff
	s_delay_alu instid0(VALU_DEP_1) | instskip(NEXT) | instid1(VALU_DEP_1)
	v_lshrrev_b32_e32 v3, 16, v3
	v_cndmask_b32_e32 v2, 0x7fc0, v3, vcc_lo
	global_store_b16 v[0:1], v2, off
.LBB14_2115:
	s_mov_b32 s1, 0
.LBB14_2116:
	s_delay_alu instid0(SALU_CYCLE_1)
	s_and_b32 vcc_lo, exec_lo, s1
	s_mov_b32 s1, 0
	s_cbranch_vccz .LBB14_2118
; %bb.2117:
	v_cmp_ne_u16_e64 s0, 11, v15
	s_mov_b32 s1, -1
.LBB14_2118:
	s_delay_alu instid0(VALU_DEP_1)
	s_and_b32 vcc_lo, exec_lo, s0
	s_cbranch_vccnz .LBB14_2152
.LBB14_2119:
	s_mov_b32 s0, 0
	s_branch .LBB14_1640
.LBB14_2120:
	s_mov_b32 s0, 0
	s_mov_b32 s1, 0
                                        ; implicit-def: $vgpr15
                                        ; implicit-def: $vgpr0_vgpr1
	s_branch .LBB14_1640
.LBB14_2121:
	s_mov_b32 s1, 0
	s_mov_b32 s0, -1
	s_branch .LBB14_1640
.LBB14_2122:
	s_cbranch_execnz .LBB14_2126
; %bb.2123:
	s_or_b32 s15, s15, exec_lo
                                        ; implicit-def: $vgpr6_vgpr7
	s_cbranch_execz .LBB14_1580
	s_branch .LBB14_1581
.LBB14_2124:
	s_or_saveexec_b32 s7, s7
                                        ; implicit-def: $sgpr8
	s_delay_alu instid0(SALU_CYCLE_1)
	s_xor_b32 exec_lo, exec_lo, s7
	s_cbranch_execz .LBB14_1715
.LBB14_2125:
	v_add_f32_e64 v3, 0x46000000, |v2|
	s_and_not1_b32 s6, s6, exec_lo
	s_mov_b32 s8, 0
	s_delay_alu instid0(VALU_DEP_1) | instskip(NEXT) | instid1(VALU_DEP_1)
	v_and_b32_e32 v3, 0xff, v3
	v_cmp_ne_u32_e32 vcc_lo, 0, v3
	s_and_b32 s9, vcc_lo, exec_lo
	s_delay_alu instid0(SALU_CYCLE_1)
	s_or_b32 s6, s6, s9
	s_or_b32 exec_lo, exec_lo, s7
	v_mov_b32_e32 v13, s8
	s_and_saveexec_b32 s7, s6
	s_cbranch_execnz .LBB14_1716
	s_branch .LBB14_1717
.LBB14_2126:
	s_trap 2
	s_sendmsg_rtn_b32 s0, sendmsg(MSG_RTN_GET_DOORBELL)
	s_mov_b32 ttmp2, m0
	s_waitcnt lgkmcnt(0)
	s_and_b32 s0, s0, 0x3ff
	s_delay_alu instid0(SALU_CYCLE_1) | instskip(NEXT) | instid1(SALU_CYCLE_1)
	s_bitset1_b32 s0, 10
	s_mov_b32 m0, s0
	s_sendmsg sendmsg(MSG_INTERRUPT)
	s_mov_b32 m0, ttmp2
.LBB14_2127:                            ; =>This Inner Loop Header: Depth=1
	s_sethalt 5
	s_branch .LBB14_2127
.LBB14_2128:
	s_cbranch_execnz .LBB14_2134
; %bb.2129:
	s_or_b32 s15, s15, exec_lo
	s_cbranch_execz .LBB14_1763
	s_branch .LBB14_1764
.LBB14_2130:
	s_or_saveexec_b32 s6, s6
                                        ; implicit-def: $sgpr7
	s_delay_alu instid0(SALU_CYCLE_1)
	s_xor_b32 exec_lo, exec_lo, s6
	s_cbranch_execz .LBB14_1728
.LBB14_2131:
	v_add_f32_e64 v3, 0x42800000, |v2|
	s_and_not1_b32 s3, s3, exec_lo
	s_mov_b32 s7, 0
	s_delay_alu instid0(VALU_DEP_1) | instskip(NEXT) | instid1(VALU_DEP_1)
	v_and_b32_e32 v3, 0xff, v3
	v_cmp_ne_u32_e32 vcc_lo, 0, v3
	s_and_b32 s8, vcc_lo, exec_lo
	s_delay_alu instid0(SALU_CYCLE_1)
	s_or_b32 s3, s3, s8
	s_or_b32 exec_lo, exec_lo, s6
	v_mov_b32_e32 v13, s7
	s_and_saveexec_b32 s6, s3
	s_cbranch_execnz .LBB14_1729
	s_branch .LBB14_1730
.LBB14_2132:
	s_or_saveexec_b32 s7, s7
                                        ; implicit-def: $sgpr8
	s_delay_alu instid0(SALU_CYCLE_1)
	s_xor_b32 exec_lo, exec_lo, s7
	s_cbranch_execz .LBB14_1834
.LBB14_2133:
	v_add_f32_e64 v6, 0x46000000, |v3|
	s_and_not1_b32 s6, s6, exec_lo
	s_mov_b32 s8, 0
	s_delay_alu instid0(VALU_DEP_1) | instskip(NEXT) | instid1(VALU_DEP_1)
	v_and_b32_e32 v6, 0xff, v6
	v_cmp_ne_u32_e32 vcc_lo, 0, v6
	s_and_b32 s9, vcc_lo, exec_lo
	s_delay_alu instid0(SALU_CYCLE_1)
	s_or_b32 s6, s6, s9
	s_or_b32 exec_lo, exec_lo, s7
	v_mov_b32_e32 v7, s8
	s_and_saveexec_b32 s7, s6
	s_cbranch_execnz .LBB14_1835
	s_branch .LBB14_1836
.LBB14_2134:
	s_trap 2
	s_sendmsg_rtn_b32 s0, sendmsg(MSG_RTN_GET_DOORBELL)
	s_mov_b32 ttmp2, m0
	s_waitcnt lgkmcnt(0)
	s_and_b32 s0, s0, 0x3ff
	s_delay_alu instid0(SALU_CYCLE_1) | instskip(NEXT) | instid1(SALU_CYCLE_1)
	s_bitset1_b32 s0, 10
	s_mov_b32 m0, s0
	s_sendmsg sendmsg(MSG_INTERRUPT)
	s_mov_b32 m0, ttmp2
.LBB14_2135:                            ; =>This Inner Loop Header: Depth=1
	s_sethalt 5
	s_branch .LBB14_2135
.LBB14_2136:
	s_cbranch_execnz .LBB14_2142
; %bb.2137:
	s_or_b32 s15, s15, exec_lo
	s_cbranch_execz .LBB14_1882
	s_branch .LBB14_1883
.LBB14_2138:
	s_or_saveexec_b32 s6, s6
                                        ; implicit-def: $sgpr7
	s_delay_alu instid0(SALU_CYCLE_1)
	s_xor_b32 exec_lo, exec_lo, s6
	s_cbranch_execz .LBB14_1847
.LBB14_2139:
	v_add_f32_e64 v6, 0x42800000, |v3|
	s_and_not1_b32 s3, s3, exec_lo
	s_mov_b32 s7, 0
	s_delay_alu instid0(VALU_DEP_1) | instskip(NEXT) | instid1(VALU_DEP_1)
	v_and_b32_e32 v6, 0xff, v6
	v_cmp_ne_u32_e32 vcc_lo, 0, v6
	s_and_b32 s8, vcc_lo, exec_lo
	s_delay_alu instid0(SALU_CYCLE_1)
	s_or_b32 s3, s3, s8
	s_or_b32 exec_lo, exec_lo, s6
	v_mov_b32_e32 v7, s7
	s_and_saveexec_b32 s6, s3
	s_cbranch_execnz .LBB14_1848
	s_branch .LBB14_1849
.LBB14_2140:
	s_or_saveexec_b32 s7, s7
                                        ; implicit-def: $sgpr8
	s_delay_alu instid0(SALU_CYCLE_1)
	s_xor_b32 exec_lo, exec_lo, s7
	s_cbranch_execz .LBB14_1953
.LBB14_2141:
	v_add_f32_e64 v4, 0x46000000, |v3|
	s_and_not1_b32 s6, s6, exec_lo
	s_mov_b32 s8, 0
	s_delay_alu instid0(VALU_DEP_1) | instskip(NEXT) | instid1(VALU_DEP_1)
	v_and_b32_e32 v4, 0xff, v4
	v_cmp_ne_u32_e32 vcc_lo, 0, v4
	s_and_b32 s9, vcc_lo, exec_lo
	s_delay_alu instid0(SALU_CYCLE_1)
	s_or_b32 s6, s6, s9
	s_or_b32 exec_lo, exec_lo, s7
	v_mov_b32_e32 v5, s8
	s_and_saveexec_b32 s7, s6
	s_cbranch_execnz .LBB14_1954
	s_branch .LBB14_1955
.LBB14_2142:
	s_trap 2
	s_sendmsg_rtn_b32 s0, sendmsg(MSG_RTN_GET_DOORBELL)
	s_mov_b32 ttmp2, m0
	s_waitcnt lgkmcnt(0)
	s_and_b32 s0, s0, 0x3ff
	s_delay_alu instid0(SALU_CYCLE_1) | instskip(NEXT) | instid1(SALU_CYCLE_1)
	s_bitset1_b32 s0, 10
	s_mov_b32 m0, s0
	s_sendmsg sendmsg(MSG_INTERRUPT)
	s_mov_b32 m0, ttmp2
.LBB14_2143:                            ; =>This Inner Loop Header: Depth=1
	s_sethalt 5
	s_branch .LBB14_2143
.LBB14_2144:
	s_cbranch_execnz .LBB14_2150
; %bb.2145:
	s_or_b32 s15, s15, exec_lo
	s_cbranch_execz .LBB14_2001
	s_branch .LBB14_2002
.LBB14_2146:
	s_or_saveexec_b32 s6, s6
                                        ; implicit-def: $sgpr7
	s_delay_alu instid0(SALU_CYCLE_1)
	s_xor_b32 exec_lo, exec_lo, s6
	s_cbranch_execz .LBB14_1966
.LBB14_2147:
	v_add_f32_e64 v4, 0x42800000, |v3|
	s_and_not1_b32 s3, s3, exec_lo
	s_mov_b32 s7, 0
	s_delay_alu instid0(VALU_DEP_1) | instskip(NEXT) | instid1(VALU_DEP_1)
	v_and_b32_e32 v4, 0xff, v4
	v_cmp_ne_u32_e32 vcc_lo, 0, v4
	s_and_b32 s8, vcc_lo, exec_lo
	s_delay_alu instid0(SALU_CYCLE_1)
	s_or_b32 s3, s3, s8
	s_or_b32 exec_lo, exec_lo, s6
	v_mov_b32_e32 v5, s7
	s_and_saveexec_b32 s6, s3
	s_cbranch_execnz .LBB14_1967
	s_branch .LBB14_1968
.LBB14_2148:
	s_or_saveexec_b32 s4, s4
                                        ; implicit-def: $sgpr5
	s_delay_alu instid0(SALU_CYCLE_1)
	s_xor_b32 exec_lo, exec_lo, s4
	s_cbranch_execz .LBB14_2073
.LBB14_2149:
	v_add_f32_e64 v3, 0x46000000, |v2|
	s_and_not1_b32 s3, s3, exec_lo
	s_mov_b32 s5, 0
	s_delay_alu instid0(VALU_DEP_1) | instskip(NEXT) | instid1(VALU_DEP_1)
	v_and_b32_e32 v3, 0xff, v3
	v_cmp_ne_u32_e32 vcc_lo, 0, v3
	s_and_b32 s6, vcc_lo, exec_lo
	s_delay_alu instid0(SALU_CYCLE_1)
	s_or_b32 s3, s3, s6
	s_or_b32 exec_lo, exec_lo, s4
	v_mov_b32_e32 v4, s5
	s_and_saveexec_b32 s4, s3
	s_cbranch_execnz .LBB14_2074
	s_branch .LBB14_2075
.LBB14_2150:
	s_trap 2
	s_sendmsg_rtn_b32 s0, sendmsg(MSG_RTN_GET_DOORBELL)
	s_mov_b32 ttmp2, m0
	s_waitcnt lgkmcnt(0)
	s_and_b32 s0, s0, 0x3ff
	s_delay_alu instid0(SALU_CYCLE_1) | instskip(NEXT) | instid1(SALU_CYCLE_1)
	s_bitset1_b32 s0, 10
	s_mov_b32 m0, s0
	s_sendmsg sendmsg(MSG_INTERRUPT)
	s_mov_b32 m0, ttmp2
.LBB14_2151:                            ; =>This Inner Loop Header: Depth=1
	s_sethalt 5
	s_branch .LBB14_2151
.LBB14_2152:
	s_cbranch_execnz .LBB14_2156
; %bb.2153:
	s_mov_b32 s1, 0
	s_or_b32 s15, s15, exec_lo
	s_branch .LBB14_2119
.LBB14_2154:
	s_or_saveexec_b32 s3, s3
                                        ; implicit-def: $sgpr4
	s_delay_alu instid0(SALU_CYCLE_1)
	s_xor_b32 exec_lo, exec_lo, s3
	s_cbranch_execz .LBB14_2085
.LBB14_2155:
	v_add_f32_e64 v3, 0x42800000, |v2|
	s_and_not1_b32 s2, s2, exec_lo
	s_mov_b32 s4, 0
	s_delay_alu instid0(VALU_DEP_1) | instskip(NEXT) | instid1(VALU_DEP_1)
	v_and_b32_e32 v3, 0xff, v3
	v_cmp_ne_u32_e32 vcc_lo, 0, v3
	s_and_b32 s5, vcc_lo, exec_lo
	s_delay_alu instid0(SALU_CYCLE_1)
	s_or_b32 s2, s2, s5
	s_or_b32 exec_lo, exec_lo, s3
	v_mov_b32_e32 v4, s4
	s_and_saveexec_b32 s3, s2
	s_cbranch_execnz .LBB14_2086
	s_branch .LBB14_2087
.LBB14_2156:
	s_trap 2
	s_sendmsg_rtn_b32 s0, sendmsg(MSG_RTN_GET_DOORBELL)
	s_mov_b32 ttmp2, m0
	s_waitcnt lgkmcnt(0)
	s_and_b32 s0, s0, 0x3ff
	s_delay_alu instid0(SALU_CYCLE_1) | instskip(NEXT) | instid1(SALU_CYCLE_1)
	s_bitset1_b32 s0, 10
	s_mov_b32 m0, s0
	s_sendmsg sendmsg(MSG_INTERRUPT)
	s_mov_b32 m0, ttmp2
.LBB14_2157:                            ; =>This Inner Loop Header: Depth=1
	s_sethalt 5
	s_branch .LBB14_2157
	.section	.rodata,"a",@progbits
	.p2align	6, 0x0
	.amdhsa_kernel _ZN2at6native32elementwise_kernel_manual_unrollILi128ELi4EZNS0_15gpu_kernel_implINS0_13BUnaryFunctorIdddZZZNS0_12_GLOBAL__N_132hermite_polynomial_h_kernel_cudaERNS_18TensorIteratorBaseEENKUlvE_clEvENKUlvE_clEvEUlddE_EEEEvS6_RKT_EUlibE_EEviT1_
		.amdhsa_group_segment_fixed_size 0
		.amdhsa_private_segment_fixed_size 0
		.amdhsa_kernarg_size 56
		.amdhsa_user_sgpr_count 15
		.amdhsa_user_sgpr_dispatch_ptr 0
		.amdhsa_user_sgpr_queue_ptr 0
		.amdhsa_user_sgpr_kernarg_segment_ptr 1
		.amdhsa_user_sgpr_dispatch_id 0
		.amdhsa_user_sgpr_private_segment_size 0
		.amdhsa_wavefront_size32 1
		.amdhsa_uses_dynamic_stack 0
		.amdhsa_enable_private_segment 0
		.amdhsa_system_sgpr_workgroup_id_x 1
		.amdhsa_system_sgpr_workgroup_id_y 0
		.amdhsa_system_sgpr_workgroup_id_z 0
		.amdhsa_system_sgpr_workgroup_info 0
		.amdhsa_system_vgpr_workitem_id 0
		.amdhsa_next_free_vgpr 20
		.amdhsa_next_free_sgpr 35
		.amdhsa_reserve_vcc 1
		.amdhsa_float_round_mode_32 0
		.amdhsa_float_round_mode_16_64 0
		.amdhsa_float_denorm_mode_32 3
		.amdhsa_float_denorm_mode_16_64 3
		.amdhsa_dx10_clamp 1
		.amdhsa_ieee_mode 1
		.amdhsa_fp16_overflow 0
		.amdhsa_workgroup_processor_mode 1
		.amdhsa_memory_ordered 1
		.amdhsa_forward_progress 0
		.amdhsa_shared_vgpr_count 0
		.amdhsa_exception_fp_ieee_invalid_op 0
		.amdhsa_exception_fp_denorm_src 0
		.amdhsa_exception_fp_ieee_div_zero 0
		.amdhsa_exception_fp_ieee_overflow 0
		.amdhsa_exception_fp_ieee_underflow 0
		.amdhsa_exception_fp_ieee_inexact 0
		.amdhsa_exception_int_div_zero 0
	.end_amdhsa_kernel
	.section	.text._ZN2at6native32elementwise_kernel_manual_unrollILi128ELi4EZNS0_15gpu_kernel_implINS0_13BUnaryFunctorIdddZZZNS0_12_GLOBAL__N_132hermite_polynomial_h_kernel_cudaERNS_18TensorIteratorBaseEENKUlvE_clEvENKUlvE_clEvEUlddE_EEEEvS6_RKT_EUlibE_EEviT1_,"axG",@progbits,_ZN2at6native32elementwise_kernel_manual_unrollILi128ELi4EZNS0_15gpu_kernel_implINS0_13BUnaryFunctorIdddZZZNS0_12_GLOBAL__N_132hermite_polynomial_h_kernel_cudaERNS_18TensorIteratorBaseEENKUlvE_clEvENKUlvE_clEvEUlddE_EEEEvS6_RKT_EUlibE_EEviT1_,comdat
.Lfunc_end14:
	.size	_ZN2at6native32elementwise_kernel_manual_unrollILi128ELi4EZNS0_15gpu_kernel_implINS0_13BUnaryFunctorIdddZZZNS0_12_GLOBAL__N_132hermite_polynomial_h_kernel_cudaERNS_18TensorIteratorBaseEENKUlvE_clEvENKUlvE_clEvEUlddE_EEEEvS6_RKT_EUlibE_EEviT1_, .Lfunc_end14-_ZN2at6native32elementwise_kernel_manual_unrollILi128ELi4EZNS0_15gpu_kernel_implINS0_13BUnaryFunctorIdddZZZNS0_12_GLOBAL__N_132hermite_polynomial_h_kernel_cudaERNS_18TensorIteratorBaseEENKUlvE_clEvENKUlvE_clEvEUlddE_EEEEvS6_RKT_EUlibE_EEviT1_
                                        ; -- End function
	.section	.AMDGPU.csdata,"",@progbits
; Kernel info:
; codeLenInByte = 37568
; NumSgprs: 37
; NumVgprs: 20
; ScratchSize: 0
; MemoryBound: 1
; FloatMode: 240
; IeeeMode: 1
; LDSByteSize: 0 bytes/workgroup (compile time only)
; SGPRBlocks: 4
; VGPRBlocks: 2
; NumSGPRsForWavesPerEU: 37
; NumVGPRsForWavesPerEU: 20
; Occupancy: 16
; WaveLimiterHint : 0
; COMPUTE_PGM_RSRC2:SCRATCH_EN: 0
; COMPUTE_PGM_RSRC2:USER_SGPR: 15
; COMPUTE_PGM_RSRC2:TRAP_HANDLER: 0
; COMPUTE_PGM_RSRC2:TGID_X_EN: 1
; COMPUTE_PGM_RSRC2:TGID_Y_EN: 0
; COMPUTE_PGM_RSRC2:TGID_Z_EN: 0
; COMPUTE_PGM_RSRC2:TIDIG_COMP_CNT: 0
	.section	.text._ZN2at6native32elementwise_kernel_manual_unrollILi128ELi4EZNS0_15gpu_kernel_implINS0_13BUnaryFunctorIdddZZZNS0_12_GLOBAL__N_132hermite_polynomial_h_kernel_cudaERNS_18TensorIteratorBaseEENKUlvE_clEvENKUlvE_clEvEUlddE_EEEEvS6_RKT_EUlibE0_EEviT1_,"axG",@progbits,_ZN2at6native32elementwise_kernel_manual_unrollILi128ELi4EZNS0_15gpu_kernel_implINS0_13BUnaryFunctorIdddZZZNS0_12_GLOBAL__N_132hermite_polynomial_h_kernel_cudaERNS_18TensorIteratorBaseEENKUlvE_clEvENKUlvE_clEvEUlddE_EEEEvS6_RKT_EUlibE0_EEviT1_,comdat
	.globl	_ZN2at6native32elementwise_kernel_manual_unrollILi128ELi4EZNS0_15gpu_kernel_implINS0_13BUnaryFunctorIdddZZZNS0_12_GLOBAL__N_132hermite_polynomial_h_kernel_cudaERNS_18TensorIteratorBaseEENKUlvE_clEvENKUlvE_clEvEUlddE_EEEEvS6_RKT_EUlibE0_EEviT1_ ; -- Begin function _ZN2at6native32elementwise_kernel_manual_unrollILi128ELi4EZNS0_15gpu_kernel_implINS0_13BUnaryFunctorIdddZZZNS0_12_GLOBAL__N_132hermite_polynomial_h_kernel_cudaERNS_18TensorIteratorBaseEENKUlvE_clEvENKUlvE_clEvEUlddE_EEEEvS6_RKT_EUlibE0_EEviT1_
	.p2align	8
	.type	_ZN2at6native32elementwise_kernel_manual_unrollILi128ELi4EZNS0_15gpu_kernel_implINS0_13BUnaryFunctorIdddZZZNS0_12_GLOBAL__N_132hermite_polynomial_h_kernel_cudaERNS_18TensorIteratorBaseEENKUlvE_clEvENKUlvE_clEvEUlddE_EEEEvS6_RKT_EUlibE0_EEviT1_,@function
_ZN2at6native32elementwise_kernel_manual_unrollILi128ELi4EZNS0_15gpu_kernel_implINS0_13BUnaryFunctorIdddZZZNS0_12_GLOBAL__N_132hermite_polynomial_h_kernel_cudaERNS_18TensorIteratorBaseEENKUlvE_clEvENKUlvE_clEvEUlddE_EEEEvS6_RKT_EUlibE0_EEviT1_: ; @_ZN2at6native32elementwise_kernel_manual_unrollILi128ELi4EZNS0_15gpu_kernel_implINS0_13BUnaryFunctorIdddZZZNS0_12_GLOBAL__N_132hermite_polynomial_h_kernel_cudaERNS_18TensorIteratorBaseEENKUlvE_clEvENKUlvE_clEvEUlddE_EEEEvS6_RKT_EUlibE0_EEviT1_
; %bb.0:
	s_clause 0x1
	s_load_b32 s28, s[0:1], 0x8
	s_load_b32 s38, s[0:1], 0x0
	v_lshl_or_b32 v10, s15, 9, v0
	s_or_b32 s16, s0, 8
	s_mov_b32 s3, -1
	s_mov_b32 s30, 0
	s_mov_b32 s17, s1
	v_or_b32_e32 v5, 0x180, v10
	s_mov_b32 s10, 0
	s_mov_b32 s2, exec_lo
	s_waitcnt lgkmcnt(0)
	s_add_i32 s29, s28, -1
	s_delay_alu instid0(SALU_CYCLE_1)
	s_cmp_gt_u32 s29, 1
	s_cselect_b32 s31, -1, 0
	v_cmpx_le_i32_e64 s38, v5
	s_xor_b32 s33, exec_lo, s2
	s_cbranch_execz .LBB15_1116
; %bb.1:
	s_clause 0x1
	s_load_b64 s[4:5], s[16:17], 0x160
	s_load_b32 s34, s[16:17], 0x168
	s_cmp_lg_u32 s28, 0
	s_mov_b32 s44, 0
	s_cselect_b32 s40, -1, 0
	s_add_u32 s24, s16, 0xc4
	s_addc_u32 s25, s17, 0
	s_min_u32 s39, s29, 15
	s_cmp_gt_u32 s28, 1
	s_mov_b32 s42, 0
	s_cselect_b32 s37, -1, 0
	s_mov_b32 s41, 0
	s_mov_b32 s43, exec_lo
	s_waitcnt lgkmcnt(0)
	v_trunc_f64_e32 v[0:1], s[4:5]
	v_cmp_class_f64_e64 s2, s[4:5], 0x1f8
	s_clause 0x3
	s_load_b128 s[12:15], s[16:17], 0x4
	s_load_b64 s[22:23], s[16:17], 0x14
	s_load_b128 s[8:11], s[16:17], 0xc4
	s_load_b128 s[4:7], s[16:17], 0x148
	v_lshrrev_b16 v9, 8, s34
	s_delay_alu instid0(VALU_DEP_3) | instskip(NEXT) | instid1(VALU_DEP_3)
	v_ldexp_f64 v[2:3], v[0:1], 0xffffffe0
	s_and_b32 s2, s2, exec_lo
	s_delay_alu instid0(VALU_DEP_1) | instskip(NEXT) | instid1(VALU_DEP_1)
	v_floor_f64_e32 v[2:3], v[2:3]
	v_fma_f64 v[0:1], 0xc1f00000, v[2:3], v[0:1]
	v_cvt_i32_f64_e32 v2, v[2:3]
	s_delay_alu instid0(VALU_DEP_2) | instskip(NEXT) | instid1(VALU_DEP_2)
	v_cvt_u32_f64_e32 v0, v[0:1]
	v_readfirstlane_b32 s18, v2
	s_delay_alu instid0(VALU_DEP_1) | instskip(NEXT) | instid1(VALU_DEP_2)
	s_cselect_b32 s21, s18, -1
	v_readfirstlane_b32 s19, v0
	s_delay_alu instid0(VALU_DEP_1) | instskip(NEXT) | instid1(SALU_CYCLE_1)
	s_cselect_b32 s20, s19, -1
	v_cmp_gt_i64_e64 s36, s[20:21], -1
	v_cmp_gt_u64_e64 s35, 0x201, s[20:21]
	s_lshl_b64 s[18:19], s[20:21], 1
	v_cmpx_gt_i32_e64 s38, v10
	s_cbranch_execz .LBB15_273
; %bb.2:
	s_and_not1_b32 vcc_lo, exec_lo, s31
	s_cbranch_vccnz .LBB15_7
; %bb.3:
	v_mov_b32_e32 v2, 0
	v_mov_b32_e32 v0, 0
	s_and_not1_b32 vcc_lo, exec_lo, s40
	s_cbranch_vccnz .LBB15_12
; %bb.4:
	v_mov_b32_e32 v2, 0
	s_add_i32 s45, s39, 1
	s_cmp_eq_u32 s29, 2
	s_cbranch_scc1 .LBB15_8
; %bb.5:
	v_dual_mov_b32 v0, 0 :: v_dual_mov_b32 v1, v10
	v_mov_b32_e32 v2, 0
	s_and_b32 s42, s45, 28
	s_mov_b32 s46, 0
	s_mov_b64 s[2:3], s[24:25]
	s_mov_b64 s[26:27], s[16:17]
.LBB15_6:                               ; =>This Inner Loop Header: Depth=1
	s_clause 0x1
	s_load_b256 s[48:55], s[26:27], 0x4
	s_load_b128 s[64:67], s[26:27], 0x24
	s_load_b256 s[56:63], s[2:3], 0x0
	s_add_u32 s26, s26, 48
	s_addc_u32 s27, s27, 0
	s_add_i32 s46, s46, 4
	s_add_u32 s2, s2, 32
	s_addc_u32 s3, s3, 0
	s_cmp_lg_u32 s42, s46
	s_waitcnt lgkmcnt(0)
	v_mul_hi_u32 v3, s49, v1
	s_delay_alu instid0(VALU_DEP_1) | instskip(NEXT) | instid1(VALU_DEP_1)
	v_add_nc_u32_e32 v3, v1, v3
	v_lshrrev_b32_e32 v3, s50, v3
	s_delay_alu instid0(VALU_DEP_1) | instskip(SKIP_1) | instid1(VALU_DEP_2)
	v_mul_hi_u32 v4, s52, v3
	v_mul_lo_u32 v6, v3, s48
	v_add_nc_u32_e32 v4, v3, v4
	s_delay_alu instid0(VALU_DEP_2) | instskip(NEXT) | instid1(VALU_DEP_2)
	v_sub_nc_u32_e32 v1, v1, v6
	v_lshrrev_b32_e32 v4, s53, v4
	s_delay_alu instid0(VALU_DEP_2) | instskip(SKIP_1) | instid1(VALU_DEP_3)
	v_mul_lo_u32 v6, v1, s56
	v_mul_lo_u32 v8, v1, s57
	v_mul_hi_u32 v5, s55, v4
	s_delay_alu instid0(VALU_DEP_1) | instskip(NEXT) | instid1(VALU_DEP_1)
	v_add_nc_u32_e32 v5, v4, v5
	v_lshrrev_b32_e32 v5, s64, v5
	s_delay_alu instid0(VALU_DEP_1) | instskip(SKIP_1) | instid1(VALU_DEP_2)
	v_mul_hi_u32 v7, s66, v5
	v_mul_lo_u32 v11, v5, s54
	v_add_nc_u32_e32 v1, v5, v7
	v_mul_lo_u32 v7, v4, s51
	s_delay_alu instid0(VALU_DEP_3) | instskip(NEXT) | instid1(VALU_DEP_3)
	v_sub_nc_u32_e32 v4, v4, v11
	v_lshrrev_b32_e32 v1, s67, v1
	s_delay_alu instid0(VALU_DEP_2) | instskip(SKIP_2) | instid1(VALU_DEP_4)
	v_mul_lo_u32 v11, v4, s60
	v_mul_lo_u32 v4, v4, s61
	v_sub_nc_u32_e32 v3, v3, v7
	v_mul_lo_u32 v12, v1, s65
	s_delay_alu instid0(VALU_DEP_2) | instskip(SKIP_1) | instid1(VALU_DEP_3)
	v_mul_lo_u32 v7, v3, s58
	v_mul_lo_u32 v3, v3, s59
	v_sub_nc_u32_e32 v5, v5, v12
	s_delay_alu instid0(VALU_DEP_3) | instskip(NEXT) | instid1(VALU_DEP_2)
	v_add3_u32 v2, v6, v2, v7
	v_mul_lo_u32 v12, v5, s62
	v_mul_lo_u32 v5, v5, s63
	v_add3_u32 v0, v8, v0, v3
	s_delay_alu instid0(VALU_DEP_3) | instskip(NEXT) | instid1(VALU_DEP_2)
	v_add3_u32 v2, v11, v2, v12
	v_add3_u32 v0, v4, v0, v5
	s_cbranch_scc1 .LBB15_6
	s_branch .LBB15_9
.LBB15_7:
	s_mov_b32 s41, -1
                                        ; implicit-def: $vgpr2
                                        ; implicit-def: $vgpr0
	s_branch .LBB15_12
.LBB15_8:
	v_dual_mov_b32 v1, v10 :: v_dual_mov_b32 v0, 0
.LBB15_9:
	s_and_b32 s45, s45, 3
	s_delay_alu instid0(SALU_CYCLE_1)
	s_cmp_eq_u32 s45, 0
	s_cbranch_scc1 .LBB15_12
; %bb.10:
	s_lshl_b32 s2, s42, 3
	s_mul_i32 s26, s42, 12
	s_add_u32 s2, s2, s16
	s_addc_u32 s3, s17, 0
	s_add_u32 s2, s2, 0xc4
	s_addc_u32 s3, s3, 0
	;; [unrolled: 2-line block ×3, first 2 shown]
	.p2align	6
.LBB15_11:                              ; =>This Inner Loop Header: Depth=1
	s_clause 0x1
	s_load_b64 s[46:47], s[26:27], 0x4
	s_load_b32 s42, s[26:27], 0xc
	s_load_b64 s[48:49], s[2:3], 0x0
	s_add_u32 s26, s26, 12
	s_addc_u32 s27, s27, 0
	s_add_u32 s2, s2, 8
	s_addc_u32 s3, s3, 0
	s_add_i32 s45, s45, -1
	s_delay_alu instid0(SALU_CYCLE_1) | instskip(SKIP_2) | instid1(VALU_DEP_1)
	s_cmp_lg_u32 s45, 0
	s_waitcnt lgkmcnt(0)
	v_mul_hi_u32 v3, s47, v1
	v_add_nc_u32_e32 v3, v1, v3
	s_delay_alu instid0(VALU_DEP_1) | instskip(NEXT) | instid1(VALU_DEP_1)
	v_lshrrev_b32_e32 v6, s42, v3
	v_mul_lo_u32 v3, v6, s46
	s_delay_alu instid0(VALU_DEP_1) | instskip(NEXT) | instid1(VALU_DEP_1)
	v_sub_nc_u32_e32 v1, v1, v3
	v_mad_u64_u32 v[3:4], null, v1, s48, v[2:3]
	v_mad_u64_u32 v[4:5], null, v1, s49, v[0:1]
	s_delay_alu instid0(VALU_DEP_2) | instskip(NEXT) | instid1(VALU_DEP_2)
	v_dual_mov_b32 v1, v6 :: v_dual_mov_b32 v2, v3
	v_mov_b32_e32 v0, v4
	s_cbranch_scc1 .LBB15_11
.LBB15_12:
	s_and_not1_b32 vcc_lo, exec_lo, s41
	s_cbranch_vccnz .LBB15_15
; %bb.13:
	s_waitcnt lgkmcnt(0)
	v_mul_hi_u32 v0, s13, v10
	s_and_not1_b32 vcc_lo, exec_lo, s37
	s_delay_alu instid0(VALU_DEP_1) | instskip(NEXT) | instid1(VALU_DEP_1)
	v_add_nc_u32_e32 v0, v10, v0
	v_lshrrev_b32_e32 v1, s14, v0
	s_delay_alu instid0(VALU_DEP_1) | instskip(NEXT) | instid1(VALU_DEP_1)
	v_mul_lo_u32 v0, v1, s12
	v_sub_nc_u32_e32 v0, v10, v0
	s_delay_alu instid0(VALU_DEP_1)
	v_mul_lo_u32 v2, v0, s8
	v_mul_lo_u32 v0, v0, s9
	s_cbranch_vccnz .LBB15_15
; %bb.14:
	v_mul_hi_u32 v3, s22, v1
	s_delay_alu instid0(VALU_DEP_1) | instskip(NEXT) | instid1(VALU_DEP_1)
	v_add_nc_u32_e32 v3, v1, v3
	v_lshrrev_b32_e32 v3, s23, v3
	s_delay_alu instid0(VALU_DEP_1) | instskip(NEXT) | instid1(VALU_DEP_1)
	v_mul_lo_u32 v3, v3, s15
	v_sub_nc_u32_e32 v5, v1, v3
	s_delay_alu instid0(VALU_DEP_1) | instskip(SKIP_1) | instid1(VALU_DEP_2)
	v_mad_u64_u32 v[3:4], null, v5, s10, v[2:3]
	v_mad_u64_u32 v[1:2], null, v5, s11, v[0:1]
	v_mov_b32_e32 v2, v3
	s_delay_alu instid0(VALU_DEP_2)
	v_mov_b32_e32 v0, v1
.LBB15_15:
	v_cmp_gt_i16_e32 vcc_lo, 11, v9
	s_waitcnt lgkmcnt(0)
	s_delay_alu instid0(VALU_DEP_2) | instskip(NEXT) | instid1(VALU_DEP_1)
	v_add_co_u32 v0, s2, s6, v0
	v_add_co_ci_u32_e64 v1, null, s7, 0, s2
	s_mov_b32 s26, 0
	s_cbranch_vccnz .LBB15_22
; %bb.16:
	v_cmp_lt_i16_e32 vcc_lo, 25, v9
	s_cbranch_vccz .LBB15_31
; %bb.17:
	v_cmp_lt_i16_e32 vcc_lo, 28, v9
	s_cbranch_vccz .LBB15_32
	;; [unrolled: 3-line block ×4, first 2 shown]
; %bb.20:
	v_cmp_eq_u16_e32 vcc_lo, 46, v9
	s_mov_b32 s3, 0
	s_cbranch_vccz .LBB15_155
; %bb.21:
	global_load_b32 v3, v[0:1], off
	s_mov_b32 s2, -1
	s_waitcnt vmcnt(0)
	v_lshlrev_b32_e32 v3, 16, v3
	s_delay_alu instid0(VALU_DEP_1)
	v_cvt_f64_f32_e32 v[3:4], v3
	s_branch .LBB15_157
.LBB15_22:
	s_mov_b32 s2, 0
                                        ; implicit-def: $vgpr3_vgpr4
	s_cbranch_execnz .LBB15_223
.LBB15_23:
	s_and_not1_b32 vcc_lo, exec_lo, s2
	s_cbranch_vccnz .LBB15_270
.LBB15_24:
	v_mov_b32_e32 v0, 0
	v_mov_b32_e32 v1, 0
	s_and_not1_b32 vcc_lo, exec_lo, s36
	s_cbranch_vccnz .LBB15_37
; %bb.25:
	v_cmp_lt_i64_e64 s2, s[20:21], 1
	v_mov_b32_e32 v0, 0
	v_mov_b32_e32 v1, 0x3ff00000
	s_delay_alu instid0(VALU_DEP_3)
	s_and_b32 vcc_lo, exec_lo, s2
	s_cbranch_vccnz .LBB15_37
; %bb.26:
	s_cmp_lg_u64 s[20:21], 1
	s_cbranch_scc0 .LBB15_34
; %bb.27:
	v_mov_b32_e32 v0, 0
	v_mov_b32_e32 v1, 0x7ff80000
	s_and_not1_b32 vcc_lo, exec_lo, s35
	s_cbranch_vccnz .LBB15_30
; %bb.28:
	s_waitcnt vmcnt(0)
	v_add_f64 v[5:6], v[3:4], v[3:4]
	v_mov_b32_e32 v7, 0
	v_mov_b32_e32 v8, 0x3ff00000
	s_mov_b64 s[2:3], 2
	s_delay_alu instid0(VALU_DEP_3)
	v_dual_mov_b32 v0, v5 :: v_dual_mov_b32 v1, v6
	.p2align	6
.LBB15_29:                              ; =>This Inner Loop Header: Depth=1
	v_cvt_f64_u32_e32 v[11:12], s3
	v_cvt_f64_u32_e32 v[13:14], s2
	s_add_u32 s2, s2, 2
	s_addc_u32 s3, s3, 0
	s_delay_alu instid0(SALU_CYCLE_1) | instskip(NEXT) | instid1(VALU_DEP_1)
	v_cmp_lt_u64_e64 s27, s[2:3], s[18:19]
	s_and_b32 vcc_lo, exec_lo, s27
	s_delay_alu instid0(VALU_DEP_3) | instskip(NEXT) | instid1(VALU_DEP_1)
	v_ldexp_f64 v[11:12], v[11:12], 32
	v_add_f64 v[11:12], v[11:12], v[13:14]
	s_delay_alu instid0(VALU_DEP_1) | instskip(SKIP_1) | instid1(VALU_DEP_1)
	v_mul_f64 v[7:8], v[7:8], v[11:12]
	v_dual_mov_b32 v12, v1 :: v_dual_mov_b32 v11, v0
	v_fma_f64 v[0:1], v[5:6], v[11:12], -v[7:8]
	v_dual_mov_b32 v7, v11 :: v_dual_mov_b32 v8, v12
	s_cbranch_vccnz .LBB15_29
.LBB15_30:
	s_mov_b32 s2, 0
	s_branch .LBB15_35
.LBB15_31:
	s_mov_b32 s2, 0
                                        ; implicit-def: $vgpr3_vgpr4
	s_cbranch_execnz .LBB15_190
	s_branch .LBB15_222
.LBB15_32:
	s_mov_b32 s3, -1
	s_mov_b32 s2, 0
                                        ; implicit-def: $vgpr3_vgpr4
	s_branch .LBB15_169
.LBB15_33:
	s_mov_b32 s3, -1
	s_mov_b32 s2, 0
                                        ; implicit-def: $vgpr3_vgpr4
	s_branch .LBB15_164
.LBB15_34:
	s_mov_b32 s2, -1
                                        ; implicit-def: $vgpr0_vgpr1
.LBB15_35:
	s_delay_alu instid0(SALU_CYCLE_1)
	s_and_not1_b32 vcc_lo, exec_lo, s2
	s_cbranch_vccnz .LBB15_37
; %bb.36:
	s_waitcnt vmcnt(0)
	v_add_f64 v[0:1], v[3:4], v[3:4]
.LBB15_37:
	v_and_b32_e64 v6, 0xff, s34
	s_waitcnt vmcnt(0)
	v_add_co_u32 v4, s3, s4, v2
	s_delay_alu instid0(VALU_DEP_1) | instskip(NEXT) | instid1(VALU_DEP_3)
	v_add_co_ci_u32_e64 v5, null, s5, 0, s3
	v_cmp_gt_i16_e32 vcc_lo, 11, v6
	s_mov_b32 s2, 0
	s_mov_b32 s27, -1
	s_mov_b32 s3, 0
	s_cbranch_vccnz .LBB15_114
; %bb.38:
	v_cmp_lt_i16_e32 vcc_lo, 25, v6
	s_cbranch_vccz .LBB15_71
; %bb.39:
	v_cmp_lt_i16_e32 vcc_lo, 28, v6
	s_cbranch_vccz .LBB15_54
	;; [unrolled: 3-line block ×4, first 2 shown]
; %bb.42:
	v_cmp_eq_u16_e32 vcc_lo, 46, v6
	s_mov_b32 s27, 0
	s_mov_b32 s2, -1
	s_cbranch_vccz .LBB15_44
; %bb.43:
	v_cvt_f32_f64_e32 v2, v[0:1]
	s_mov_b32 s3, -1
	s_mov_b32 s2, 0
	s_delay_alu instid0(VALU_DEP_1) | instskip(SKIP_1) | instid1(VALU_DEP_2)
	v_bfe_u32 v3, v2, 16, 1
	v_cmp_o_f32_e32 vcc_lo, v2, v2
	v_add3_u32 v3, v2, v3, 0x7fff
	s_delay_alu instid0(VALU_DEP_1) | instskip(NEXT) | instid1(VALU_DEP_1)
	v_lshrrev_b32_e32 v3, 16, v3
	v_cndmask_b32_e32 v2, 0x7fc0, v3, vcc_lo
	global_store_b32 v[4:5], v2, off
.LBB15_44:
	s_and_b32 vcc_lo, exec_lo, s27
	s_cbranch_vccz .LBB15_49
; %bb.45:
	v_cmp_eq_u16_e32 vcc_lo, 44, v6
	s_mov_b32 s2, -1
	s_cbranch_vccz .LBB15_49
; %bb.46:
	v_cvt_f32_f64_e32 v2, v[0:1]
	v_mov_b32_e32 v3, 0xff
	s_mov_b32 s3, exec_lo
	s_delay_alu instid0(VALU_DEP_2) | instskip(NEXT) | instid1(VALU_DEP_1)
	v_bfe_u32 v7, v2, 23, 8
	v_cmpx_ne_u32_e32 0xff, v7
; %bb.47:
	v_and_b32_e32 v3, 0x400000, v2
	v_and_or_b32 v7, 0x3fffff, v2, v7
	v_lshrrev_b32_e32 v2, 23, v2
	s_delay_alu instid0(VALU_DEP_3) | instskip(NEXT) | instid1(VALU_DEP_3)
	v_cmp_ne_u32_e32 vcc_lo, 0, v3
	v_cmp_ne_u32_e64 s2, 0, v7
	s_delay_alu instid0(VALU_DEP_1) | instskip(NEXT) | instid1(SALU_CYCLE_1)
	s_and_b32 s2, vcc_lo, s2
	v_cndmask_b32_e64 v3, 0, 1, s2
	s_delay_alu instid0(VALU_DEP_1)
	v_add_nc_u32_e32 v3, v2, v3
; %bb.48:
	s_or_b32 exec_lo, exec_lo, s3
	s_mov_b32 s3, -1
	s_mov_b32 s2, 0
	global_store_b8 v[4:5], v3, off
.LBB15_49:
	s_mov_b32 s27, 0
.LBB15_50:
	s_delay_alu instid0(SALU_CYCLE_1)
	s_and_b32 vcc_lo, exec_lo, s27
	s_cbranch_vccz .LBB15_53
; %bb.51:
	v_cmp_eq_u16_e32 vcc_lo, 29, v6
	s_mov_b32 s2, -1
	s_cbranch_vccz .LBB15_53
; %bb.52:
	v_trunc_f64_e32 v[2:3], v[0:1]
	s_mov_b32 s3, -1
	s_mov_b32 s2, 0
	s_delay_alu instid0(VALU_DEP_1) | instskip(NEXT) | instid1(VALU_DEP_1)
	v_ldexp_f64 v[7:8], v[2:3], 0xffffffe0
	v_floor_f64_e32 v[7:8], v[7:8]
	s_delay_alu instid0(VALU_DEP_1) | instskip(SKIP_1) | instid1(VALU_DEP_2)
	v_fma_f64 v[2:3], 0xc1f00000, v[7:8], v[2:3]
	v_cvt_u32_f64_e32 v8, v[7:8]
	v_cvt_u32_f64_e32 v7, v[2:3]
	global_store_b64 v[4:5], v[7:8], off
.LBB15_53:
	s_mov_b32 s27, 0
.LBB15_54:
	s_delay_alu instid0(SALU_CYCLE_1)
	s_and_b32 vcc_lo, exec_lo, s27
	s_cbranch_vccz .LBB15_70
; %bb.55:
	v_cmp_gt_i16_e32 vcc_lo, 27, v6
	s_mov_b32 s3, -1
	s_cbranch_vccnz .LBB15_61
; %bb.56:
	v_cmp_lt_i16_e32 vcc_lo, 27, v6
	s_cbranch_vccz .LBB15_58
; %bb.57:
	v_cvt_u32_f64_e32 v2, v[0:1]
	s_mov_b32 s3, 0
	global_store_b32 v[4:5], v2, off
.LBB15_58:
	s_and_not1_b32 vcc_lo, exec_lo, s3
	s_cbranch_vccnz .LBB15_60
; %bb.59:
	v_cvt_u32_f64_e32 v2, v[0:1]
	global_store_b16 v[4:5], v2, off
.LBB15_60:
	s_mov_b32 s3, 0
.LBB15_61:
	s_delay_alu instid0(SALU_CYCLE_1)
	s_and_not1_b32 vcc_lo, exec_lo, s3
	s_cbranch_vccnz .LBB15_69
; %bb.62:
	v_cvt_f32_f64_e32 v2, v[0:1]
	v_mov_b32_e32 v7, 0x80
	s_mov_b32 s3, exec_lo
	s_delay_alu instid0(VALU_DEP_2) | instskip(NEXT) | instid1(VALU_DEP_1)
	v_and_b32_e32 v3, 0x7fffffff, v2
	v_cmpx_gt_u32_e32 0x43800000, v3
	s_cbranch_execz .LBB15_68
; %bb.63:
	v_cmp_lt_u32_e32 vcc_lo, 0x3bffffff, v3
	s_mov_b32 s27, 0
                                        ; implicit-def: $vgpr3
	s_and_saveexec_b32 s41, vcc_lo
	s_delay_alu instid0(SALU_CYCLE_1)
	s_xor_b32 s41, exec_lo, s41
	s_cbranch_execz .LBB15_160
; %bb.64:
	v_bfe_u32 v3, v2, 20, 1
	s_mov_b32 s27, exec_lo
	s_delay_alu instid0(VALU_DEP_1) | instskip(NEXT) | instid1(VALU_DEP_1)
	v_add3_u32 v3, v2, v3, 0x487ffff
	v_lshrrev_b32_e32 v3, 20, v3
	s_or_saveexec_b32 s41, s41
                                        ; implicit-def: $sgpr42
	s_delay_alu instid0(SALU_CYCLE_1)
	s_xor_b32 exec_lo, exec_lo, s41
	s_cbranch_execnz .LBB15_161
.LBB15_65:
	s_or_b32 exec_lo, exec_lo, s41
	v_mov_b32_e32 v7, s42
	s_and_saveexec_b32 s41, s27
.LBB15_66:
	v_lshrrev_b32_e32 v2, 24, v2
	s_delay_alu instid0(VALU_DEP_1)
	v_and_or_b32 v7, 0x80, v2, v3
.LBB15_67:
	s_or_b32 exec_lo, exec_lo, s41
.LBB15_68:
	s_delay_alu instid0(SALU_CYCLE_1)
	s_or_b32 exec_lo, exec_lo, s3
	global_store_b8 v[4:5], v7, off
.LBB15_69:
	s_mov_b32 s3, -1
.LBB15_70:
	s_mov_b32 s27, 0
.LBB15_71:
	s_delay_alu instid0(SALU_CYCLE_1)
	s_and_b32 vcc_lo, exec_lo, s27
	s_cbranch_vccz .LBB15_112
; %bb.72:
	v_cmp_lt_i16_e32 vcc_lo, 22, v6
	s_mov_b32 s27, -1
	s_cbranch_vccz .LBB15_104
; %bb.73:
	v_cmp_gt_i16_e32 vcc_lo, 24, v6
	s_mov_b32 s3, -1
	s_cbranch_vccnz .LBB15_93
; %bb.74:
	v_cmp_lt_i16_e32 vcc_lo, 24, v6
	s_cbranch_vccz .LBB15_82
; %bb.75:
	v_cvt_f32_f64_e32 v2, v[0:1]
	v_mov_b32_e32 v7, 0x80
	s_mov_b32 s3, exec_lo
	s_delay_alu instid0(VALU_DEP_2) | instskip(NEXT) | instid1(VALU_DEP_1)
	v_and_b32_e32 v3, 0x7fffffff, v2
	v_cmpx_gt_u32_e32 0x47800000, v3
	s_cbranch_execz .LBB15_81
; %bb.76:
	v_cmp_lt_u32_e32 vcc_lo, 0x37ffffff, v3
	s_mov_b32 s27, 0
                                        ; implicit-def: $vgpr3
	s_and_saveexec_b32 s41, vcc_lo
	s_delay_alu instid0(SALU_CYCLE_1)
	s_xor_b32 s41, exec_lo, s41
	s_cbranch_execz .LBB15_361
; %bb.77:
	v_bfe_u32 v3, v2, 21, 1
	s_mov_b32 s27, exec_lo
	s_delay_alu instid0(VALU_DEP_1) | instskip(NEXT) | instid1(VALU_DEP_1)
	v_add3_u32 v3, v2, v3, 0x88fffff
	v_lshrrev_b32_e32 v3, 21, v3
	s_or_saveexec_b32 s41, s41
                                        ; implicit-def: $sgpr42
	s_delay_alu instid0(SALU_CYCLE_1)
	s_xor_b32 exec_lo, exec_lo, s41
	s_cbranch_execnz .LBB15_362
.LBB15_78:
	s_or_b32 exec_lo, exec_lo, s41
	v_mov_b32_e32 v7, s42
	s_and_saveexec_b32 s41, s27
.LBB15_79:
	v_lshrrev_b32_e32 v2, 24, v2
	s_delay_alu instid0(VALU_DEP_1)
	v_and_or_b32 v7, 0x80, v2, v3
.LBB15_80:
	s_or_b32 exec_lo, exec_lo, s41
.LBB15_81:
	s_delay_alu instid0(SALU_CYCLE_1)
	s_or_b32 exec_lo, exec_lo, s3
	s_mov_b32 s3, 0
	global_store_b8 v[4:5], v7, off
.LBB15_82:
	s_and_b32 vcc_lo, exec_lo, s3
	s_cbranch_vccz .LBB15_92
; %bb.83:
	v_cvt_f32_f64_e32 v2, v[0:1]
	s_mov_b32 s3, exec_lo
                                        ; implicit-def: $vgpr3
	s_delay_alu instid0(VALU_DEP_1) | instskip(NEXT) | instid1(VALU_DEP_1)
	v_and_b32_e32 v7, 0x7fffffff, v2
	v_cmpx_gt_u32_e32 0x43f00000, v7
	s_xor_b32 s3, exec_lo, s3
	s_cbranch_execz .LBB15_89
; %bb.84:
	s_mov_b32 s27, exec_lo
                                        ; implicit-def: $vgpr3
	v_cmpx_lt_u32_e32 0x3c7fffff, v7
	s_xor_b32 s27, exec_lo, s27
; %bb.85:
	v_bfe_u32 v3, v2, 20, 1
	s_delay_alu instid0(VALU_DEP_1) | instskip(NEXT) | instid1(VALU_DEP_1)
	v_add3_u32 v3, v2, v3, 0x407ffff
	v_and_b32_e32 v7, 0xff00000, v3
	v_lshrrev_b32_e32 v3, 20, v3
	s_delay_alu instid0(VALU_DEP_2) | instskip(NEXT) | instid1(VALU_DEP_2)
	v_cmp_ne_u32_e32 vcc_lo, 0x7f00000, v7
	v_cndmask_b32_e32 v3, 0x7e, v3, vcc_lo
; %bb.86:
	s_and_not1_saveexec_b32 s27, s27
; %bb.87:
	v_add_f32_e64 v3, 0x46800000, |v2|
; %bb.88:
	s_or_b32 exec_lo, exec_lo, s27
                                        ; implicit-def: $vgpr7
.LBB15_89:
	s_and_not1_saveexec_b32 s3, s3
; %bb.90:
	v_mov_b32_e32 v3, 0x7f
	v_cmp_lt_u32_e32 vcc_lo, 0x7f800000, v7
	s_delay_alu instid0(VALU_DEP_2)
	v_cndmask_b32_e32 v3, 0x7e, v3, vcc_lo
; %bb.91:
	s_or_b32 exec_lo, exec_lo, s3
	v_lshrrev_b32_e32 v2, 24, v2
	s_delay_alu instid0(VALU_DEP_1)
	v_and_or_b32 v2, 0x80, v2, v3
	global_store_b8 v[4:5], v2, off
.LBB15_92:
	s_mov_b32 s3, 0
.LBB15_93:
	s_delay_alu instid0(SALU_CYCLE_1)
	s_and_not1_b32 vcc_lo, exec_lo, s3
	s_cbranch_vccnz .LBB15_103
; %bb.94:
	v_cvt_f32_f64_e32 v2, v[0:1]
	s_mov_b32 s3, exec_lo
                                        ; implicit-def: $vgpr3
	s_delay_alu instid0(VALU_DEP_1) | instskip(NEXT) | instid1(VALU_DEP_1)
	v_and_b32_e32 v7, 0x7fffffff, v2
	v_cmpx_gt_u32_e32 0x47800000, v7
	s_xor_b32 s3, exec_lo, s3
	s_cbranch_execz .LBB15_100
; %bb.95:
	s_mov_b32 s27, exec_lo
                                        ; implicit-def: $vgpr3
	v_cmpx_lt_u32_e32 0x387fffff, v7
	s_xor_b32 s27, exec_lo, s27
; %bb.96:
	v_bfe_u32 v3, v2, 21, 1
	s_delay_alu instid0(VALU_DEP_1) | instskip(NEXT) | instid1(VALU_DEP_1)
	v_add3_u32 v3, v2, v3, 0x80fffff
	v_lshrrev_b32_e32 v3, 21, v3
; %bb.97:
	s_and_not1_saveexec_b32 s27, s27
; %bb.98:
	v_add_f32_e64 v3, 0x43000000, |v2|
; %bb.99:
	s_or_b32 exec_lo, exec_lo, s27
                                        ; implicit-def: $vgpr7
.LBB15_100:
	s_and_not1_saveexec_b32 s3, s3
; %bb.101:
	v_mov_b32_e32 v3, 0x7f
	v_cmp_lt_u32_e32 vcc_lo, 0x7f800000, v7
	s_delay_alu instid0(VALU_DEP_2)
	v_cndmask_b32_e32 v3, 0x7c, v3, vcc_lo
; %bb.102:
	s_or_b32 exec_lo, exec_lo, s3
	v_lshrrev_b32_e32 v2, 24, v2
	s_delay_alu instid0(VALU_DEP_1)
	v_and_or_b32 v2, 0x80, v2, v3
	global_store_b8 v[4:5], v2, off
.LBB15_103:
	s_mov_b32 s27, 0
	s_mov_b32 s3, -1
.LBB15_104:
	s_and_not1_b32 vcc_lo, exec_lo, s27
	s_cbranch_vccnz .LBB15_112
; %bb.105:
	v_cmp_lt_i16_e32 vcc_lo, 14, v6
	s_mov_b32 s27, -1
	s_cbranch_vccz .LBB15_109
; %bb.106:
	v_cmp_eq_u16_e32 vcc_lo, 15, v6
	s_mov_b32 s2, -1
	s_cbranch_vccz .LBB15_108
; %bb.107:
	v_cvt_f32_f64_e32 v2, v[0:1]
	s_mov_b32 s3, -1
	s_mov_b32 s2, 0
	s_delay_alu instid0(VALU_DEP_1) | instskip(SKIP_1) | instid1(VALU_DEP_2)
	v_bfe_u32 v3, v2, 16, 1
	v_cmp_o_f32_e32 vcc_lo, v2, v2
	v_add3_u32 v3, v2, v3, 0x7fff
	s_delay_alu instid0(VALU_DEP_1) | instskip(NEXT) | instid1(VALU_DEP_1)
	v_lshrrev_b32_e32 v3, 16, v3
	v_cndmask_b32_e32 v2, 0x7fc0, v3, vcc_lo
	global_store_b16 v[4:5], v2, off
.LBB15_108:
	s_mov_b32 s27, 0
.LBB15_109:
	s_delay_alu instid0(SALU_CYCLE_1)
	s_and_b32 vcc_lo, exec_lo, s27
	s_cbranch_vccz .LBB15_112
; %bb.110:
	v_cmp_eq_u16_e32 vcc_lo, 11, v6
	s_mov_b32 s2, -1
	s_cbranch_vccz .LBB15_112
; %bb.111:
	v_cmp_neq_f64_e32 vcc_lo, 0, v[0:1]
	s_mov_b32 s3, -1
	s_mov_b32 s2, 0
	v_cndmask_b32_e64 v2, 0, 1, vcc_lo
	global_store_b8 v[4:5], v2, off
.LBB15_112:
.LBB15_113:
	s_and_not1_b32 vcc_lo, exec_lo, s3
	s_cbranch_vccz .LBB15_153
	s_branch .LBB15_271
.LBB15_114:
	s_and_b32 vcc_lo, exec_lo, s27
	s_cbranch_vccz .LBB15_113
; %bb.115:
	v_cmp_gt_i16_e32 vcc_lo, 5, v6
	s_mov_b32 s3, -1
	s_cbranch_vccnz .LBB15_136
; %bb.116:
	v_cmp_gt_i16_e32 vcc_lo, 8, v6
	s_cbranch_vccnz .LBB15_126
; %bb.117:
	v_cmp_gt_i16_e32 vcc_lo, 9, v6
	s_cbranch_vccnz .LBB15_123
; %bb.118:
	v_cmp_lt_i16_e32 vcc_lo, 9, v6
	s_cbranch_vccz .LBB15_120
; %bb.119:
	v_mov_b32_e32 v2, 0
	s_mov_b32 s3, 0
	s_delay_alu instid0(VALU_DEP_1)
	v_mov_b32_e32 v3, v2
	global_store_b128 v[4:5], v[0:3], off
.LBB15_120:
	s_and_not1_b32 vcc_lo, exec_lo, s3
	s_cbranch_vccnz .LBB15_122
; %bb.121:
	v_cvt_f32_f64_e32 v2, v[0:1]
	v_mov_b32_e32 v3, 0
	global_store_b64 v[4:5], v[2:3], off
.LBB15_122:
	s_mov_b32 s3, 0
.LBB15_123:
	s_delay_alu instid0(SALU_CYCLE_1)
	s_and_not1_b32 vcc_lo, exec_lo, s3
	s_cbranch_vccnz .LBB15_125
; %bb.124:
	v_cvt_f32_f64_e32 v2, v[0:1]
	s_delay_alu instid0(VALU_DEP_1) | instskip(NEXT) | instid1(VALU_DEP_1)
	v_cvt_f16_f32_e32 v2, v2
	v_and_b32_e32 v2, 0xffff, v2
	global_store_b32 v[4:5], v2, off
.LBB15_125:
	s_mov_b32 s3, 0
.LBB15_126:
	s_delay_alu instid0(SALU_CYCLE_1)
	s_and_not1_b32 vcc_lo, exec_lo, s3
	s_cbranch_vccnz .LBB15_135
; %bb.127:
	v_cmp_gt_i16_e32 vcc_lo, 6, v6
	s_mov_b32 s3, -1
	s_cbranch_vccnz .LBB15_133
; %bb.128:
	v_cmp_lt_i16_e32 vcc_lo, 6, v6
	s_cbranch_vccz .LBB15_130
; %bb.129:
	s_mov_b32 s3, 0
	global_store_b64 v[4:5], v[0:1], off
.LBB15_130:
	s_and_not1_b32 vcc_lo, exec_lo, s3
	s_cbranch_vccnz .LBB15_132
; %bb.131:
	v_cvt_f32_f64_e32 v2, v[0:1]
	global_store_b32 v[4:5], v2, off
.LBB15_132:
	s_mov_b32 s3, 0
.LBB15_133:
	s_delay_alu instid0(SALU_CYCLE_1)
	s_and_not1_b32 vcc_lo, exec_lo, s3
	s_cbranch_vccnz .LBB15_135
; %bb.134:
	v_cvt_f32_f64_e32 v2, v[0:1]
	s_delay_alu instid0(VALU_DEP_1)
	v_cvt_f16_f32_e32 v2, v2
	global_store_b16 v[4:5], v2, off
.LBB15_135:
	s_mov_b32 s3, 0
.LBB15_136:
	s_delay_alu instid0(SALU_CYCLE_1)
	s_and_not1_b32 vcc_lo, exec_lo, s3
	s_cbranch_vccnz .LBB15_152
; %bb.137:
	v_cmp_gt_i16_e32 vcc_lo, 2, v6
	s_mov_b32 s3, -1
	s_cbranch_vccnz .LBB15_147
; %bb.138:
	v_cmp_gt_i16_e32 vcc_lo, 3, v6
	s_cbranch_vccnz .LBB15_144
; %bb.139:
	v_cmp_lt_i16_e32 vcc_lo, 3, v6
	s_cbranch_vccz .LBB15_141
; %bb.140:
	v_trunc_f64_e32 v[2:3], v[0:1]
	s_mov_b32 s3, 0
	s_delay_alu instid0(VALU_DEP_1) | instskip(NEXT) | instid1(VALU_DEP_1)
	v_ldexp_f64 v[7:8], v[2:3], 0xffffffe0
	v_floor_f64_e32 v[7:8], v[7:8]
	s_delay_alu instid0(VALU_DEP_1) | instskip(SKIP_1) | instid1(VALU_DEP_2)
	v_fma_f64 v[2:3], 0xc1f00000, v[7:8], v[2:3]
	v_cvt_i32_f64_e32 v8, v[7:8]
	v_cvt_u32_f64_e32 v7, v[2:3]
	global_store_b64 v[4:5], v[7:8], off
.LBB15_141:
	s_and_not1_b32 vcc_lo, exec_lo, s3
	s_cbranch_vccnz .LBB15_143
; %bb.142:
	v_cvt_i32_f64_e32 v2, v[0:1]
	global_store_b32 v[4:5], v2, off
.LBB15_143:
	s_mov_b32 s3, 0
.LBB15_144:
	s_delay_alu instid0(SALU_CYCLE_1)
	s_and_not1_b32 vcc_lo, exec_lo, s3
	s_cbranch_vccnz .LBB15_146
; %bb.145:
	v_cvt_i32_f64_e32 v2, v[0:1]
	global_store_b16 v[4:5], v2, off
.LBB15_146:
	s_mov_b32 s3, 0
.LBB15_147:
	s_delay_alu instid0(SALU_CYCLE_1)
	s_and_not1_b32 vcc_lo, exec_lo, s3
	s_cbranch_vccnz .LBB15_152
; %bb.148:
	v_cmp_lt_i16_e32 vcc_lo, 0, v6
	s_mov_b32 s3, -1
	s_cbranch_vccz .LBB15_150
; %bb.149:
	v_cvt_i32_f64_e32 v2, v[0:1]
	s_mov_b32 s3, 0
	global_store_b8 v[4:5], v2, off
.LBB15_150:
	s_and_not1_b32 vcc_lo, exec_lo, s3
	s_cbranch_vccnz .LBB15_152
; %bb.151:
	v_trunc_f64_e32 v[0:1], v[0:1]
	s_delay_alu instid0(VALU_DEP_1) | instskip(NEXT) | instid1(VALU_DEP_1)
	v_ldexp_f64 v[2:3], v[0:1], 0xffffffe0
	v_floor_f64_e32 v[2:3], v[2:3]
	s_delay_alu instid0(VALU_DEP_1) | instskip(NEXT) | instid1(VALU_DEP_1)
	v_fma_f64 v[0:1], 0xc1f00000, v[2:3], v[0:1]
	v_cvt_u32_f64_e32 v0, v[0:1]
	global_store_b8 v[4:5], v0, off
.LBB15_152:
.LBB15_153:
	v_add_nc_u32_e32 v10, 0x80, v10
	s_mov_b32 s3, -1
	s_branch .LBB15_272
.LBB15_154:
	s_mov_b32 s3, -1
	s_branch .LBB15_156
.LBB15_155:
	s_mov_b32 s26, -1
.LBB15_156:
	s_mov_b32 s2, 0
                                        ; implicit-def: $vgpr3_vgpr4
.LBB15_157:
	s_and_b32 vcc_lo, exec_lo, s3
	s_cbranch_vccz .LBB15_163
; %bb.158:
	v_cmp_eq_u16_e32 vcc_lo, 44, v9
	s_cbranch_vccz .LBB15_162
; %bb.159:
	global_load_u8 v5, v[0:1], off
	s_mov_b32 s26, 0
	s_mov_b32 s2, -1
	s_waitcnt vmcnt(0)
	v_cmp_ne_u32_e32 vcc_lo, 0xff, v5
	v_lshlrev_b32_e32 v3, 23, v5
	s_delay_alu instid0(VALU_DEP_1) | instskip(NEXT) | instid1(VALU_DEP_1)
	v_cvt_f64_f32_e32 v[3:4], v3
	v_cndmask_b32_e32 v4, 0x7ff80000, v4, vcc_lo
	s_delay_alu instid0(VALU_DEP_2) | instskip(SKIP_1) | instid1(VALU_DEP_3)
	v_cndmask_b32_e32 v3, 0x20000000, v3, vcc_lo
	v_cmp_ne_u32_e32 vcc_lo, 0, v5
	v_cndmask_b32_e32 v4, 0x38000000, v4, vcc_lo
	s_delay_alu instid0(VALU_DEP_3)
	v_cndmask_b32_e32 v3, 0, v3, vcc_lo
	s_branch .LBB15_163
.LBB15_160:
	s_or_saveexec_b32 s41, s41
                                        ; implicit-def: $sgpr42
	s_delay_alu instid0(SALU_CYCLE_1)
	s_xor_b32 exec_lo, exec_lo, s41
	s_cbranch_execz .LBB15_65
.LBB15_161:
	v_add_f32_e64 v3, 0x46000000, |v2|
	s_and_not1_b32 s27, s27, exec_lo
	s_mov_b32 s42, 0
	s_delay_alu instid0(VALU_DEP_1) | instskip(NEXT) | instid1(VALU_DEP_1)
	v_and_b32_e32 v3, 0xff, v3
	v_cmp_ne_u32_e32 vcc_lo, 0, v3
	s_and_b32 s45, vcc_lo, exec_lo
	s_delay_alu instid0(SALU_CYCLE_1)
	s_or_b32 s27, s27, s45
	s_or_b32 exec_lo, exec_lo, s41
	v_mov_b32_e32 v7, s42
	s_and_saveexec_b32 s41, s27
	s_cbranch_execnz .LBB15_66
	s_branch .LBB15_67
.LBB15_162:
	s_mov_b32 s26, -1
                                        ; implicit-def: $vgpr3_vgpr4
.LBB15_163:
	s_mov_b32 s3, 0
.LBB15_164:
	s_delay_alu instid0(SALU_CYCLE_1)
	s_and_b32 vcc_lo, exec_lo, s3
	s_cbranch_vccz .LBB15_168
; %bb.165:
	v_cmp_eq_u16_e32 vcc_lo, 29, v9
	s_cbranch_vccz .LBB15_167
; %bb.166:
	global_load_b64 v[3:4], v[0:1], off
	s_mov_b32 s2, -1
	s_mov_b32 s26, 0
	s_mov_b32 s3, 0
	s_waitcnt vmcnt(0)
	v_cvt_f64_u32_e32 v[4:5], v4
	v_cvt_f64_u32_e32 v[6:7], v3
	s_delay_alu instid0(VALU_DEP_2) | instskip(NEXT) | instid1(VALU_DEP_1)
	v_ldexp_f64 v[4:5], v[4:5], 32
	v_add_f64 v[3:4], v[4:5], v[6:7]
	s_branch .LBB15_169
.LBB15_167:
	s_mov_b32 s26, -1
                                        ; implicit-def: $vgpr3_vgpr4
.LBB15_168:
	s_mov_b32 s3, 0
.LBB15_169:
	s_delay_alu instid0(SALU_CYCLE_1)
	s_and_b32 vcc_lo, exec_lo, s3
	s_cbranch_vccz .LBB15_189
; %bb.170:
	v_cmp_gt_i16_e32 vcc_lo, 27, v9
	s_cbranch_vccnz .LBB15_173
; %bb.171:
	v_cmp_lt_i16_e32 vcc_lo, 27, v9
	s_cbranch_vccz .LBB15_174
; %bb.172:
	global_load_b32 v3, v[0:1], off
	s_mov_b32 s2, 0
	s_waitcnt vmcnt(0)
	v_cvt_f64_u32_e32 v[3:4], v3
	s_branch .LBB15_175
.LBB15_173:
	s_mov_b32 s2, -1
                                        ; implicit-def: $vgpr3_vgpr4
	s_branch .LBB15_178
.LBB15_174:
	s_mov_b32 s2, -1
                                        ; implicit-def: $vgpr3_vgpr4
.LBB15_175:
	s_delay_alu instid0(SALU_CYCLE_1)
	s_and_not1_b32 vcc_lo, exec_lo, s2
	s_cbranch_vccnz .LBB15_177
; %bb.176:
	global_load_u16 v3, v[0:1], off
	s_waitcnt vmcnt(0)
	v_cvt_f64_u32_e32 v[3:4], v3
.LBB15_177:
	s_mov_b32 s2, 0
.LBB15_178:
	s_delay_alu instid0(SALU_CYCLE_1)
	s_and_not1_b32 vcc_lo, exec_lo, s2
	s_cbranch_vccnz .LBB15_188
; %bb.179:
	global_load_u8 v5, v[0:1], off
	s_mov_b32 s27, 0
	s_mov_b32 s41, exec_lo
                                        ; implicit-def: $sgpr2_sgpr3
	s_waitcnt vmcnt(0)
	v_cmpx_lt_i16_e32 0x7f, v5
	s_xor_b32 s41, exec_lo, s41
	s_cbranch_execz .LBB15_183
; %bb.180:
	s_mov_b32 s42, -1
	s_mov_b32 s27, exec_lo
                                        ; implicit-def: $sgpr2_sgpr3
	v_cmpx_eq_u16_e32 0x80, v5
; %bb.181:
	s_mov_b32 s3, 0x7ff80000
	s_brev_b32 s2, 4
	s_xor_b32 s42, exec_lo, -1
; %bb.182:
	s_or_b32 exec_lo, exec_lo, s27
	s_delay_alu instid0(SALU_CYCLE_1)
	s_and_b32 s27, s42, exec_lo
.LBB15_183:
	s_or_saveexec_b32 s41, s41
	v_dual_mov_b32 v4, s3 :: v_dual_mov_b32 v3, s2
	s_xor_b32 exec_lo, exec_lo, s41
; %bb.184:
	v_cmp_ne_u16_e32 vcc_lo, 0, v5
	v_mov_b32_e32 v3, 0
	v_mov_b32_e32 v4, 0
	s_and_not1_b32 s2, s27, exec_lo
	s_and_b32 s3, vcc_lo, exec_lo
	s_delay_alu instid0(SALU_CYCLE_1)
	s_or_b32 s27, s2, s3
; %bb.185:
	s_or_b32 exec_lo, exec_lo, s41
	s_and_saveexec_b32 s2, s27
	s_cbranch_execz .LBB15_187
; %bb.186:
	v_and_b32_e32 v3, 0xffff, v5
	v_lshlrev_b32_e32 v5, 24, v5
	s_delay_alu instid0(VALU_DEP_2) | instskip(NEXT) | instid1(VALU_DEP_2)
	v_and_b32_e32 v4, 7, v3
	v_and_b32_e32 v5, 0x80000000, v5
	s_delay_alu instid0(VALU_DEP_2) | instskip(NEXT) | instid1(VALU_DEP_1)
	v_clz_i32_u32_e32 v6, v4
	v_min_u32_e32 v6, 32, v6
	s_delay_alu instid0(VALU_DEP_1) | instskip(SKIP_1) | instid1(VALU_DEP_2)
	v_subrev_nc_u32_e32 v7, 28, v6
	v_sub_nc_u32_e32 v6, 29, v6
	v_lshlrev_b32_e32 v7, v7, v3
	v_bfe_u32 v3, v3, 3, 4
	s_delay_alu instid0(VALU_DEP_2) | instskip(NEXT) | instid1(VALU_DEP_2)
	v_and_b32_e32 v7, 7, v7
	v_cmp_eq_u32_e32 vcc_lo, 0, v3
	s_delay_alu instid0(VALU_DEP_2) | instskip(NEXT) | instid1(VALU_DEP_1)
	v_dual_cndmask_b32 v3, v3, v6 :: v_dual_cndmask_b32 v4, v4, v7
	v_lshl_add_u32 v3, v3, 23, 0x3b800000
	s_delay_alu instid0(VALU_DEP_2) | instskip(NEXT) | instid1(VALU_DEP_1)
	v_lshlrev_b32_e32 v4, 20, v4
	v_or3_b32 v3, v5, v3, v4
	s_delay_alu instid0(VALU_DEP_1)
	v_cvt_f64_f32_e32 v[3:4], v3
.LBB15_187:
	s_or_b32 exec_lo, exec_lo, s2
.LBB15_188:
	s_mov_b32 s2, -1
.LBB15_189:
	s_branch .LBB15_222
.LBB15_190:
	v_cmp_lt_i16_e32 vcc_lo, 22, v9
	s_cbranch_vccz .LBB15_202
; %bb.191:
	v_cmp_gt_i16_e32 vcc_lo, 24, v9
	s_cbranch_vccnz .LBB15_203
; %bb.192:
	v_cmp_lt_i16_e32 vcc_lo, 24, v9
	s_cbranch_vccz .LBB15_204
; %bb.193:
	global_load_u8 v5, v[0:1], off
	s_mov_b32 s27, 0
	s_mov_b32 s41, exec_lo
                                        ; implicit-def: $sgpr2_sgpr3
	s_waitcnt vmcnt(0)
	v_cmpx_lt_i16_e32 0x7f, v5
	s_xor_b32 s41, exec_lo, s41
	s_cbranch_execz .LBB15_197
; %bb.194:
	s_mov_b32 s42, -1
	s_mov_b32 s27, exec_lo
                                        ; implicit-def: $sgpr2_sgpr3
	v_cmpx_eq_u16_e32 0x80, v5
; %bb.195:
	s_mov_b32 s3, 0x7ff80000
	s_brev_b32 s2, 4
	s_xor_b32 s42, exec_lo, -1
; %bb.196:
	s_or_b32 exec_lo, exec_lo, s27
	s_delay_alu instid0(SALU_CYCLE_1)
	s_and_b32 s27, s42, exec_lo
.LBB15_197:
	s_or_saveexec_b32 s41, s41
	v_dual_mov_b32 v4, s3 :: v_dual_mov_b32 v3, s2
	s_xor_b32 exec_lo, exec_lo, s41
; %bb.198:
	v_cmp_ne_u16_e32 vcc_lo, 0, v5
	v_mov_b32_e32 v3, 0
	v_mov_b32_e32 v4, 0
	s_and_not1_b32 s2, s27, exec_lo
	s_and_b32 s3, vcc_lo, exec_lo
	s_delay_alu instid0(SALU_CYCLE_1)
	s_or_b32 s27, s2, s3
; %bb.199:
	s_or_b32 exec_lo, exec_lo, s41
	s_and_saveexec_b32 s2, s27
	s_cbranch_execz .LBB15_201
; %bb.200:
	v_and_b32_e32 v3, 0xffff, v5
	v_lshlrev_b32_e32 v5, 24, v5
	s_delay_alu instid0(VALU_DEP_2) | instskip(NEXT) | instid1(VALU_DEP_2)
	v_and_b32_e32 v4, 3, v3
	v_and_b32_e32 v5, 0x80000000, v5
	s_delay_alu instid0(VALU_DEP_2) | instskip(NEXT) | instid1(VALU_DEP_1)
	v_clz_i32_u32_e32 v6, v4
	v_min_u32_e32 v6, 32, v6
	s_delay_alu instid0(VALU_DEP_1) | instskip(SKIP_1) | instid1(VALU_DEP_2)
	v_subrev_nc_u32_e32 v7, 29, v6
	v_sub_nc_u32_e32 v6, 30, v6
	v_lshlrev_b32_e32 v7, v7, v3
	v_bfe_u32 v3, v3, 2, 5
	s_delay_alu instid0(VALU_DEP_2) | instskip(NEXT) | instid1(VALU_DEP_2)
	v_and_b32_e32 v7, 3, v7
	v_cmp_eq_u32_e32 vcc_lo, 0, v3
	s_delay_alu instid0(VALU_DEP_2) | instskip(NEXT) | instid1(VALU_DEP_1)
	v_dual_cndmask_b32 v3, v3, v6 :: v_dual_cndmask_b32 v4, v4, v7
	v_lshl_add_u32 v3, v3, 23, 0x37800000
	s_delay_alu instid0(VALU_DEP_2) | instskip(NEXT) | instid1(VALU_DEP_1)
	v_lshlrev_b32_e32 v4, 21, v4
	v_or3_b32 v3, v5, v3, v4
	s_delay_alu instid0(VALU_DEP_1)
	v_cvt_f64_f32_e32 v[3:4], v3
.LBB15_201:
	s_or_b32 exec_lo, exec_lo, s2
	s_mov_b32 s2, 0
	s_branch .LBB15_205
.LBB15_202:
	s_mov_b32 s3, -1
                                        ; implicit-def: $vgpr3_vgpr4
	s_branch .LBB15_211
.LBB15_203:
	s_mov_b32 s2, -1
                                        ; implicit-def: $vgpr3_vgpr4
	s_branch .LBB15_208
.LBB15_204:
	s_mov_b32 s2, -1
                                        ; implicit-def: $vgpr3_vgpr4
.LBB15_205:
	s_delay_alu instid0(SALU_CYCLE_1)
	s_and_b32 vcc_lo, exec_lo, s2
	s_cbranch_vccz .LBB15_207
; %bb.206:
	global_load_u8 v3, v[0:1], off
	s_waitcnt vmcnt(0)
	v_lshlrev_b32_e32 v3, 24, v3
	s_delay_alu instid0(VALU_DEP_1) | instskip(NEXT) | instid1(VALU_DEP_1)
	v_and_b32_e32 v4, 0x7f000000, v3
	v_clz_i32_u32_e32 v5, v4
	v_add_nc_u32_e32 v7, 0x1000000, v4
	v_cmp_ne_u32_e32 vcc_lo, 0, v4
	s_delay_alu instid0(VALU_DEP_3) | instskip(NEXT) | instid1(VALU_DEP_1)
	v_min_u32_e32 v5, 32, v5
	v_sub_nc_u32_e64 v5, v5, 4 clamp
	s_delay_alu instid0(VALU_DEP_1) | instskip(SKIP_1) | instid1(VALU_DEP_2)
	v_lshlrev_b32_e32 v6, v5, v4
	v_lshlrev_b32_e32 v5, 23, v5
	v_lshrrev_b32_e32 v6, 4, v6
	s_delay_alu instid0(VALU_DEP_1) | instskip(SKIP_1) | instid1(VALU_DEP_2)
	v_sub_nc_u32_e32 v5, v6, v5
	v_ashrrev_i32_e32 v6, 8, v7
	v_add_nc_u32_e32 v5, 0x3c000000, v5
	s_delay_alu instid0(VALU_DEP_1) | instskip(NEXT) | instid1(VALU_DEP_1)
	v_and_or_b32 v5, 0x7f800000, v6, v5
	v_cndmask_b32_e32 v4, 0, v5, vcc_lo
	s_delay_alu instid0(VALU_DEP_1) | instskip(NEXT) | instid1(VALU_DEP_1)
	v_and_or_b32 v3, 0x80000000, v3, v4
	v_cvt_f64_f32_e32 v[3:4], v3
.LBB15_207:
	s_mov_b32 s2, 0
.LBB15_208:
	s_delay_alu instid0(SALU_CYCLE_1)
	s_and_not1_b32 vcc_lo, exec_lo, s2
	s_cbranch_vccnz .LBB15_210
; %bb.209:
	global_load_u8 v3, v[0:1], off
	s_waitcnt vmcnt(0)
	v_lshlrev_b32_e32 v4, 25, v3
	v_lshlrev_b16 v3, 8, v3
	s_delay_alu instid0(VALU_DEP_2) | instskip(NEXT) | instid1(VALU_DEP_2)
	v_lshrrev_b32_e32 v5, 4, v4
	v_and_or_b32 v6, 0x7f00, v3, 0.5
	v_bfe_i32 v3, v3, 0, 16
	s_delay_alu instid0(VALU_DEP_3) | instskip(NEXT) | instid1(VALU_DEP_1)
	v_or_b32_e32 v5, 0x70000000, v5
	v_dual_add_f32 v6, -0.5, v6 :: v_dual_mul_f32 v5, 0x7800000, v5
	v_cmp_gt_u32_e32 vcc_lo, 0x8000000, v4
	s_delay_alu instid0(VALU_DEP_2) | instskip(NEXT) | instid1(VALU_DEP_1)
	v_cndmask_b32_e32 v4, v5, v6, vcc_lo
	v_and_or_b32 v3, 0x80000000, v3, v4
	s_delay_alu instid0(VALU_DEP_1)
	v_cvt_f64_f32_e32 v[3:4], v3
.LBB15_210:
	s_mov_b32 s3, 0
	s_mov_b32 s2, -1
.LBB15_211:
	s_and_not1_b32 vcc_lo, exec_lo, s3
	s_cbranch_vccnz .LBB15_222
; %bb.212:
	v_cmp_lt_i16_e32 vcc_lo, 14, v9
	s_cbranch_vccz .LBB15_215
; %bb.213:
	v_cmp_eq_u16_e32 vcc_lo, 15, v9
	s_cbranch_vccz .LBB15_216
; %bb.214:
	global_load_u16 v3, v[0:1], off
	s_mov_b32 s2, -1
	s_mov_b32 s26, 0
	s_waitcnt vmcnt(0)
	v_lshlrev_b32_e32 v3, 16, v3
	s_delay_alu instid0(VALU_DEP_1)
	v_cvt_f64_f32_e32 v[3:4], v3
	s_branch .LBB15_217
.LBB15_215:
	s_mov_b32 s3, -1
                                        ; implicit-def: $vgpr3_vgpr4
	s_branch .LBB15_218
.LBB15_216:
	s_mov_b32 s26, -1
                                        ; implicit-def: $vgpr3_vgpr4
.LBB15_217:
	s_mov_b32 s3, 0
.LBB15_218:
	s_delay_alu instid0(SALU_CYCLE_1)
	s_and_b32 vcc_lo, exec_lo, s3
	s_cbranch_vccz .LBB15_222
; %bb.219:
	v_cmp_eq_u16_e32 vcc_lo, 11, v9
	s_cbranch_vccz .LBB15_221
; %bb.220:
	global_load_u8 v3, v[0:1], off
	s_mov_b32 s26, 0
	s_mov_b32 s2, -1
	s_waitcnt vmcnt(0)
	v_cmp_ne_u16_e32 vcc_lo, 0, v3
	v_mov_b32_e32 v3, 0
	v_cndmask_b32_e64 v4, 0, 0x3ff00000, vcc_lo
	s_branch .LBB15_222
.LBB15_221:
	s_mov_b32 s26, -1
                                        ; implicit-def: $vgpr3_vgpr4
.LBB15_222:
	s_branch .LBB15_23
.LBB15_223:
	v_cmp_gt_i16_e32 vcc_lo, 5, v9
	s_cbranch_vccnz .LBB15_228
; %bb.224:
	v_cmp_gt_i16_e32 vcc_lo, 8, v9
	s_cbranch_vccnz .LBB15_229
; %bb.225:
	;; [unrolled: 3-line block ×3, first 2 shown]
	v_cmp_lt_i16_e32 vcc_lo, 9, v9
	s_cbranch_vccz .LBB15_231
; %bb.227:
	global_load_b64 v[3:4], v[0:1], off
	s_mov_b32 s2, 0
	s_branch .LBB15_232
.LBB15_228:
                                        ; implicit-def: $vgpr3_vgpr4
	s_branch .LBB15_250
.LBB15_229:
	s_mov_b32 s2, -1
                                        ; implicit-def: $vgpr3_vgpr4
	s_branch .LBB15_238
.LBB15_230:
	s_mov_b32 s2, -1
                                        ; implicit-def: $vgpr3_vgpr4
	s_branch .LBB15_235
.LBB15_231:
	s_mov_b32 s2, -1
                                        ; implicit-def: $vgpr3_vgpr4
.LBB15_232:
	s_delay_alu instid0(SALU_CYCLE_1)
	s_and_not1_b32 vcc_lo, exec_lo, s2
	s_cbranch_vccnz .LBB15_234
; %bb.233:
	global_load_b32 v3, v[0:1], off
	s_waitcnt vmcnt(0)
	v_cvt_f64_f32_e32 v[3:4], v3
.LBB15_234:
	s_mov_b32 s2, 0
.LBB15_235:
	s_delay_alu instid0(SALU_CYCLE_1)
	s_and_not1_b32 vcc_lo, exec_lo, s2
	s_cbranch_vccnz .LBB15_237
; %bb.236:
	global_load_b32 v3, v[0:1], off
	s_waitcnt vmcnt(0)
	v_cvt_f32_f16_e32 v3, v3
	s_delay_alu instid0(VALU_DEP_1)
	v_cvt_f64_f32_e32 v[3:4], v3
.LBB15_237:
	s_mov_b32 s2, 0
.LBB15_238:
	s_delay_alu instid0(SALU_CYCLE_1)
	s_and_not1_b32 vcc_lo, exec_lo, s2
	s_cbranch_vccnz .LBB15_249
; %bb.239:
	v_cmp_gt_i16_e32 vcc_lo, 6, v9
	s_cbranch_vccnz .LBB15_242
; %bb.240:
	v_cmp_lt_i16_e32 vcc_lo, 6, v9
	s_cbranch_vccz .LBB15_243
; %bb.241:
	global_load_b64 v[3:4], v[0:1], off
	s_mov_b32 s2, 0
	s_branch .LBB15_244
.LBB15_242:
	s_mov_b32 s2, -1
                                        ; implicit-def: $vgpr3_vgpr4
	s_branch .LBB15_247
.LBB15_243:
	s_mov_b32 s2, -1
                                        ; implicit-def: $vgpr3_vgpr4
.LBB15_244:
	s_delay_alu instid0(SALU_CYCLE_1)
	s_and_not1_b32 vcc_lo, exec_lo, s2
	s_cbranch_vccnz .LBB15_246
; %bb.245:
	global_load_b32 v3, v[0:1], off
	s_waitcnt vmcnt(0)
	v_cvt_f64_f32_e32 v[3:4], v3
.LBB15_246:
	s_mov_b32 s2, 0
.LBB15_247:
	s_delay_alu instid0(SALU_CYCLE_1)
	s_and_not1_b32 vcc_lo, exec_lo, s2
	s_cbranch_vccnz .LBB15_249
; %bb.248:
	global_load_u16 v3, v[0:1], off
	s_waitcnt vmcnt(0)
	v_cvt_f32_f16_e32 v3, v3
	s_delay_alu instid0(VALU_DEP_1)
	v_cvt_f64_f32_e32 v[3:4], v3
.LBB15_249:
	s_cbranch_execnz .LBB15_269
.LBB15_250:
	v_cmp_gt_i16_e32 vcc_lo, 2, v9
	s_cbranch_vccnz .LBB15_254
; %bb.251:
	v_cmp_gt_i16_e32 vcc_lo, 3, v9
	s_cbranch_vccnz .LBB15_255
; %bb.252:
	v_cmp_lt_i16_e32 vcc_lo, 3, v9
	s_cbranch_vccz .LBB15_256
; %bb.253:
	global_load_b64 v[3:4], v[0:1], off
	s_mov_b32 s2, 0
	s_waitcnt vmcnt(0)
	v_cvt_f64_i32_e32 v[4:5], v4
	v_cvt_f64_u32_e32 v[6:7], v3
	s_delay_alu instid0(VALU_DEP_2) | instskip(NEXT) | instid1(VALU_DEP_1)
	v_ldexp_f64 v[4:5], v[4:5], 32
	v_add_f64 v[3:4], v[4:5], v[6:7]
	s_branch .LBB15_257
.LBB15_254:
	s_mov_b32 s2, -1
                                        ; implicit-def: $vgpr3_vgpr4
	s_branch .LBB15_263
.LBB15_255:
	s_mov_b32 s2, -1
                                        ; implicit-def: $vgpr3_vgpr4
	s_branch .LBB15_260
.LBB15_256:
	s_mov_b32 s2, -1
                                        ; implicit-def: $vgpr3_vgpr4
.LBB15_257:
	s_delay_alu instid0(SALU_CYCLE_1)
	s_and_not1_b32 vcc_lo, exec_lo, s2
	s_cbranch_vccnz .LBB15_259
; %bb.258:
	global_load_b32 v3, v[0:1], off
	s_waitcnt vmcnt(0)
	v_cvt_f64_i32_e32 v[3:4], v3
.LBB15_259:
	s_mov_b32 s2, 0
.LBB15_260:
	s_delay_alu instid0(SALU_CYCLE_1)
	s_and_not1_b32 vcc_lo, exec_lo, s2
	s_cbranch_vccnz .LBB15_262
; %bb.261:
	global_load_i16 v3, v[0:1], off
	s_waitcnt vmcnt(0)
	v_cvt_f64_i32_e32 v[3:4], v3
.LBB15_262:
	s_mov_b32 s2, 0
.LBB15_263:
	s_delay_alu instid0(SALU_CYCLE_1)
	s_and_not1_b32 vcc_lo, exec_lo, s2
	s_cbranch_vccnz .LBB15_269
; %bb.264:
	v_cmp_lt_i16_e32 vcc_lo, 0, v9
	s_mov_b32 s2, 0
	s_cbranch_vccz .LBB15_266
; %bb.265:
	global_load_i8 v3, v[0:1], off
	s_waitcnt vmcnt(0)
	v_cvt_f64_i32_e32 v[3:4], v3
	s_branch .LBB15_267
.LBB15_266:
	s_mov_b32 s2, -1
                                        ; implicit-def: $vgpr3_vgpr4
.LBB15_267:
	s_delay_alu instid0(SALU_CYCLE_1)
	s_and_not1_b32 vcc_lo, exec_lo, s2
	s_cbranch_vccnz .LBB15_269
; %bb.268:
	global_load_u8 v0, v[0:1], off
	s_waitcnt vmcnt(0)
	v_cvt_f64_u32_e32 v[3:4], v0
.LBB15_269:
	s_branch .LBB15_24
.LBB15_270:
	s_mov_b32 s2, 0
.LBB15_271:
	s_mov_b32 s3, 0
                                        ; implicit-def: $vgpr10
.LBB15_272:
	s_and_b32 s41, s2, exec_lo
	s_and_b32 s42, s26, exec_lo
	s_or_not1_b32 s3, s3, exec_lo
.LBB15_273:
	s_or_b32 exec_lo, exec_lo, s43
	s_mov_b32 s26, 0
	s_mov_b32 s2, 0
                                        ; implicit-def: $vgpr0_vgpr1
                                        ; implicit-def: $vgpr2
                                        ; implicit-def: $vgpr6_vgpr7
	s_and_saveexec_b32 s43, s3
	s_cbranch_execz .LBB15_936
; %bb.274:
	s_mov_b32 s2, -1
	s_mov_b32 s44, s42
	s_mov_b32 s45, s41
	s_mov_b32 s46, exec_lo
	v_cmpx_gt_i32_e64 s38, v10
	s_cbranch_execz .LBB15_553
; %bb.275:
	s_and_not1_b32 vcc_lo, exec_lo, s31
	s_cbranch_vccnz .LBB15_280
; %bb.276:
	v_mov_b32_e32 v2, 0
	v_mov_b32_e32 v0, 0
	s_and_not1_b32 vcc_lo, exec_lo, s40
	s_mov_b32 s44, 0
	s_cbranch_vccnz .LBB15_285
; %bb.277:
	v_mov_b32_e32 v2, 0
	s_add_i32 s47, s39, 1
	s_cmp_eq_u32 s29, 2
	s_mov_b32 s45, 0
	s_cbranch_scc1 .LBB15_281
; %bb.278:
	v_dual_mov_b32 v0, 0 :: v_dual_mov_b32 v1, v10
	v_mov_b32_e32 v2, 0
	s_and_b32 s45, s47, 28
	s_mov_b32 s48, 0
	s_mov_b64 s[2:3], s[24:25]
	s_mov_b64 s[26:27], s[16:17]
.LBB15_279:                             ; =>This Inner Loop Header: Depth=1
	s_clause 0x1
	s_load_b256 s[52:59], s[26:27], 0x4
	s_load_b128 s[68:71], s[26:27], 0x24
	s_load_b256 s[60:67], s[2:3], 0x0
	s_add_u32 s26, s26, 48
	s_addc_u32 s27, s27, 0
	s_add_i32 s48, s48, 4
	s_add_u32 s2, s2, 32
	s_addc_u32 s3, s3, 0
	s_cmp_eq_u32 s45, s48
	s_waitcnt vmcnt(0) lgkmcnt(0)
	v_mul_hi_u32 v3, s53, v1
	s_delay_alu instid0(VALU_DEP_1) | instskip(NEXT) | instid1(VALU_DEP_1)
	v_add_nc_u32_e32 v3, v1, v3
	v_lshrrev_b32_e32 v3, s54, v3
	s_delay_alu instid0(VALU_DEP_1) | instskip(SKIP_1) | instid1(VALU_DEP_2)
	v_mul_hi_u32 v4, s56, v3
	v_mul_lo_u32 v6, v3, s52
	v_add_nc_u32_e32 v4, v3, v4
	s_delay_alu instid0(VALU_DEP_2) | instskip(NEXT) | instid1(VALU_DEP_2)
	v_sub_nc_u32_e32 v1, v1, v6
	v_lshrrev_b32_e32 v4, s57, v4
	s_delay_alu instid0(VALU_DEP_2) | instskip(SKIP_1) | instid1(VALU_DEP_3)
	v_mul_lo_u32 v6, v1, s60
	v_mul_lo_u32 v8, v1, s61
	v_mul_hi_u32 v5, s59, v4
	s_delay_alu instid0(VALU_DEP_1) | instskip(NEXT) | instid1(VALU_DEP_1)
	v_add_nc_u32_e32 v5, v4, v5
	v_lshrrev_b32_e32 v5, s68, v5
	s_delay_alu instid0(VALU_DEP_1) | instskip(SKIP_1) | instid1(VALU_DEP_2)
	v_mul_hi_u32 v7, s70, v5
	v_mul_lo_u32 v11, v5, s58
	v_add_nc_u32_e32 v1, v5, v7
	v_mul_lo_u32 v7, v4, s55
	s_delay_alu instid0(VALU_DEP_3) | instskip(NEXT) | instid1(VALU_DEP_3)
	v_sub_nc_u32_e32 v4, v4, v11
	v_lshrrev_b32_e32 v1, s71, v1
	s_delay_alu instid0(VALU_DEP_2) | instskip(SKIP_2) | instid1(VALU_DEP_4)
	v_mul_lo_u32 v11, v4, s64
	v_mul_lo_u32 v4, v4, s65
	v_sub_nc_u32_e32 v3, v3, v7
	v_mul_lo_u32 v12, v1, s69
	s_delay_alu instid0(VALU_DEP_2) | instskip(SKIP_1) | instid1(VALU_DEP_3)
	v_mul_lo_u32 v7, v3, s62
	v_mul_lo_u32 v3, v3, s63
	v_sub_nc_u32_e32 v5, v5, v12
	s_delay_alu instid0(VALU_DEP_3) | instskip(NEXT) | instid1(VALU_DEP_2)
	v_add3_u32 v2, v6, v2, v7
	v_mul_lo_u32 v12, v5, s66
	v_mul_lo_u32 v5, v5, s67
	v_add3_u32 v0, v8, v0, v3
	s_delay_alu instid0(VALU_DEP_3) | instskip(NEXT) | instid1(VALU_DEP_2)
	v_add3_u32 v2, v11, v2, v12
	v_add3_u32 v0, v4, v0, v5
	s_cbranch_scc0 .LBB15_279
	s_branch .LBB15_282
.LBB15_280:
	s_mov_b32 s44, -1
                                        ; implicit-def: $vgpr2
                                        ; implicit-def: $vgpr0
	s_branch .LBB15_285
.LBB15_281:
	v_dual_mov_b32 v1, v10 :: v_dual_mov_b32 v0, 0
.LBB15_282:
	s_and_b32 s47, s47, 3
	s_delay_alu instid0(SALU_CYCLE_1)
	s_cmp_eq_u32 s47, 0
	s_cbranch_scc1 .LBB15_285
; %bb.283:
	s_lshl_b32 s2, s45, 3
	s_mul_i32 s26, s45, 12
	s_add_u32 s2, s2, s16
	s_addc_u32 s3, s17, 0
	s_add_u32 s2, s2, 0xc4
	s_addc_u32 s3, s3, 0
	;; [unrolled: 2-line block ×3, first 2 shown]
	.p2align	6
.LBB15_284:                             ; =>This Inner Loop Header: Depth=1
	s_clause 0x1
	s_load_b64 s[48:49], s[26:27], 0x4
	s_load_b32 s45, s[26:27], 0xc
	s_load_b64 s[50:51], s[2:3], 0x0
	s_add_u32 s26, s26, 12
	s_addc_u32 s27, s27, 0
	s_add_u32 s2, s2, 8
	s_addc_u32 s3, s3, 0
	s_add_i32 s47, s47, -1
	s_delay_alu instid0(SALU_CYCLE_1) | instskip(SKIP_2) | instid1(VALU_DEP_1)
	s_cmp_lg_u32 s47, 0
	s_waitcnt vmcnt(0) lgkmcnt(0)
	v_mul_hi_u32 v3, s49, v1
	v_add_nc_u32_e32 v3, v1, v3
	s_delay_alu instid0(VALU_DEP_1) | instskip(NEXT) | instid1(VALU_DEP_1)
	v_lshrrev_b32_e32 v6, s45, v3
	v_mul_lo_u32 v3, v6, s48
	s_delay_alu instid0(VALU_DEP_1) | instskip(NEXT) | instid1(VALU_DEP_1)
	v_sub_nc_u32_e32 v1, v1, v3
	v_mad_u64_u32 v[3:4], null, v1, s50, v[2:3]
	v_mad_u64_u32 v[4:5], null, v1, s51, v[0:1]
	s_delay_alu instid0(VALU_DEP_2) | instskip(NEXT) | instid1(VALU_DEP_2)
	v_dual_mov_b32 v1, v6 :: v_dual_mov_b32 v2, v3
	v_mov_b32_e32 v0, v4
	s_cbranch_scc1 .LBB15_284
.LBB15_285:
	s_and_not1_b32 vcc_lo, exec_lo, s44
	s_cbranch_vccnz .LBB15_288
; %bb.286:
	s_waitcnt lgkmcnt(0)
	v_mul_hi_u32 v0, s13, v10
	s_and_not1_b32 vcc_lo, exec_lo, s37
	s_delay_alu instid0(VALU_DEP_1) | instskip(NEXT) | instid1(VALU_DEP_1)
	v_add_nc_u32_e32 v0, v10, v0
	v_lshrrev_b32_e32 v1, s14, v0
	s_delay_alu instid0(VALU_DEP_1) | instskip(NEXT) | instid1(VALU_DEP_1)
	v_mul_lo_u32 v0, v1, s12
	v_sub_nc_u32_e32 v0, v10, v0
	s_delay_alu instid0(VALU_DEP_1)
	v_mul_lo_u32 v2, v0, s8
	v_mul_lo_u32 v0, v0, s9
	s_cbranch_vccnz .LBB15_288
; %bb.287:
	s_waitcnt vmcnt(0)
	v_mul_hi_u32 v3, s22, v1
	s_delay_alu instid0(VALU_DEP_1) | instskip(NEXT) | instid1(VALU_DEP_1)
	v_add_nc_u32_e32 v3, v1, v3
	v_lshrrev_b32_e32 v3, s23, v3
	s_delay_alu instid0(VALU_DEP_1) | instskip(NEXT) | instid1(VALU_DEP_1)
	v_mul_lo_u32 v3, v3, s15
	v_sub_nc_u32_e32 v5, v1, v3
	s_delay_alu instid0(VALU_DEP_1) | instskip(SKIP_1) | instid1(VALU_DEP_2)
	v_mad_u64_u32 v[3:4], null, v5, s10, v[2:3]
	v_mad_u64_u32 v[1:2], null, v5, s11, v[0:1]
	v_mov_b32_e32 v2, v3
	s_delay_alu instid0(VALU_DEP_2)
	v_mov_b32_e32 v0, v1
.LBB15_288:
	v_cmp_gt_i16_e32 vcc_lo, 11, v9
	s_waitcnt lgkmcnt(0)
	s_delay_alu instid0(VALU_DEP_2) | instskip(NEXT) | instid1(VALU_DEP_1)
	v_add_co_u32 v0, s2, s6, v0
	v_add_co_ci_u32_e64 v1, null, s7, 0, s2
	s_mov_b32 s2, 0
	s_cbranch_vccnz .LBB15_295
; %bb.289:
	v_cmp_lt_i16_e32 vcc_lo, 25, v9
	s_cbranch_vccz .LBB15_304
; %bb.290:
	v_cmp_lt_i16_e32 vcc_lo, 28, v9
	s_cbranch_vccz .LBB15_305
	;; [unrolled: 3-line block ×4, first 2 shown]
; %bb.293:
	v_cmp_eq_u16_e32 vcc_lo, 46, v9
	s_mov_b32 s3, 0
	s_cbranch_vccz .LBB15_363
; %bb.294:
	global_load_b32 v3, v[0:1], off
	s_mov_b32 s2, -1
	s_mov_b32 s26, 0
	s_waitcnt vmcnt(0)
	v_lshlrev_b32_e32 v3, 16, v3
	s_delay_alu instid0(VALU_DEP_1)
	v_cvt_f64_f32_e32 v[3:4], v3
	s_branch .LBB15_365
.LBB15_295:
	s_mov_b32 s26, s42
                                        ; implicit-def: $vgpr3_vgpr4
	s_cbranch_execnz .LBB15_502
.LBB15_296:
	s_and_not1_b32 vcc_lo, exec_lo, s2
	s_cbranch_vccnz .LBB15_550
.LBB15_297:
	v_mov_b32_e32 v0, 0
	v_mov_b32_e32 v1, 0
	s_and_not1_b32 vcc_lo, exec_lo, s36
	s_cbranch_vccnz .LBB15_310
; %bb.298:
	v_cmp_lt_i64_e64 s2, s[20:21], 1
	v_mov_b32_e32 v0, 0
	v_mov_b32_e32 v1, 0x3ff00000
	s_delay_alu instid0(VALU_DEP_3)
	s_and_b32 vcc_lo, exec_lo, s2
	s_cbranch_vccnz .LBB15_310
; %bb.299:
	s_cmp_lg_u64 s[20:21], 1
	s_cbranch_scc0 .LBB15_307
; %bb.300:
	v_mov_b32_e32 v0, 0
	v_mov_b32_e32 v1, 0x7ff80000
	s_and_not1_b32 vcc_lo, exec_lo, s35
	s_cbranch_vccnz .LBB15_303
; %bb.301:
	s_waitcnt vmcnt(0)
	v_add_f64 v[5:6], v[3:4], v[3:4]
	v_mov_b32_e32 v7, 0
	v_mov_b32_e32 v8, 0x3ff00000
	s_mov_b64 s[2:3], 2
	s_delay_alu instid0(VALU_DEP_3)
	v_dual_mov_b32 v0, v5 :: v_dual_mov_b32 v1, v6
.LBB15_302:                             ; =>This Inner Loop Header: Depth=1
	v_cvt_f64_u32_e32 v[11:12], s3
	v_cvt_f64_u32_e32 v[13:14], s2
	s_add_u32 s2, s2, 2
	s_addc_u32 s3, s3, 0
	s_delay_alu instid0(SALU_CYCLE_1) | instskip(NEXT) | instid1(VALU_DEP_1)
	v_cmp_lt_u64_e64 s27, s[2:3], s[18:19]
	s_and_b32 vcc_lo, exec_lo, s27
	s_delay_alu instid0(VALU_DEP_3) | instskip(NEXT) | instid1(VALU_DEP_1)
	v_ldexp_f64 v[11:12], v[11:12], 32
	v_add_f64 v[11:12], v[11:12], v[13:14]
	s_delay_alu instid0(VALU_DEP_1) | instskip(SKIP_1) | instid1(VALU_DEP_1)
	v_mul_f64 v[7:8], v[7:8], v[11:12]
	v_dual_mov_b32 v12, v1 :: v_dual_mov_b32 v11, v0
	v_fma_f64 v[0:1], v[5:6], v[11:12], -v[7:8]
	v_dual_mov_b32 v7, v11 :: v_dual_mov_b32 v8, v12
	s_cbranch_vccnz .LBB15_302
.LBB15_303:
	s_mov_b32 s2, 0
	s_branch .LBB15_308
.LBB15_304:
	s_mov_b32 s3, -1
	s_mov_b32 s26, s42
                                        ; implicit-def: $vgpr3_vgpr4
	s_branch .LBB15_468
.LBB15_305:
	s_mov_b32 s3, -1
	s_mov_b32 s26, s42
                                        ; implicit-def: $vgpr3_vgpr4
	s_branch .LBB15_447
.LBB15_306:
	s_mov_b32 s3, -1
	s_mov_b32 s26, s42
                                        ; implicit-def: $vgpr3_vgpr4
	s_branch .LBB15_442
.LBB15_307:
	s_mov_b32 s2, -1
                                        ; implicit-def: $vgpr0_vgpr1
.LBB15_308:
	s_delay_alu instid0(SALU_CYCLE_1)
	s_and_not1_b32 vcc_lo, exec_lo, s2
	s_cbranch_vccnz .LBB15_310
; %bb.309:
	s_waitcnt vmcnt(0)
	v_add_f64 v[0:1], v[3:4], v[3:4]
.LBB15_310:
	v_and_b32_e64 v6, 0xff, s34
	s_waitcnt vmcnt(0)
	v_add_co_u32 v4, s2, s4, v2
	s_delay_alu instid0(VALU_DEP_1) | instskip(NEXT) | instid1(VALU_DEP_3)
	v_add_co_ci_u32_e64 v5, null, s5, 0, s2
	v_cmp_gt_i16_e32 vcc_lo, 11, v6
	s_mov_b32 s3, 0
	s_mov_b32 s27, -1
	s_mov_b32 s2, s41
	s_cbranch_vccnz .LBB15_317
; %bb.311:
	v_cmp_lt_i16_e32 vcc_lo, 25, v6
	s_cbranch_vccz .LBB15_357
; %bb.312:
	v_cmp_lt_i16_e32 vcc_lo, 28, v6
	s_cbranch_vccz .LBB15_358
	;; [unrolled: 3-line block ×4, first 2 shown]
; %bb.315:
	v_cmp_eq_u16_e32 vcc_lo, 46, v6
	s_mov_b32 s27, 0
	s_mov_b32 s2, -1
	s_cbranch_vccz .LBB15_369
; %bb.316:
	v_cvt_f32_f64_e32 v2, v[0:1]
	s_mov_b32 s3, -1
	s_mov_b32 s2, 0
	s_delay_alu instid0(VALU_DEP_1) | instskip(SKIP_1) | instid1(VALU_DEP_2)
	v_bfe_u32 v3, v2, 16, 1
	v_cmp_o_f32_e32 vcc_lo, v2, v2
	v_add3_u32 v3, v2, v3, 0x7fff
	s_delay_alu instid0(VALU_DEP_1) | instskip(NEXT) | instid1(VALU_DEP_1)
	v_lshrrev_b32_e32 v3, 16, v3
	v_cndmask_b32_e32 v2, 0x7fc0, v3, vcc_lo
	global_store_b32 v[4:5], v2, off
	s_branch .LBB15_369
.LBB15_317:
	s_and_b32 vcc_lo, exec_lo, s27
	s_cbranch_vccz .LBB15_438
; %bb.318:
	v_cmp_gt_i16_e32 vcc_lo, 5, v6
	s_mov_b32 s3, -1
	s_cbranch_vccnz .LBB15_339
; %bb.319:
	v_cmp_gt_i16_e32 vcc_lo, 8, v6
	s_cbranch_vccnz .LBB15_329
; %bb.320:
	v_cmp_gt_i16_e32 vcc_lo, 9, v6
	s_cbranch_vccnz .LBB15_326
; %bb.321:
	v_cmp_lt_i16_e32 vcc_lo, 9, v6
	s_cbranch_vccz .LBB15_323
; %bb.322:
	v_mov_b32_e32 v2, 0
	s_mov_b32 s3, 0
	s_delay_alu instid0(VALU_DEP_1)
	v_mov_b32_e32 v3, v2
	global_store_b128 v[4:5], v[0:3], off
.LBB15_323:
	s_and_not1_b32 vcc_lo, exec_lo, s3
	s_cbranch_vccnz .LBB15_325
; %bb.324:
	v_cvt_f32_f64_e32 v2, v[0:1]
	v_mov_b32_e32 v3, 0
	global_store_b64 v[4:5], v[2:3], off
.LBB15_325:
	s_mov_b32 s3, 0
.LBB15_326:
	s_delay_alu instid0(SALU_CYCLE_1)
	s_and_not1_b32 vcc_lo, exec_lo, s3
	s_cbranch_vccnz .LBB15_328
; %bb.327:
	v_cvt_f32_f64_e32 v2, v[0:1]
	s_delay_alu instid0(VALU_DEP_1) | instskip(NEXT) | instid1(VALU_DEP_1)
	v_cvt_f16_f32_e32 v2, v2
	v_and_b32_e32 v2, 0xffff, v2
	global_store_b32 v[4:5], v2, off
.LBB15_328:
	s_mov_b32 s3, 0
.LBB15_329:
	s_delay_alu instid0(SALU_CYCLE_1)
	s_and_not1_b32 vcc_lo, exec_lo, s3
	s_cbranch_vccnz .LBB15_338
; %bb.330:
	v_cmp_gt_i16_e32 vcc_lo, 6, v6
	s_mov_b32 s3, -1
	s_cbranch_vccnz .LBB15_336
; %bb.331:
	v_cmp_lt_i16_e32 vcc_lo, 6, v6
	s_cbranch_vccz .LBB15_333
; %bb.332:
	s_mov_b32 s3, 0
	global_store_b64 v[4:5], v[0:1], off
.LBB15_333:
	s_and_not1_b32 vcc_lo, exec_lo, s3
	s_cbranch_vccnz .LBB15_335
; %bb.334:
	v_cvt_f32_f64_e32 v2, v[0:1]
	global_store_b32 v[4:5], v2, off
.LBB15_335:
	s_mov_b32 s3, 0
.LBB15_336:
	s_delay_alu instid0(SALU_CYCLE_1)
	s_and_not1_b32 vcc_lo, exec_lo, s3
	s_cbranch_vccnz .LBB15_338
; %bb.337:
	v_cvt_f32_f64_e32 v2, v[0:1]
	s_delay_alu instid0(VALU_DEP_1)
	v_cvt_f16_f32_e32 v2, v2
	global_store_b16 v[4:5], v2, off
.LBB15_338:
	s_mov_b32 s3, 0
.LBB15_339:
	s_delay_alu instid0(SALU_CYCLE_1)
	s_and_not1_b32 vcc_lo, exec_lo, s3
	s_cbranch_vccnz .LBB15_355
; %bb.340:
	v_cmp_gt_i16_e32 vcc_lo, 2, v6
	s_mov_b32 s3, -1
	s_cbranch_vccnz .LBB15_350
; %bb.341:
	v_cmp_gt_i16_e32 vcc_lo, 3, v6
	s_cbranch_vccnz .LBB15_347
; %bb.342:
	v_cmp_lt_i16_e32 vcc_lo, 3, v6
	s_cbranch_vccz .LBB15_344
; %bb.343:
	v_trunc_f64_e32 v[2:3], v[0:1]
	s_mov_b32 s3, 0
	s_delay_alu instid0(VALU_DEP_1) | instskip(NEXT) | instid1(VALU_DEP_1)
	v_ldexp_f64 v[7:8], v[2:3], 0xffffffe0
	v_floor_f64_e32 v[7:8], v[7:8]
	s_delay_alu instid0(VALU_DEP_1) | instskip(SKIP_1) | instid1(VALU_DEP_2)
	v_fma_f64 v[2:3], 0xc1f00000, v[7:8], v[2:3]
	v_cvt_i32_f64_e32 v8, v[7:8]
	v_cvt_u32_f64_e32 v7, v[2:3]
	global_store_b64 v[4:5], v[7:8], off
.LBB15_344:
	s_and_not1_b32 vcc_lo, exec_lo, s3
	s_cbranch_vccnz .LBB15_346
; %bb.345:
	v_cvt_i32_f64_e32 v2, v[0:1]
	global_store_b32 v[4:5], v2, off
.LBB15_346:
	s_mov_b32 s3, 0
.LBB15_347:
	s_delay_alu instid0(SALU_CYCLE_1)
	s_and_not1_b32 vcc_lo, exec_lo, s3
	s_cbranch_vccnz .LBB15_349
; %bb.348:
	v_cvt_i32_f64_e32 v2, v[0:1]
	global_store_b16 v[4:5], v2, off
.LBB15_349:
	s_mov_b32 s3, 0
.LBB15_350:
	s_delay_alu instid0(SALU_CYCLE_1)
	s_and_not1_b32 vcc_lo, exec_lo, s3
	s_cbranch_vccnz .LBB15_355
; %bb.351:
	v_cmp_lt_i16_e32 vcc_lo, 0, v6
	s_mov_b32 s3, -1
	s_cbranch_vccz .LBB15_353
; %bb.352:
	v_cvt_i32_f64_e32 v2, v[0:1]
	s_mov_b32 s3, 0
	global_store_b8 v[4:5], v2, off
.LBB15_353:
	s_and_not1_b32 vcc_lo, exec_lo, s3
	s_cbranch_vccnz .LBB15_355
; %bb.354:
	v_trunc_f64_e32 v[0:1], v[0:1]
	s_delay_alu instid0(VALU_DEP_1) | instskip(NEXT) | instid1(VALU_DEP_1)
	v_ldexp_f64 v[2:3], v[0:1], 0xffffffe0
	v_floor_f64_e32 v[2:3], v[2:3]
	s_delay_alu instid0(VALU_DEP_1) | instskip(NEXT) | instid1(VALU_DEP_1)
	v_fma_f64 v[0:1], 0xc1f00000, v[2:3], v[0:1]
	v_cvt_u32_f64_e32 v0, v[0:1]
	global_store_b8 v[4:5], v0, off
.LBB15_355:
	s_branch .LBB15_439
.LBB15_356:
	s_mov_b32 s3, 0
	s_branch .LBB15_551
.LBB15_357:
	s_mov_b32 s2, s41
	s_branch .LBB15_396
.LBB15_358:
	s_mov_b32 s2, s41
	s_branch .LBB15_379
.LBB15_359:
	s_mov_b32 s3, -1
	s_mov_b32 s26, s42
	s_branch .LBB15_364
.LBB15_360:
	s_mov_b32 s2, s41
	s_branch .LBB15_375
.LBB15_361:
	s_or_saveexec_b32 s41, s41
                                        ; implicit-def: $sgpr42
	s_delay_alu instid0(SALU_CYCLE_1)
	s_xor_b32 exec_lo, exec_lo, s41
	s_cbranch_execz .LBB15_78
.LBB15_362:
	v_add_f32_e64 v3, 0x42800000, |v2|
	s_and_not1_b32 s27, s27, exec_lo
	s_mov_b32 s42, 0
	s_delay_alu instid0(VALU_DEP_1) | instskip(NEXT) | instid1(VALU_DEP_1)
	v_and_b32_e32 v3, 0xff, v3
	v_cmp_ne_u32_e32 vcc_lo, 0, v3
	s_and_b32 s45, vcc_lo, exec_lo
	s_delay_alu instid0(SALU_CYCLE_1)
	s_or_b32 s27, s27, s45
	s_or_b32 exec_lo, exec_lo, s41
	v_mov_b32_e32 v7, s42
	s_and_saveexec_b32 s41, s27
	s_cbranch_execnz .LBB15_79
	s_branch .LBB15_80
.LBB15_363:
	s_mov_b32 s26, -1
.LBB15_364:
                                        ; implicit-def: $vgpr3_vgpr4
.LBB15_365:
	s_and_b32 vcc_lo, exec_lo, s3
	s_cbranch_vccz .LBB15_441
; %bb.366:
	v_cmp_eq_u16_e32 vcc_lo, 44, v9
	s_cbranch_vccz .LBB15_440
; %bb.367:
	global_load_u8 v5, v[0:1], off
	s_mov_b32 s26, 0
	s_mov_b32 s2, -1
	s_waitcnt vmcnt(0)
	v_cmp_ne_u32_e32 vcc_lo, 0xff, v5
	v_lshlrev_b32_e32 v3, 23, v5
	s_delay_alu instid0(VALU_DEP_1) | instskip(NEXT) | instid1(VALU_DEP_1)
	v_cvt_f64_f32_e32 v[3:4], v3
	v_cndmask_b32_e32 v4, 0x7ff80000, v4, vcc_lo
	s_delay_alu instid0(VALU_DEP_2) | instskip(SKIP_1) | instid1(VALU_DEP_3)
	v_cndmask_b32_e32 v3, 0x20000000, v3, vcc_lo
	v_cmp_ne_u32_e32 vcc_lo, 0, v5
	v_cndmask_b32_e32 v4, 0x38000000, v4, vcc_lo
	s_delay_alu instid0(VALU_DEP_3)
	v_cndmask_b32_e32 v3, 0, v3, vcc_lo
	s_branch .LBB15_441
.LBB15_368:
	s_mov_b32 s2, s41
.LBB15_369:
	s_and_b32 vcc_lo, exec_lo, s27
	s_cbranch_vccz .LBB15_374
; %bb.370:
	v_cmp_eq_u16_e32 vcc_lo, 44, v6
	s_mov_b32 s2, -1
	s_cbranch_vccz .LBB15_374
; %bb.371:
	v_cvt_f32_f64_e32 v2, v[0:1]
	v_mov_b32_e32 v3, 0xff
	s_mov_b32 s3, exec_lo
	s_delay_alu instid0(VALU_DEP_2) | instskip(NEXT) | instid1(VALU_DEP_1)
	v_bfe_u32 v7, v2, 23, 8
	v_cmpx_ne_u32_e32 0xff, v7
; %bb.372:
	v_and_b32_e32 v3, 0x400000, v2
	v_and_or_b32 v7, 0x3fffff, v2, v7
	v_lshrrev_b32_e32 v2, 23, v2
	s_delay_alu instid0(VALU_DEP_3) | instskip(NEXT) | instid1(VALU_DEP_3)
	v_cmp_ne_u32_e32 vcc_lo, 0, v3
	v_cmp_ne_u32_e64 s2, 0, v7
	s_delay_alu instid0(VALU_DEP_1) | instskip(NEXT) | instid1(SALU_CYCLE_1)
	s_and_b32 s2, vcc_lo, s2
	v_cndmask_b32_e64 v3, 0, 1, s2
	s_delay_alu instid0(VALU_DEP_1)
	v_add_nc_u32_e32 v3, v2, v3
; %bb.373:
	s_or_b32 exec_lo, exec_lo, s3
	s_mov_b32 s3, -1
	s_mov_b32 s2, 0
	global_store_b8 v[4:5], v3, off
.LBB15_374:
	s_mov_b32 s27, 0
.LBB15_375:
	s_delay_alu instid0(SALU_CYCLE_1)
	s_and_b32 vcc_lo, exec_lo, s27
	s_cbranch_vccz .LBB15_378
; %bb.376:
	v_cmp_eq_u16_e32 vcc_lo, 29, v6
	s_mov_b32 s2, -1
	s_cbranch_vccz .LBB15_378
; %bb.377:
	v_trunc_f64_e32 v[2:3], v[0:1]
	s_mov_b32 s3, -1
	s_mov_b32 s2, 0
	s_mov_b32 s27, 0
	s_delay_alu instid0(VALU_DEP_1) | instskip(NEXT) | instid1(VALU_DEP_1)
	v_ldexp_f64 v[7:8], v[2:3], 0xffffffe0
	v_floor_f64_e32 v[7:8], v[7:8]
	s_delay_alu instid0(VALU_DEP_1) | instskip(SKIP_1) | instid1(VALU_DEP_2)
	v_fma_f64 v[2:3], 0xc1f00000, v[7:8], v[2:3]
	v_cvt_u32_f64_e32 v8, v[7:8]
	v_cvt_u32_f64_e32 v7, v[2:3]
	global_store_b64 v[4:5], v[7:8], off
	s_branch .LBB15_379
.LBB15_378:
	s_mov_b32 s27, 0
.LBB15_379:
	s_delay_alu instid0(SALU_CYCLE_1)
	s_and_b32 vcc_lo, exec_lo, s27
	s_cbranch_vccz .LBB15_395
; %bb.380:
	v_cmp_gt_i16_e32 vcc_lo, 27, v6
	s_mov_b32 s3, -1
	s_cbranch_vccnz .LBB15_386
; %bb.381:
	v_cmp_lt_i16_e32 vcc_lo, 27, v6
	s_cbranch_vccz .LBB15_383
; %bb.382:
	v_cvt_u32_f64_e32 v2, v[0:1]
	s_mov_b32 s3, 0
	global_store_b32 v[4:5], v2, off
.LBB15_383:
	s_and_not1_b32 vcc_lo, exec_lo, s3
	s_cbranch_vccnz .LBB15_385
; %bb.384:
	v_cvt_u32_f64_e32 v2, v[0:1]
	global_store_b16 v[4:5], v2, off
.LBB15_385:
	s_mov_b32 s3, 0
.LBB15_386:
	s_delay_alu instid0(SALU_CYCLE_1)
	s_and_not1_b32 vcc_lo, exec_lo, s3
	s_cbranch_vccnz .LBB15_394
; %bb.387:
	v_cvt_f32_f64_e32 v2, v[0:1]
	v_mov_b32_e32 v7, 0x80
	s_mov_b32 s3, exec_lo
	s_delay_alu instid0(VALU_DEP_2) | instskip(NEXT) | instid1(VALU_DEP_1)
	v_and_b32_e32 v3, 0x7fffffff, v2
	v_cmpx_gt_u32_e32 0x43800000, v3
	s_cbranch_execz .LBB15_393
; %bb.388:
	v_cmp_lt_u32_e32 vcc_lo, 0x3bffffff, v3
	s_mov_b32 s27, 0
                                        ; implicit-def: $vgpr3
	s_and_saveexec_b32 s44, vcc_lo
	s_delay_alu instid0(SALU_CYCLE_1)
	s_xor_b32 s44, exec_lo, s44
	s_cbranch_execz .LBB15_579
; %bb.389:
	v_bfe_u32 v3, v2, 20, 1
	s_mov_b32 s27, exec_lo
	s_delay_alu instid0(VALU_DEP_1) | instskip(NEXT) | instid1(VALU_DEP_1)
	v_add3_u32 v3, v2, v3, 0x487ffff
	v_lshrrev_b32_e32 v3, 20, v3
	s_or_saveexec_b32 s44, s44
                                        ; implicit-def: $sgpr45
	s_delay_alu instid0(SALU_CYCLE_1)
	s_xor_b32 exec_lo, exec_lo, s44
	s_cbranch_execnz .LBB15_580
.LBB15_390:
	s_or_b32 exec_lo, exec_lo, s44
	v_mov_b32_e32 v7, s45
	s_and_saveexec_b32 s44, s27
.LBB15_391:
	v_lshrrev_b32_e32 v2, 24, v2
	s_delay_alu instid0(VALU_DEP_1)
	v_and_or_b32 v7, 0x80, v2, v3
.LBB15_392:
	s_or_b32 exec_lo, exec_lo, s44
.LBB15_393:
	s_delay_alu instid0(SALU_CYCLE_1)
	s_or_b32 exec_lo, exec_lo, s3
	global_store_b8 v[4:5], v7, off
.LBB15_394:
	s_mov_b32 s3, -1
.LBB15_395:
	s_mov_b32 s27, 0
.LBB15_396:
	s_delay_alu instid0(SALU_CYCLE_1)
	s_and_b32 vcc_lo, exec_lo, s27
	s_cbranch_vccz .LBB15_437
; %bb.397:
	v_cmp_lt_i16_e32 vcc_lo, 22, v6
	s_mov_b32 s27, -1
	s_cbranch_vccz .LBB15_429
; %bb.398:
	v_cmp_gt_i16_e32 vcc_lo, 24, v6
	s_mov_b32 s3, -1
	s_cbranch_vccnz .LBB15_418
; %bb.399:
	v_cmp_lt_i16_e32 vcc_lo, 24, v6
	s_cbranch_vccz .LBB15_407
; %bb.400:
	v_cvt_f32_f64_e32 v2, v[0:1]
	v_mov_b32_e32 v7, 0x80
	s_mov_b32 s3, exec_lo
	s_delay_alu instid0(VALU_DEP_2) | instskip(NEXT) | instid1(VALU_DEP_1)
	v_and_b32_e32 v3, 0x7fffffff, v2
	v_cmpx_gt_u32_e32 0x47800000, v3
	s_cbranch_execz .LBB15_406
; %bb.401:
	v_cmp_lt_u32_e32 vcc_lo, 0x37ffffff, v3
	s_mov_b32 s27, 0
                                        ; implicit-def: $vgpr3
	s_and_saveexec_b32 s44, vcc_lo
	s_delay_alu instid0(SALU_CYCLE_1)
	s_xor_b32 s44, exec_lo, s44
	s_cbranch_execz .LBB15_582
; %bb.402:
	v_bfe_u32 v3, v2, 21, 1
	s_mov_b32 s27, exec_lo
	s_delay_alu instid0(VALU_DEP_1) | instskip(NEXT) | instid1(VALU_DEP_1)
	v_add3_u32 v3, v2, v3, 0x88fffff
	v_lshrrev_b32_e32 v3, 21, v3
	s_or_saveexec_b32 s44, s44
                                        ; implicit-def: $sgpr45
	s_delay_alu instid0(SALU_CYCLE_1)
	s_xor_b32 exec_lo, exec_lo, s44
	s_cbranch_execnz .LBB15_583
.LBB15_403:
	s_or_b32 exec_lo, exec_lo, s44
	v_mov_b32_e32 v7, s45
	s_and_saveexec_b32 s44, s27
.LBB15_404:
	v_lshrrev_b32_e32 v2, 24, v2
	s_delay_alu instid0(VALU_DEP_1)
	v_and_or_b32 v7, 0x80, v2, v3
.LBB15_405:
	s_or_b32 exec_lo, exec_lo, s44
.LBB15_406:
	s_delay_alu instid0(SALU_CYCLE_1)
	s_or_b32 exec_lo, exec_lo, s3
	s_mov_b32 s3, 0
	global_store_b8 v[4:5], v7, off
.LBB15_407:
	s_and_b32 vcc_lo, exec_lo, s3
	s_cbranch_vccz .LBB15_417
; %bb.408:
	v_cvt_f32_f64_e32 v2, v[0:1]
	s_mov_b32 s3, exec_lo
                                        ; implicit-def: $vgpr3
	s_delay_alu instid0(VALU_DEP_1) | instskip(NEXT) | instid1(VALU_DEP_1)
	v_and_b32_e32 v7, 0x7fffffff, v2
	v_cmpx_gt_u32_e32 0x43f00000, v7
	s_xor_b32 s3, exec_lo, s3
	s_cbranch_execz .LBB15_414
; %bb.409:
	s_mov_b32 s27, exec_lo
                                        ; implicit-def: $vgpr3
	v_cmpx_lt_u32_e32 0x3c7fffff, v7
	s_xor_b32 s27, exec_lo, s27
; %bb.410:
	v_bfe_u32 v3, v2, 20, 1
	s_delay_alu instid0(VALU_DEP_1) | instskip(NEXT) | instid1(VALU_DEP_1)
	v_add3_u32 v3, v2, v3, 0x407ffff
	v_and_b32_e32 v7, 0xff00000, v3
	v_lshrrev_b32_e32 v3, 20, v3
	s_delay_alu instid0(VALU_DEP_2) | instskip(NEXT) | instid1(VALU_DEP_2)
	v_cmp_ne_u32_e32 vcc_lo, 0x7f00000, v7
	v_cndmask_b32_e32 v3, 0x7e, v3, vcc_lo
; %bb.411:
	s_and_not1_saveexec_b32 s27, s27
; %bb.412:
	v_add_f32_e64 v3, 0x46800000, |v2|
; %bb.413:
	s_or_b32 exec_lo, exec_lo, s27
                                        ; implicit-def: $vgpr7
.LBB15_414:
	s_and_not1_saveexec_b32 s3, s3
; %bb.415:
	v_mov_b32_e32 v3, 0x7f
	v_cmp_lt_u32_e32 vcc_lo, 0x7f800000, v7
	s_delay_alu instid0(VALU_DEP_2)
	v_cndmask_b32_e32 v3, 0x7e, v3, vcc_lo
; %bb.416:
	s_or_b32 exec_lo, exec_lo, s3
	v_lshrrev_b32_e32 v2, 24, v2
	s_delay_alu instid0(VALU_DEP_1)
	v_and_or_b32 v2, 0x80, v2, v3
	global_store_b8 v[4:5], v2, off
.LBB15_417:
	s_mov_b32 s3, 0
.LBB15_418:
	s_delay_alu instid0(SALU_CYCLE_1)
	s_and_not1_b32 vcc_lo, exec_lo, s3
	s_cbranch_vccnz .LBB15_428
; %bb.419:
	v_cvt_f32_f64_e32 v2, v[0:1]
	s_mov_b32 s3, exec_lo
                                        ; implicit-def: $vgpr3
	s_delay_alu instid0(VALU_DEP_1) | instskip(NEXT) | instid1(VALU_DEP_1)
	v_and_b32_e32 v7, 0x7fffffff, v2
	v_cmpx_gt_u32_e32 0x47800000, v7
	s_xor_b32 s3, exec_lo, s3
	s_cbranch_execz .LBB15_425
; %bb.420:
	s_mov_b32 s27, exec_lo
                                        ; implicit-def: $vgpr3
	v_cmpx_lt_u32_e32 0x387fffff, v7
	s_xor_b32 s27, exec_lo, s27
; %bb.421:
	v_bfe_u32 v3, v2, 21, 1
	s_delay_alu instid0(VALU_DEP_1) | instskip(NEXT) | instid1(VALU_DEP_1)
	v_add3_u32 v3, v2, v3, 0x80fffff
	v_lshrrev_b32_e32 v3, 21, v3
; %bb.422:
	s_and_not1_saveexec_b32 s27, s27
; %bb.423:
	v_add_f32_e64 v3, 0x43000000, |v2|
; %bb.424:
	s_or_b32 exec_lo, exec_lo, s27
                                        ; implicit-def: $vgpr7
.LBB15_425:
	s_and_not1_saveexec_b32 s3, s3
; %bb.426:
	v_mov_b32_e32 v3, 0x7f
	v_cmp_lt_u32_e32 vcc_lo, 0x7f800000, v7
	s_delay_alu instid0(VALU_DEP_2)
	v_cndmask_b32_e32 v3, 0x7c, v3, vcc_lo
; %bb.427:
	s_or_b32 exec_lo, exec_lo, s3
	v_lshrrev_b32_e32 v2, 24, v2
	s_delay_alu instid0(VALU_DEP_1)
	v_and_or_b32 v2, 0x80, v2, v3
	global_store_b8 v[4:5], v2, off
.LBB15_428:
	s_mov_b32 s27, 0
	s_mov_b32 s3, -1
.LBB15_429:
	s_and_not1_b32 vcc_lo, exec_lo, s27
	s_cbranch_vccnz .LBB15_437
; %bb.430:
	v_cmp_lt_i16_e32 vcc_lo, 14, v6
	s_mov_b32 s27, -1
	s_cbranch_vccz .LBB15_434
; %bb.431:
	v_cmp_eq_u16_e32 vcc_lo, 15, v6
	s_mov_b32 s2, -1
	s_cbranch_vccz .LBB15_433
; %bb.432:
	v_cvt_f32_f64_e32 v2, v[0:1]
	s_mov_b32 s3, -1
	s_mov_b32 s2, 0
	s_delay_alu instid0(VALU_DEP_1) | instskip(SKIP_1) | instid1(VALU_DEP_2)
	v_bfe_u32 v3, v2, 16, 1
	v_cmp_o_f32_e32 vcc_lo, v2, v2
	v_add3_u32 v3, v2, v3, 0x7fff
	s_delay_alu instid0(VALU_DEP_1) | instskip(NEXT) | instid1(VALU_DEP_1)
	v_lshrrev_b32_e32 v3, 16, v3
	v_cndmask_b32_e32 v2, 0x7fc0, v3, vcc_lo
	global_store_b16 v[4:5], v2, off
.LBB15_433:
	s_mov_b32 s27, 0
.LBB15_434:
	s_delay_alu instid0(SALU_CYCLE_1)
	s_and_b32 vcc_lo, exec_lo, s27
	s_cbranch_vccz .LBB15_437
; %bb.435:
	v_cmp_eq_u16_e32 vcc_lo, 11, v6
	s_mov_b32 s2, -1
	s_cbranch_vccz .LBB15_437
; %bb.436:
	v_cmp_neq_f64_e32 vcc_lo, 0, v[0:1]
	s_mov_b32 s3, -1
	s_mov_b32 s2, 0
	v_cndmask_b32_e64 v2, 0, 1, vcc_lo
	global_store_b8 v[4:5], v2, off
.LBB15_437:
.LBB15_438:
	s_and_not1_b32 vcc_lo, exec_lo, s3
	s_cbranch_vccnz .LBB15_356
.LBB15_439:
	v_add_nc_u32_e32 v10, 0x80, v10
	s_mov_b32 s3, -1
	s_branch .LBB15_552
.LBB15_440:
	s_mov_b32 s26, -1
                                        ; implicit-def: $vgpr3_vgpr4
.LBB15_441:
	s_mov_b32 s3, 0
.LBB15_442:
	s_delay_alu instid0(SALU_CYCLE_1)
	s_and_b32 vcc_lo, exec_lo, s3
	s_cbranch_vccz .LBB15_446
; %bb.443:
	v_cmp_eq_u16_e32 vcc_lo, 29, v9
	s_cbranch_vccz .LBB15_445
; %bb.444:
	global_load_b64 v[3:4], v[0:1], off
	s_mov_b32 s2, -1
	s_mov_b32 s26, 0
	s_mov_b32 s3, 0
	s_waitcnt vmcnt(0)
	v_cvt_f64_u32_e32 v[4:5], v4
	v_cvt_f64_u32_e32 v[6:7], v3
	s_delay_alu instid0(VALU_DEP_2) | instskip(NEXT) | instid1(VALU_DEP_1)
	v_ldexp_f64 v[4:5], v[4:5], 32
	v_add_f64 v[3:4], v[4:5], v[6:7]
	s_branch .LBB15_447
.LBB15_445:
	s_mov_b32 s26, -1
                                        ; implicit-def: $vgpr3_vgpr4
.LBB15_446:
	s_mov_b32 s3, 0
.LBB15_447:
	s_delay_alu instid0(SALU_CYCLE_1)
	s_and_b32 vcc_lo, exec_lo, s3
	s_cbranch_vccz .LBB15_467
; %bb.448:
	v_cmp_gt_i16_e32 vcc_lo, 27, v9
	s_cbranch_vccnz .LBB15_451
; %bb.449:
	v_cmp_lt_i16_e32 vcc_lo, 27, v9
	s_cbranch_vccz .LBB15_452
; %bb.450:
	global_load_b32 v3, v[0:1], off
	s_mov_b32 s2, 0
	s_waitcnt vmcnt(0)
	v_cvt_f64_u32_e32 v[3:4], v3
	s_branch .LBB15_453
.LBB15_451:
	s_mov_b32 s2, -1
                                        ; implicit-def: $vgpr3_vgpr4
	s_branch .LBB15_456
.LBB15_452:
	s_mov_b32 s2, -1
                                        ; implicit-def: $vgpr3_vgpr4
.LBB15_453:
	s_delay_alu instid0(SALU_CYCLE_1)
	s_and_not1_b32 vcc_lo, exec_lo, s2
	s_cbranch_vccnz .LBB15_455
; %bb.454:
	global_load_u16 v3, v[0:1], off
	s_waitcnt vmcnt(0)
	v_cvt_f64_u32_e32 v[3:4], v3
.LBB15_455:
	s_mov_b32 s2, 0
.LBB15_456:
	s_delay_alu instid0(SALU_CYCLE_1)
	s_and_not1_b32 vcc_lo, exec_lo, s2
	s_cbranch_vccnz .LBB15_466
; %bb.457:
	global_load_u8 v5, v[0:1], off
	s_mov_b32 s27, 0
	s_mov_b32 s44, exec_lo
                                        ; implicit-def: $sgpr2_sgpr3
	s_waitcnt vmcnt(0)
	v_cmpx_lt_i16_e32 0x7f, v5
	s_xor_b32 s44, exec_lo, s44
	s_cbranch_execz .LBB15_461
; %bb.458:
	s_mov_b32 s45, -1
	s_mov_b32 s27, exec_lo
                                        ; implicit-def: $sgpr2_sgpr3
	v_cmpx_eq_u16_e32 0x80, v5
; %bb.459:
	s_mov_b32 s3, 0x7ff80000
	s_brev_b32 s2, 4
	s_xor_b32 s45, exec_lo, -1
; %bb.460:
	s_or_b32 exec_lo, exec_lo, s27
	s_delay_alu instid0(SALU_CYCLE_1)
	s_and_b32 s27, s45, exec_lo
.LBB15_461:
	s_or_saveexec_b32 s44, s44
	v_dual_mov_b32 v4, s3 :: v_dual_mov_b32 v3, s2
	s_xor_b32 exec_lo, exec_lo, s44
; %bb.462:
	v_cmp_ne_u16_e32 vcc_lo, 0, v5
	v_mov_b32_e32 v3, 0
	v_mov_b32_e32 v4, 0
	s_and_not1_b32 s2, s27, exec_lo
	s_and_b32 s3, vcc_lo, exec_lo
	s_delay_alu instid0(SALU_CYCLE_1)
	s_or_b32 s27, s2, s3
; %bb.463:
	s_or_b32 exec_lo, exec_lo, s44
	s_and_saveexec_b32 s2, s27
	s_cbranch_execz .LBB15_465
; %bb.464:
	v_and_b32_e32 v3, 0xffff, v5
	v_lshlrev_b32_e32 v5, 24, v5
	s_delay_alu instid0(VALU_DEP_2) | instskip(NEXT) | instid1(VALU_DEP_2)
	v_and_b32_e32 v4, 7, v3
	v_and_b32_e32 v5, 0x80000000, v5
	s_delay_alu instid0(VALU_DEP_2) | instskip(NEXT) | instid1(VALU_DEP_1)
	v_clz_i32_u32_e32 v6, v4
	v_min_u32_e32 v6, 32, v6
	s_delay_alu instid0(VALU_DEP_1) | instskip(SKIP_1) | instid1(VALU_DEP_2)
	v_subrev_nc_u32_e32 v7, 28, v6
	v_sub_nc_u32_e32 v6, 29, v6
	v_lshlrev_b32_e32 v7, v7, v3
	v_bfe_u32 v3, v3, 3, 4
	s_delay_alu instid0(VALU_DEP_2) | instskip(NEXT) | instid1(VALU_DEP_2)
	v_and_b32_e32 v7, 7, v7
	v_cmp_eq_u32_e32 vcc_lo, 0, v3
	s_delay_alu instid0(VALU_DEP_2) | instskip(NEXT) | instid1(VALU_DEP_1)
	v_dual_cndmask_b32 v3, v3, v6 :: v_dual_cndmask_b32 v4, v4, v7
	v_lshl_add_u32 v3, v3, 23, 0x3b800000
	s_delay_alu instid0(VALU_DEP_2) | instskip(NEXT) | instid1(VALU_DEP_1)
	v_lshlrev_b32_e32 v4, 20, v4
	v_or3_b32 v3, v5, v3, v4
	s_delay_alu instid0(VALU_DEP_1)
	v_cvt_f64_f32_e32 v[3:4], v3
.LBB15_465:
	s_or_b32 exec_lo, exec_lo, s2
.LBB15_466:
	s_mov_b32 s2, -1
.LBB15_467:
	s_mov_b32 s3, 0
.LBB15_468:
	s_delay_alu instid0(SALU_CYCLE_1)
	s_and_b32 vcc_lo, exec_lo, s3
	s_cbranch_vccz .LBB15_501
; %bb.469:
	v_cmp_lt_i16_e32 vcc_lo, 22, v9
	s_cbranch_vccz .LBB15_481
; %bb.470:
	v_cmp_gt_i16_e32 vcc_lo, 24, v9
	s_cbranch_vccnz .LBB15_482
; %bb.471:
	v_cmp_lt_i16_e32 vcc_lo, 24, v9
	s_cbranch_vccz .LBB15_483
; %bb.472:
	global_load_u8 v5, v[0:1], off
	s_mov_b32 s27, 0
	s_mov_b32 s44, exec_lo
                                        ; implicit-def: $sgpr2_sgpr3
	s_waitcnt vmcnt(0)
	v_cmpx_lt_i16_e32 0x7f, v5
	s_xor_b32 s44, exec_lo, s44
	s_cbranch_execz .LBB15_476
; %bb.473:
	s_mov_b32 s45, -1
	s_mov_b32 s27, exec_lo
                                        ; implicit-def: $sgpr2_sgpr3
	v_cmpx_eq_u16_e32 0x80, v5
; %bb.474:
	s_mov_b32 s3, 0x7ff80000
	s_brev_b32 s2, 4
	s_xor_b32 s45, exec_lo, -1
; %bb.475:
	s_or_b32 exec_lo, exec_lo, s27
	s_delay_alu instid0(SALU_CYCLE_1)
	s_and_b32 s27, s45, exec_lo
.LBB15_476:
	s_or_saveexec_b32 s44, s44
	v_dual_mov_b32 v4, s3 :: v_dual_mov_b32 v3, s2
	s_xor_b32 exec_lo, exec_lo, s44
; %bb.477:
	v_cmp_ne_u16_e32 vcc_lo, 0, v5
	v_mov_b32_e32 v3, 0
	v_mov_b32_e32 v4, 0
	s_and_not1_b32 s2, s27, exec_lo
	s_and_b32 s3, vcc_lo, exec_lo
	s_delay_alu instid0(SALU_CYCLE_1)
	s_or_b32 s27, s2, s3
; %bb.478:
	s_or_b32 exec_lo, exec_lo, s44
	s_and_saveexec_b32 s2, s27
	s_cbranch_execz .LBB15_480
; %bb.479:
	v_and_b32_e32 v3, 0xffff, v5
	v_lshlrev_b32_e32 v5, 24, v5
	s_delay_alu instid0(VALU_DEP_2) | instskip(NEXT) | instid1(VALU_DEP_2)
	v_and_b32_e32 v4, 3, v3
	v_and_b32_e32 v5, 0x80000000, v5
	s_delay_alu instid0(VALU_DEP_2) | instskip(NEXT) | instid1(VALU_DEP_1)
	v_clz_i32_u32_e32 v6, v4
	v_min_u32_e32 v6, 32, v6
	s_delay_alu instid0(VALU_DEP_1) | instskip(SKIP_1) | instid1(VALU_DEP_2)
	v_subrev_nc_u32_e32 v7, 29, v6
	v_sub_nc_u32_e32 v6, 30, v6
	v_lshlrev_b32_e32 v7, v7, v3
	v_bfe_u32 v3, v3, 2, 5
	s_delay_alu instid0(VALU_DEP_2) | instskip(NEXT) | instid1(VALU_DEP_2)
	v_and_b32_e32 v7, 3, v7
	v_cmp_eq_u32_e32 vcc_lo, 0, v3
	s_delay_alu instid0(VALU_DEP_2) | instskip(NEXT) | instid1(VALU_DEP_1)
	v_dual_cndmask_b32 v3, v3, v6 :: v_dual_cndmask_b32 v4, v4, v7
	v_lshl_add_u32 v3, v3, 23, 0x37800000
	s_delay_alu instid0(VALU_DEP_2) | instskip(NEXT) | instid1(VALU_DEP_1)
	v_lshlrev_b32_e32 v4, 21, v4
	v_or3_b32 v3, v5, v3, v4
	s_delay_alu instid0(VALU_DEP_1)
	v_cvt_f64_f32_e32 v[3:4], v3
.LBB15_480:
	s_or_b32 exec_lo, exec_lo, s2
	s_mov_b32 s2, 0
	s_branch .LBB15_484
.LBB15_481:
	s_mov_b32 s3, -1
                                        ; implicit-def: $vgpr3_vgpr4
	s_branch .LBB15_490
.LBB15_482:
	s_mov_b32 s2, -1
                                        ; implicit-def: $vgpr3_vgpr4
	s_branch .LBB15_487
.LBB15_483:
	s_mov_b32 s2, -1
                                        ; implicit-def: $vgpr3_vgpr4
.LBB15_484:
	s_delay_alu instid0(SALU_CYCLE_1)
	s_and_b32 vcc_lo, exec_lo, s2
	s_cbranch_vccz .LBB15_486
; %bb.485:
	global_load_u8 v3, v[0:1], off
	s_waitcnt vmcnt(0)
	v_lshlrev_b32_e32 v3, 24, v3
	s_delay_alu instid0(VALU_DEP_1) | instskip(NEXT) | instid1(VALU_DEP_1)
	v_and_b32_e32 v4, 0x7f000000, v3
	v_clz_i32_u32_e32 v5, v4
	v_add_nc_u32_e32 v7, 0x1000000, v4
	v_cmp_ne_u32_e32 vcc_lo, 0, v4
	s_delay_alu instid0(VALU_DEP_3) | instskip(NEXT) | instid1(VALU_DEP_1)
	v_min_u32_e32 v5, 32, v5
	v_sub_nc_u32_e64 v5, v5, 4 clamp
	s_delay_alu instid0(VALU_DEP_1) | instskip(SKIP_1) | instid1(VALU_DEP_2)
	v_lshlrev_b32_e32 v6, v5, v4
	v_lshlrev_b32_e32 v5, 23, v5
	v_lshrrev_b32_e32 v6, 4, v6
	s_delay_alu instid0(VALU_DEP_1) | instskip(SKIP_1) | instid1(VALU_DEP_2)
	v_sub_nc_u32_e32 v5, v6, v5
	v_ashrrev_i32_e32 v6, 8, v7
	v_add_nc_u32_e32 v5, 0x3c000000, v5
	s_delay_alu instid0(VALU_DEP_1) | instskip(NEXT) | instid1(VALU_DEP_1)
	v_and_or_b32 v5, 0x7f800000, v6, v5
	v_cndmask_b32_e32 v4, 0, v5, vcc_lo
	s_delay_alu instid0(VALU_DEP_1) | instskip(NEXT) | instid1(VALU_DEP_1)
	v_and_or_b32 v3, 0x80000000, v3, v4
	v_cvt_f64_f32_e32 v[3:4], v3
.LBB15_486:
	s_mov_b32 s2, 0
.LBB15_487:
	s_delay_alu instid0(SALU_CYCLE_1)
	s_and_not1_b32 vcc_lo, exec_lo, s2
	s_cbranch_vccnz .LBB15_489
; %bb.488:
	global_load_u8 v3, v[0:1], off
	s_waitcnt vmcnt(0)
	v_lshlrev_b32_e32 v4, 25, v3
	v_lshlrev_b16 v3, 8, v3
	s_delay_alu instid0(VALU_DEP_2) | instskip(NEXT) | instid1(VALU_DEP_2)
	v_lshrrev_b32_e32 v5, 4, v4
	v_and_or_b32 v6, 0x7f00, v3, 0.5
	v_bfe_i32 v3, v3, 0, 16
	s_delay_alu instid0(VALU_DEP_3) | instskip(NEXT) | instid1(VALU_DEP_1)
	v_or_b32_e32 v5, 0x70000000, v5
	v_dual_add_f32 v6, -0.5, v6 :: v_dual_mul_f32 v5, 0x7800000, v5
	v_cmp_gt_u32_e32 vcc_lo, 0x8000000, v4
	s_delay_alu instid0(VALU_DEP_2) | instskip(NEXT) | instid1(VALU_DEP_1)
	v_cndmask_b32_e32 v4, v5, v6, vcc_lo
	v_and_or_b32 v3, 0x80000000, v3, v4
	s_delay_alu instid0(VALU_DEP_1)
	v_cvt_f64_f32_e32 v[3:4], v3
.LBB15_489:
	s_mov_b32 s3, 0
	s_mov_b32 s2, -1
.LBB15_490:
	s_and_not1_b32 vcc_lo, exec_lo, s3
	s_cbranch_vccnz .LBB15_501
; %bb.491:
	v_cmp_lt_i16_e32 vcc_lo, 14, v9
	s_cbranch_vccz .LBB15_494
; %bb.492:
	v_cmp_eq_u16_e32 vcc_lo, 15, v9
	s_cbranch_vccz .LBB15_495
; %bb.493:
	global_load_u16 v3, v[0:1], off
	s_mov_b32 s2, -1
	s_mov_b32 s26, 0
	s_waitcnt vmcnt(0)
	v_lshlrev_b32_e32 v3, 16, v3
	s_delay_alu instid0(VALU_DEP_1)
	v_cvt_f64_f32_e32 v[3:4], v3
	s_branch .LBB15_496
.LBB15_494:
	s_mov_b32 s3, -1
                                        ; implicit-def: $vgpr3_vgpr4
	s_branch .LBB15_497
.LBB15_495:
	s_mov_b32 s26, -1
                                        ; implicit-def: $vgpr3_vgpr4
.LBB15_496:
	s_mov_b32 s3, 0
.LBB15_497:
	s_delay_alu instid0(SALU_CYCLE_1)
	s_and_b32 vcc_lo, exec_lo, s3
	s_cbranch_vccz .LBB15_501
; %bb.498:
	v_cmp_eq_u16_e32 vcc_lo, 11, v9
	s_cbranch_vccz .LBB15_500
; %bb.499:
	global_load_u8 v3, v[0:1], off
	s_mov_b32 s26, 0
	s_mov_b32 s2, -1
	s_waitcnt vmcnt(0)
	v_cmp_ne_u16_e32 vcc_lo, 0, v3
	v_mov_b32_e32 v3, 0
	v_cndmask_b32_e64 v4, 0, 0x3ff00000, vcc_lo
	s_branch .LBB15_501
.LBB15_500:
	s_mov_b32 s26, -1
                                        ; implicit-def: $vgpr3_vgpr4
.LBB15_501:
	s_branch .LBB15_296
.LBB15_502:
	v_cmp_gt_i16_e32 vcc_lo, 5, v9
	s_cbranch_vccnz .LBB15_507
; %bb.503:
	v_cmp_gt_i16_e32 vcc_lo, 8, v9
	s_cbranch_vccnz .LBB15_508
; %bb.504:
	;; [unrolled: 3-line block ×3, first 2 shown]
	v_cmp_lt_i16_e32 vcc_lo, 9, v9
	s_cbranch_vccz .LBB15_510
; %bb.506:
	global_load_b64 v[3:4], v[0:1], off
	s_mov_b32 s2, 0
	s_branch .LBB15_511
.LBB15_507:
	s_mov_b32 s2, -1
                                        ; implicit-def: $vgpr3_vgpr4
	s_branch .LBB15_529
.LBB15_508:
	s_mov_b32 s2, -1
                                        ; implicit-def: $vgpr3_vgpr4
	s_branch .LBB15_517
.LBB15_509:
	s_mov_b32 s2, -1
                                        ; implicit-def: $vgpr3_vgpr4
	s_branch .LBB15_514
.LBB15_510:
	s_mov_b32 s2, -1
                                        ; implicit-def: $vgpr3_vgpr4
.LBB15_511:
	s_delay_alu instid0(SALU_CYCLE_1)
	s_and_not1_b32 vcc_lo, exec_lo, s2
	s_cbranch_vccnz .LBB15_513
; %bb.512:
	global_load_b32 v3, v[0:1], off
	s_waitcnt vmcnt(0)
	v_cvt_f64_f32_e32 v[3:4], v3
.LBB15_513:
	s_mov_b32 s2, 0
.LBB15_514:
	s_delay_alu instid0(SALU_CYCLE_1)
	s_and_not1_b32 vcc_lo, exec_lo, s2
	s_cbranch_vccnz .LBB15_516
; %bb.515:
	global_load_b32 v3, v[0:1], off
	s_waitcnt vmcnt(0)
	v_cvt_f32_f16_e32 v3, v3
	s_delay_alu instid0(VALU_DEP_1)
	v_cvt_f64_f32_e32 v[3:4], v3
.LBB15_516:
	s_mov_b32 s2, 0
.LBB15_517:
	s_delay_alu instid0(SALU_CYCLE_1)
	s_and_not1_b32 vcc_lo, exec_lo, s2
	s_cbranch_vccnz .LBB15_528
; %bb.518:
	v_cmp_gt_i16_e32 vcc_lo, 6, v9
	s_cbranch_vccnz .LBB15_521
; %bb.519:
	v_cmp_lt_i16_e32 vcc_lo, 6, v9
	s_cbranch_vccz .LBB15_522
; %bb.520:
	global_load_b64 v[3:4], v[0:1], off
	s_mov_b32 s2, 0
	s_branch .LBB15_523
.LBB15_521:
	s_mov_b32 s2, -1
                                        ; implicit-def: $vgpr3_vgpr4
	s_branch .LBB15_526
.LBB15_522:
	s_mov_b32 s2, -1
                                        ; implicit-def: $vgpr3_vgpr4
.LBB15_523:
	s_delay_alu instid0(SALU_CYCLE_1)
	s_and_not1_b32 vcc_lo, exec_lo, s2
	s_cbranch_vccnz .LBB15_525
; %bb.524:
	global_load_b32 v3, v[0:1], off
	s_waitcnt vmcnt(0)
	v_cvt_f64_f32_e32 v[3:4], v3
.LBB15_525:
	s_mov_b32 s2, 0
.LBB15_526:
	s_delay_alu instid0(SALU_CYCLE_1)
	s_and_not1_b32 vcc_lo, exec_lo, s2
	s_cbranch_vccnz .LBB15_528
; %bb.527:
	global_load_u16 v3, v[0:1], off
	s_waitcnt vmcnt(0)
	v_cvt_f32_f16_e32 v3, v3
	s_delay_alu instid0(VALU_DEP_1)
	v_cvt_f64_f32_e32 v[3:4], v3
.LBB15_528:
	s_mov_b32 s2, 0
.LBB15_529:
	s_delay_alu instid0(SALU_CYCLE_1)
	s_and_not1_b32 vcc_lo, exec_lo, s2
	s_cbranch_vccnz .LBB15_549
; %bb.530:
	v_cmp_gt_i16_e32 vcc_lo, 2, v9
	s_cbranch_vccnz .LBB15_534
; %bb.531:
	v_cmp_gt_i16_e32 vcc_lo, 3, v9
	s_cbranch_vccnz .LBB15_535
; %bb.532:
	v_cmp_lt_i16_e32 vcc_lo, 3, v9
	s_cbranch_vccz .LBB15_536
; %bb.533:
	global_load_b64 v[3:4], v[0:1], off
	s_mov_b32 s2, 0
	s_waitcnt vmcnt(0)
	v_cvt_f64_i32_e32 v[4:5], v4
	v_cvt_f64_u32_e32 v[6:7], v3
	s_delay_alu instid0(VALU_DEP_2) | instskip(NEXT) | instid1(VALU_DEP_1)
	v_ldexp_f64 v[4:5], v[4:5], 32
	v_add_f64 v[3:4], v[4:5], v[6:7]
	s_branch .LBB15_537
.LBB15_534:
	s_mov_b32 s2, -1
                                        ; implicit-def: $vgpr3_vgpr4
	s_branch .LBB15_543
.LBB15_535:
	s_mov_b32 s2, -1
                                        ; implicit-def: $vgpr3_vgpr4
	s_branch .LBB15_540
.LBB15_536:
	s_mov_b32 s2, -1
                                        ; implicit-def: $vgpr3_vgpr4
.LBB15_537:
	s_delay_alu instid0(SALU_CYCLE_1)
	s_and_not1_b32 vcc_lo, exec_lo, s2
	s_cbranch_vccnz .LBB15_539
; %bb.538:
	global_load_b32 v3, v[0:1], off
	s_waitcnt vmcnt(0)
	v_cvt_f64_i32_e32 v[3:4], v3
.LBB15_539:
	s_mov_b32 s2, 0
.LBB15_540:
	s_delay_alu instid0(SALU_CYCLE_1)
	s_and_not1_b32 vcc_lo, exec_lo, s2
	s_cbranch_vccnz .LBB15_542
; %bb.541:
	global_load_i16 v3, v[0:1], off
	s_waitcnt vmcnt(0)
	v_cvt_f64_i32_e32 v[3:4], v3
.LBB15_542:
	s_mov_b32 s2, 0
.LBB15_543:
	s_delay_alu instid0(SALU_CYCLE_1)
	s_and_not1_b32 vcc_lo, exec_lo, s2
	s_cbranch_vccnz .LBB15_549
; %bb.544:
	v_cmp_lt_i16_e32 vcc_lo, 0, v9
	s_mov_b32 s2, 0
	s_cbranch_vccz .LBB15_546
; %bb.545:
	global_load_i8 v3, v[0:1], off
	s_waitcnt vmcnt(0)
	v_cvt_f64_i32_e32 v[3:4], v3
	s_branch .LBB15_547
.LBB15_546:
	s_mov_b32 s2, -1
                                        ; implicit-def: $vgpr3_vgpr4
.LBB15_547:
	s_delay_alu instid0(SALU_CYCLE_1)
	s_and_not1_b32 vcc_lo, exec_lo, s2
	s_cbranch_vccnz .LBB15_549
; %bb.548:
	global_load_u8 v0, v[0:1], off
	s_waitcnt vmcnt(0)
	v_cvt_f64_u32_e32 v[3:4], v0
.LBB15_549:
	s_branch .LBB15_297
.LBB15_550:
	s_mov_b32 s3, 0
	s_mov_b32 s2, s41
.LBB15_551:
                                        ; implicit-def: $vgpr10
.LBB15_552:
	s_and_not1_b32 s27, s41, exec_lo
	s_and_b32 s2, s2, exec_lo
	s_and_not1_b32 s44, s42, exec_lo
	s_and_b32 s26, s26, exec_lo
	s_or_b32 s45, s27, s2
	s_or_b32 s44, s44, s26
	s_or_not1_b32 s2, s3, exec_lo
.LBB15_553:
	s_or_b32 exec_lo, exec_lo, s46
	s_mov_b32 s3, 0
	s_mov_b32 s27, 0
	;; [unrolled: 1-line block ×3, first 2 shown]
                                        ; implicit-def: $vgpr0_vgpr1
                                        ; implicit-def: $vgpr2
                                        ; implicit-def: $vgpr6_vgpr7
	s_and_saveexec_b32 s46, s2
	s_cbranch_execz .LBB15_935
; %bb.554:
	s_mov_b32 s49, -1
	s_mov_b32 s26, s44
	s_mov_b32 s27, s45
	s_mov_b32 s47, exec_lo
	v_cmpx_gt_i32_e64 s38, v10
	s_cbranch_execz .LBB15_836
; %bb.555:
	s_and_not1_b32 vcc_lo, exec_lo, s31
	s_cbranch_vccnz .LBB15_560
; %bb.556:
	v_mov_b32_e32 v2, 0
	v_mov_b32_e32 v0, 0
	s_and_not1_b32 vcc_lo, exec_lo, s40
	s_mov_b32 s48, 0
	s_cbranch_vccnz .LBB15_565
; %bb.557:
	v_mov_b32_e32 v2, 0
	s_add_i32 s50, s39, 1
	s_cmp_eq_u32 s29, 2
	s_mov_b32 s49, 0
	s_cbranch_scc1 .LBB15_561
; %bb.558:
	v_dual_mov_b32 v0, 0 :: v_dual_mov_b32 v1, v10
	v_mov_b32_e32 v2, 0
	s_and_b32 s49, s50, 28
	s_mov_b32 s51, 0
	s_mov_b64 s[2:3], s[24:25]
	s_mov_b64 s[26:27], s[16:17]
.LBB15_559:                             ; =>This Inner Loop Header: Depth=1
	s_clause 0x1
	s_load_b256 s[52:59], s[26:27], 0x4
	s_load_b128 s[68:71], s[26:27], 0x24
	s_load_b256 s[60:67], s[2:3], 0x0
	s_add_u32 s26, s26, 48
	s_addc_u32 s27, s27, 0
	s_add_i32 s51, s51, 4
	s_add_u32 s2, s2, 32
	s_addc_u32 s3, s3, 0
	s_cmp_eq_u32 s49, s51
	s_waitcnt vmcnt(0) lgkmcnt(0)
	v_mul_hi_u32 v3, s53, v1
	s_delay_alu instid0(VALU_DEP_1) | instskip(NEXT) | instid1(VALU_DEP_1)
	v_add_nc_u32_e32 v3, v1, v3
	v_lshrrev_b32_e32 v3, s54, v3
	s_delay_alu instid0(VALU_DEP_1) | instskip(SKIP_1) | instid1(VALU_DEP_2)
	v_mul_hi_u32 v4, s56, v3
	v_mul_lo_u32 v6, v3, s52
	v_add_nc_u32_e32 v4, v3, v4
	s_delay_alu instid0(VALU_DEP_2) | instskip(NEXT) | instid1(VALU_DEP_2)
	v_sub_nc_u32_e32 v1, v1, v6
	v_lshrrev_b32_e32 v4, s57, v4
	s_delay_alu instid0(VALU_DEP_2) | instskip(SKIP_1) | instid1(VALU_DEP_3)
	v_mul_lo_u32 v6, v1, s60
	v_mul_lo_u32 v8, v1, s61
	v_mul_hi_u32 v5, s59, v4
	s_delay_alu instid0(VALU_DEP_1) | instskip(NEXT) | instid1(VALU_DEP_1)
	v_add_nc_u32_e32 v5, v4, v5
	v_lshrrev_b32_e32 v5, s68, v5
	s_delay_alu instid0(VALU_DEP_1) | instskip(SKIP_1) | instid1(VALU_DEP_2)
	v_mul_hi_u32 v7, s70, v5
	v_mul_lo_u32 v11, v5, s58
	v_add_nc_u32_e32 v1, v5, v7
	v_mul_lo_u32 v7, v4, s55
	s_delay_alu instid0(VALU_DEP_3) | instskip(NEXT) | instid1(VALU_DEP_3)
	v_sub_nc_u32_e32 v4, v4, v11
	v_lshrrev_b32_e32 v1, s71, v1
	s_delay_alu instid0(VALU_DEP_2) | instskip(SKIP_2) | instid1(VALU_DEP_4)
	v_mul_lo_u32 v11, v4, s64
	v_mul_lo_u32 v4, v4, s65
	v_sub_nc_u32_e32 v3, v3, v7
	v_mul_lo_u32 v12, v1, s69
	s_delay_alu instid0(VALU_DEP_2) | instskip(SKIP_1) | instid1(VALU_DEP_3)
	v_mul_lo_u32 v7, v3, s62
	v_mul_lo_u32 v3, v3, s63
	v_sub_nc_u32_e32 v5, v5, v12
	s_delay_alu instid0(VALU_DEP_3) | instskip(NEXT) | instid1(VALU_DEP_2)
	v_add3_u32 v2, v6, v2, v7
	v_mul_lo_u32 v12, v5, s66
	v_mul_lo_u32 v5, v5, s67
	v_add3_u32 v0, v8, v0, v3
	s_delay_alu instid0(VALU_DEP_3) | instskip(NEXT) | instid1(VALU_DEP_2)
	v_add3_u32 v2, v11, v2, v12
	v_add3_u32 v0, v4, v0, v5
	s_cbranch_scc0 .LBB15_559
	s_branch .LBB15_562
.LBB15_560:
	s_mov_b32 s48, -1
                                        ; implicit-def: $vgpr2
                                        ; implicit-def: $vgpr0
	s_branch .LBB15_565
.LBB15_561:
	v_dual_mov_b32 v1, v10 :: v_dual_mov_b32 v0, 0
.LBB15_562:
	s_and_b32 s50, s50, 3
	s_delay_alu instid0(SALU_CYCLE_1)
	s_cmp_eq_u32 s50, 0
	s_cbranch_scc1 .LBB15_565
; %bb.563:
	s_lshl_b32 s2, s49, 3
	s_mul_i32 s26, s49, 12
	s_add_u32 s2, s2, s16
	s_addc_u32 s3, s17, 0
	s_add_u32 s2, s2, 0xc4
	s_addc_u32 s3, s3, 0
	;; [unrolled: 2-line block ×3, first 2 shown]
	.p2align	6
.LBB15_564:                             ; =>This Inner Loop Header: Depth=1
	s_clause 0x1
	s_load_b64 s[52:53], s[26:27], 0x4
	s_load_b32 s49, s[26:27], 0xc
	s_load_b64 s[54:55], s[2:3], 0x0
	s_add_u32 s26, s26, 12
	s_addc_u32 s27, s27, 0
	s_add_u32 s2, s2, 8
	s_addc_u32 s3, s3, 0
	s_add_i32 s50, s50, -1
	s_delay_alu instid0(SALU_CYCLE_1) | instskip(SKIP_2) | instid1(VALU_DEP_1)
	s_cmp_lg_u32 s50, 0
	s_waitcnt vmcnt(0) lgkmcnt(0)
	v_mul_hi_u32 v3, s53, v1
	v_add_nc_u32_e32 v3, v1, v3
	s_delay_alu instid0(VALU_DEP_1) | instskip(NEXT) | instid1(VALU_DEP_1)
	v_lshrrev_b32_e32 v6, s49, v3
	v_mul_lo_u32 v3, v6, s52
	s_delay_alu instid0(VALU_DEP_1) | instskip(NEXT) | instid1(VALU_DEP_1)
	v_sub_nc_u32_e32 v1, v1, v3
	v_mad_u64_u32 v[3:4], null, v1, s54, v[2:3]
	v_mad_u64_u32 v[4:5], null, v1, s55, v[0:1]
	s_delay_alu instid0(VALU_DEP_2) | instskip(NEXT) | instid1(VALU_DEP_2)
	v_dual_mov_b32 v1, v6 :: v_dual_mov_b32 v2, v3
	v_mov_b32_e32 v0, v4
	s_cbranch_scc1 .LBB15_564
.LBB15_565:
	s_and_not1_b32 vcc_lo, exec_lo, s48
	s_cbranch_vccnz .LBB15_568
; %bb.566:
	s_waitcnt lgkmcnt(0)
	v_mul_hi_u32 v0, s13, v10
	s_and_not1_b32 vcc_lo, exec_lo, s37
	s_delay_alu instid0(VALU_DEP_1) | instskip(NEXT) | instid1(VALU_DEP_1)
	v_add_nc_u32_e32 v0, v10, v0
	v_lshrrev_b32_e32 v1, s14, v0
	s_delay_alu instid0(VALU_DEP_1) | instskip(NEXT) | instid1(VALU_DEP_1)
	v_mul_lo_u32 v0, v1, s12
	v_sub_nc_u32_e32 v0, v10, v0
	s_delay_alu instid0(VALU_DEP_1)
	v_mul_lo_u32 v2, v0, s8
	v_mul_lo_u32 v0, v0, s9
	s_cbranch_vccnz .LBB15_568
; %bb.567:
	s_waitcnt vmcnt(0)
	v_mul_hi_u32 v3, s22, v1
	s_delay_alu instid0(VALU_DEP_1) | instskip(NEXT) | instid1(VALU_DEP_1)
	v_add_nc_u32_e32 v3, v1, v3
	v_lshrrev_b32_e32 v3, s23, v3
	s_delay_alu instid0(VALU_DEP_1) | instskip(NEXT) | instid1(VALU_DEP_1)
	v_mul_lo_u32 v3, v3, s15
	v_sub_nc_u32_e32 v5, v1, v3
	s_delay_alu instid0(VALU_DEP_1) | instskip(SKIP_1) | instid1(VALU_DEP_2)
	v_mad_u64_u32 v[3:4], null, v5, s10, v[2:3]
	v_mad_u64_u32 v[1:2], null, v5, s11, v[0:1]
	v_mov_b32_e32 v2, v3
	s_delay_alu instid0(VALU_DEP_2)
	v_mov_b32_e32 v0, v1
.LBB15_568:
	v_cmp_gt_i16_e32 vcc_lo, 11, v9
	s_waitcnt lgkmcnt(0)
	s_delay_alu instid0(VALU_DEP_2) | instskip(NEXT) | instid1(VALU_DEP_1)
	v_add_co_u32 v0, s2, s6, v0
	v_add_co_ci_u32_e64 v1, null, s7, 0, s2
	s_mov_b32 s2, 0
	s_cbranch_vccnz .LBB15_575
; %bb.569:
	v_cmp_lt_i16_e32 vcc_lo, 25, v9
	s_cbranch_vccz .LBB15_576
; %bb.570:
	v_cmp_lt_i16_e32 vcc_lo, 28, v9
	s_cbranch_vccz .LBB15_577
	;; [unrolled: 3-line block ×4, first 2 shown]
; %bb.573:
	v_cmp_eq_u16_e32 vcc_lo, 46, v9
	s_mov_b32 s3, 0
	s_cbranch_vccz .LBB15_584
; %bb.574:
	global_load_b32 v3, v[0:1], off
	s_mov_b32 s2, -1
	s_mov_b32 s26, 0
	s_waitcnt vmcnt(0)
	v_lshlrev_b32_e32 v3, 16, v3
	s_delay_alu instid0(VALU_DEP_1)
	v_cvt_f64_f32_e32 v[3:4], v3
	s_branch .LBB15_586
.LBB15_575:
	s_mov_b32 s3, -1
	s_mov_b32 s26, s44
                                        ; implicit-def: $vgpr3_vgpr4
	s_branch .LBB15_651
.LBB15_576:
	s_mov_b32 s3, -1
	s_mov_b32 s26, s44
                                        ; implicit-def: $vgpr3_vgpr4
	s_branch .LBB15_617
.LBB15_577:
	s_mov_b32 s3, -1
	s_mov_b32 s26, s44
                                        ; implicit-def: $vgpr3_vgpr4
	s_branch .LBB15_596
.LBB15_578:
	s_mov_b32 s3, -1
	s_mov_b32 s26, s44
                                        ; implicit-def: $vgpr3_vgpr4
	s_branch .LBB15_591
.LBB15_579:
	s_or_saveexec_b32 s44, s44
                                        ; implicit-def: $sgpr45
	s_delay_alu instid0(SALU_CYCLE_1)
	s_xor_b32 exec_lo, exec_lo, s44
	s_cbranch_execz .LBB15_390
.LBB15_580:
	v_add_f32_e64 v3, 0x46000000, |v2|
	s_and_not1_b32 s27, s27, exec_lo
	s_mov_b32 s45, 0
	s_delay_alu instid0(VALU_DEP_1) | instskip(NEXT) | instid1(VALU_DEP_1)
	v_and_b32_e32 v3, 0xff, v3
	v_cmp_ne_u32_e32 vcc_lo, 0, v3
	s_and_b32 s47, vcc_lo, exec_lo
	s_delay_alu instid0(SALU_CYCLE_1)
	s_or_b32 s27, s27, s47
	s_or_b32 exec_lo, exec_lo, s44
	v_mov_b32_e32 v7, s45
	s_and_saveexec_b32 s44, s27
	s_cbranch_execnz .LBB15_391
	s_branch .LBB15_392
.LBB15_581:
	s_mov_b32 s3, -1
	s_mov_b32 s26, s44
	s_branch .LBB15_585
.LBB15_582:
	s_or_saveexec_b32 s44, s44
                                        ; implicit-def: $sgpr45
	s_delay_alu instid0(SALU_CYCLE_1)
	s_xor_b32 exec_lo, exec_lo, s44
	s_cbranch_execz .LBB15_403
.LBB15_583:
	v_add_f32_e64 v3, 0x42800000, |v2|
	s_and_not1_b32 s27, s27, exec_lo
	s_mov_b32 s45, 0
	s_delay_alu instid0(VALU_DEP_1) | instskip(NEXT) | instid1(VALU_DEP_1)
	v_and_b32_e32 v3, 0xff, v3
	v_cmp_ne_u32_e32 vcc_lo, 0, v3
	s_and_b32 s47, vcc_lo, exec_lo
	s_delay_alu instid0(SALU_CYCLE_1)
	s_or_b32 s27, s27, s47
	s_or_b32 exec_lo, exec_lo, s44
	v_mov_b32_e32 v7, s45
	s_and_saveexec_b32 s44, s27
	s_cbranch_execnz .LBB15_404
	s_branch .LBB15_405
.LBB15_584:
	s_mov_b32 s26, -1
.LBB15_585:
                                        ; implicit-def: $vgpr3_vgpr4
.LBB15_586:
	s_and_b32 vcc_lo, exec_lo, s3
	s_cbranch_vccz .LBB15_590
; %bb.587:
	v_cmp_eq_u16_e32 vcc_lo, 44, v9
	s_cbranch_vccz .LBB15_589
; %bb.588:
	global_load_u8 v5, v[0:1], off
	s_mov_b32 s26, 0
	s_mov_b32 s2, -1
	s_waitcnt vmcnt(0)
	v_cmp_ne_u32_e32 vcc_lo, 0xff, v5
	v_lshlrev_b32_e32 v3, 23, v5
	s_delay_alu instid0(VALU_DEP_1) | instskip(NEXT) | instid1(VALU_DEP_1)
	v_cvt_f64_f32_e32 v[3:4], v3
	v_cndmask_b32_e32 v4, 0x7ff80000, v4, vcc_lo
	s_delay_alu instid0(VALU_DEP_2) | instskip(SKIP_1) | instid1(VALU_DEP_3)
	v_cndmask_b32_e32 v3, 0x20000000, v3, vcc_lo
	v_cmp_ne_u32_e32 vcc_lo, 0, v5
	v_cndmask_b32_e32 v4, 0x38000000, v4, vcc_lo
	s_delay_alu instid0(VALU_DEP_3)
	v_cndmask_b32_e32 v3, 0, v3, vcc_lo
	s_branch .LBB15_590
.LBB15_589:
	s_mov_b32 s26, -1
                                        ; implicit-def: $vgpr3_vgpr4
.LBB15_590:
	s_mov_b32 s3, 0
.LBB15_591:
	s_delay_alu instid0(SALU_CYCLE_1)
	s_and_b32 vcc_lo, exec_lo, s3
	s_cbranch_vccz .LBB15_595
; %bb.592:
	v_cmp_eq_u16_e32 vcc_lo, 29, v9
	s_cbranch_vccz .LBB15_594
; %bb.593:
	global_load_b64 v[3:4], v[0:1], off
	s_mov_b32 s2, -1
	s_mov_b32 s26, 0
	s_mov_b32 s3, 0
	s_waitcnt vmcnt(0)
	v_cvt_f64_u32_e32 v[4:5], v4
	v_cvt_f64_u32_e32 v[6:7], v3
	s_delay_alu instid0(VALU_DEP_2) | instskip(NEXT) | instid1(VALU_DEP_1)
	v_ldexp_f64 v[4:5], v[4:5], 32
	v_add_f64 v[3:4], v[4:5], v[6:7]
	s_branch .LBB15_596
.LBB15_594:
	s_mov_b32 s26, -1
                                        ; implicit-def: $vgpr3_vgpr4
.LBB15_595:
	s_mov_b32 s3, 0
.LBB15_596:
	s_delay_alu instid0(SALU_CYCLE_1)
	s_and_b32 vcc_lo, exec_lo, s3
	s_cbranch_vccz .LBB15_616
; %bb.597:
	v_cmp_gt_i16_e32 vcc_lo, 27, v9
	s_cbranch_vccnz .LBB15_600
; %bb.598:
	v_cmp_lt_i16_e32 vcc_lo, 27, v9
	s_cbranch_vccz .LBB15_601
; %bb.599:
	global_load_b32 v3, v[0:1], off
	s_mov_b32 s2, 0
	s_waitcnt vmcnt(0)
	v_cvt_f64_u32_e32 v[3:4], v3
	s_branch .LBB15_602
.LBB15_600:
	s_mov_b32 s2, -1
                                        ; implicit-def: $vgpr3_vgpr4
	s_branch .LBB15_605
.LBB15_601:
	s_mov_b32 s2, -1
                                        ; implicit-def: $vgpr3_vgpr4
.LBB15_602:
	s_delay_alu instid0(SALU_CYCLE_1)
	s_and_not1_b32 vcc_lo, exec_lo, s2
	s_cbranch_vccnz .LBB15_604
; %bb.603:
	global_load_u16 v3, v[0:1], off
	s_waitcnt vmcnt(0)
	v_cvt_f64_u32_e32 v[3:4], v3
.LBB15_604:
	s_mov_b32 s2, 0
.LBB15_605:
	s_delay_alu instid0(SALU_CYCLE_1)
	s_and_not1_b32 vcc_lo, exec_lo, s2
	s_cbranch_vccnz .LBB15_615
; %bb.606:
	global_load_u8 v5, v[0:1], off
	s_mov_b32 s27, 0
	s_mov_b32 s48, exec_lo
                                        ; implicit-def: $sgpr2_sgpr3
	s_waitcnt vmcnt(0)
	v_cmpx_lt_i16_e32 0x7f, v5
	s_xor_b32 s48, exec_lo, s48
	s_cbranch_execz .LBB15_610
; %bb.607:
	s_mov_b32 s49, -1
	s_mov_b32 s27, exec_lo
                                        ; implicit-def: $sgpr2_sgpr3
	v_cmpx_eq_u16_e32 0x80, v5
; %bb.608:
	s_mov_b32 s3, 0x7ff80000
	s_brev_b32 s2, 4
	s_xor_b32 s49, exec_lo, -1
; %bb.609:
	s_or_b32 exec_lo, exec_lo, s27
	s_delay_alu instid0(SALU_CYCLE_1)
	s_and_b32 s27, s49, exec_lo
.LBB15_610:
	s_or_saveexec_b32 s48, s48
	v_dual_mov_b32 v4, s3 :: v_dual_mov_b32 v3, s2
	s_xor_b32 exec_lo, exec_lo, s48
; %bb.611:
	v_cmp_ne_u16_e32 vcc_lo, 0, v5
	v_mov_b32_e32 v3, 0
	v_mov_b32_e32 v4, 0
	s_and_not1_b32 s2, s27, exec_lo
	s_and_b32 s3, vcc_lo, exec_lo
	s_delay_alu instid0(SALU_CYCLE_1)
	s_or_b32 s27, s2, s3
; %bb.612:
	s_or_b32 exec_lo, exec_lo, s48
	s_and_saveexec_b32 s2, s27
	s_cbranch_execz .LBB15_614
; %bb.613:
	v_and_b32_e32 v3, 0xffff, v5
	v_lshlrev_b32_e32 v5, 24, v5
	s_delay_alu instid0(VALU_DEP_2) | instskip(NEXT) | instid1(VALU_DEP_2)
	v_and_b32_e32 v4, 7, v3
	v_and_b32_e32 v5, 0x80000000, v5
	s_delay_alu instid0(VALU_DEP_2) | instskip(NEXT) | instid1(VALU_DEP_1)
	v_clz_i32_u32_e32 v6, v4
	v_min_u32_e32 v6, 32, v6
	s_delay_alu instid0(VALU_DEP_1) | instskip(SKIP_1) | instid1(VALU_DEP_2)
	v_subrev_nc_u32_e32 v7, 28, v6
	v_sub_nc_u32_e32 v6, 29, v6
	v_lshlrev_b32_e32 v7, v7, v3
	v_bfe_u32 v3, v3, 3, 4
	s_delay_alu instid0(VALU_DEP_2) | instskip(NEXT) | instid1(VALU_DEP_2)
	v_and_b32_e32 v7, 7, v7
	v_cmp_eq_u32_e32 vcc_lo, 0, v3
	s_delay_alu instid0(VALU_DEP_2) | instskip(NEXT) | instid1(VALU_DEP_1)
	v_dual_cndmask_b32 v3, v3, v6 :: v_dual_cndmask_b32 v4, v4, v7
	v_lshl_add_u32 v3, v3, 23, 0x3b800000
	s_delay_alu instid0(VALU_DEP_2) | instskip(NEXT) | instid1(VALU_DEP_1)
	v_lshlrev_b32_e32 v4, 20, v4
	v_or3_b32 v3, v5, v3, v4
	s_delay_alu instid0(VALU_DEP_1)
	v_cvt_f64_f32_e32 v[3:4], v3
.LBB15_614:
	s_or_b32 exec_lo, exec_lo, s2
.LBB15_615:
	s_mov_b32 s2, -1
.LBB15_616:
	s_mov_b32 s3, 0
.LBB15_617:
	s_delay_alu instid0(SALU_CYCLE_1)
	s_and_b32 vcc_lo, exec_lo, s3
	s_cbranch_vccz .LBB15_650
; %bb.618:
	v_cmp_lt_i16_e32 vcc_lo, 22, v9
	s_cbranch_vccz .LBB15_630
; %bb.619:
	v_cmp_gt_i16_e32 vcc_lo, 24, v9
	s_cbranch_vccnz .LBB15_631
; %bb.620:
	v_cmp_lt_i16_e32 vcc_lo, 24, v9
	s_cbranch_vccz .LBB15_632
; %bb.621:
	global_load_u8 v5, v[0:1], off
	s_mov_b32 s27, 0
	s_mov_b32 s48, exec_lo
                                        ; implicit-def: $sgpr2_sgpr3
	s_waitcnt vmcnt(0)
	v_cmpx_lt_i16_e32 0x7f, v5
	s_xor_b32 s48, exec_lo, s48
	s_cbranch_execz .LBB15_625
; %bb.622:
	s_mov_b32 s49, -1
	s_mov_b32 s27, exec_lo
                                        ; implicit-def: $sgpr2_sgpr3
	v_cmpx_eq_u16_e32 0x80, v5
; %bb.623:
	s_mov_b32 s3, 0x7ff80000
	s_brev_b32 s2, 4
	s_xor_b32 s49, exec_lo, -1
; %bb.624:
	s_or_b32 exec_lo, exec_lo, s27
	s_delay_alu instid0(SALU_CYCLE_1)
	s_and_b32 s27, s49, exec_lo
.LBB15_625:
	s_or_saveexec_b32 s48, s48
	v_dual_mov_b32 v4, s3 :: v_dual_mov_b32 v3, s2
	s_xor_b32 exec_lo, exec_lo, s48
; %bb.626:
	v_cmp_ne_u16_e32 vcc_lo, 0, v5
	v_mov_b32_e32 v3, 0
	v_mov_b32_e32 v4, 0
	s_and_not1_b32 s2, s27, exec_lo
	s_and_b32 s3, vcc_lo, exec_lo
	s_delay_alu instid0(SALU_CYCLE_1)
	s_or_b32 s27, s2, s3
; %bb.627:
	s_or_b32 exec_lo, exec_lo, s48
	s_and_saveexec_b32 s2, s27
	s_cbranch_execz .LBB15_629
; %bb.628:
	v_and_b32_e32 v3, 0xffff, v5
	v_lshlrev_b32_e32 v5, 24, v5
	s_delay_alu instid0(VALU_DEP_2) | instskip(NEXT) | instid1(VALU_DEP_2)
	v_and_b32_e32 v4, 3, v3
	v_and_b32_e32 v5, 0x80000000, v5
	s_delay_alu instid0(VALU_DEP_2) | instskip(NEXT) | instid1(VALU_DEP_1)
	v_clz_i32_u32_e32 v6, v4
	v_min_u32_e32 v6, 32, v6
	s_delay_alu instid0(VALU_DEP_1) | instskip(SKIP_1) | instid1(VALU_DEP_2)
	v_subrev_nc_u32_e32 v7, 29, v6
	v_sub_nc_u32_e32 v6, 30, v6
	v_lshlrev_b32_e32 v7, v7, v3
	v_bfe_u32 v3, v3, 2, 5
	s_delay_alu instid0(VALU_DEP_2) | instskip(NEXT) | instid1(VALU_DEP_2)
	v_and_b32_e32 v7, 3, v7
	v_cmp_eq_u32_e32 vcc_lo, 0, v3
	s_delay_alu instid0(VALU_DEP_2) | instskip(NEXT) | instid1(VALU_DEP_1)
	v_dual_cndmask_b32 v3, v3, v6 :: v_dual_cndmask_b32 v4, v4, v7
	v_lshl_add_u32 v3, v3, 23, 0x37800000
	s_delay_alu instid0(VALU_DEP_2) | instskip(NEXT) | instid1(VALU_DEP_1)
	v_lshlrev_b32_e32 v4, 21, v4
	v_or3_b32 v3, v5, v3, v4
	s_delay_alu instid0(VALU_DEP_1)
	v_cvt_f64_f32_e32 v[3:4], v3
.LBB15_629:
	s_or_b32 exec_lo, exec_lo, s2
	s_mov_b32 s2, 0
	s_branch .LBB15_633
.LBB15_630:
	s_mov_b32 s3, -1
                                        ; implicit-def: $vgpr3_vgpr4
	s_branch .LBB15_639
.LBB15_631:
	s_mov_b32 s2, -1
                                        ; implicit-def: $vgpr3_vgpr4
	s_branch .LBB15_636
.LBB15_632:
	s_mov_b32 s2, -1
                                        ; implicit-def: $vgpr3_vgpr4
.LBB15_633:
	s_delay_alu instid0(SALU_CYCLE_1)
	s_and_b32 vcc_lo, exec_lo, s2
	s_cbranch_vccz .LBB15_635
; %bb.634:
	global_load_u8 v3, v[0:1], off
	s_waitcnt vmcnt(0)
	v_lshlrev_b32_e32 v3, 24, v3
	s_delay_alu instid0(VALU_DEP_1) | instskip(NEXT) | instid1(VALU_DEP_1)
	v_and_b32_e32 v4, 0x7f000000, v3
	v_clz_i32_u32_e32 v5, v4
	v_add_nc_u32_e32 v7, 0x1000000, v4
	v_cmp_ne_u32_e32 vcc_lo, 0, v4
	s_delay_alu instid0(VALU_DEP_3) | instskip(NEXT) | instid1(VALU_DEP_1)
	v_min_u32_e32 v5, 32, v5
	v_sub_nc_u32_e64 v5, v5, 4 clamp
	s_delay_alu instid0(VALU_DEP_1) | instskip(SKIP_1) | instid1(VALU_DEP_2)
	v_lshlrev_b32_e32 v6, v5, v4
	v_lshlrev_b32_e32 v5, 23, v5
	v_lshrrev_b32_e32 v6, 4, v6
	s_delay_alu instid0(VALU_DEP_1) | instskip(SKIP_1) | instid1(VALU_DEP_2)
	v_sub_nc_u32_e32 v5, v6, v5
	v_ashrrev_i32_e32 v6, 8, v7
	v_add_nc_u32_e32 v5, 0x3c000000, v5
	s_delay_alu instid0(VALU_DEP_1) | instskip(NEXT) | instid1(VALU_DEP_1)
	v_and_or_b32 v5, 0x7f800000, v6, v5
	v_cndmask_b32_e32 v4, 0, v5, vcc_lo
	s_delay_alu instid0(VALU_DEP_1) | instskip(NEXT) | instid1(VALU_DEP_1)
	v_and_or_b32 v3, 0x80000000, v3, v4
	v_cvt_f64_f32_e32 v[3:4], v3
.LBB15_635:
	s_mov_b32 s2, 0
.LBB15_636:
	s_delay_alu instid0(SALU_CYCLE_1)
	s_and_not1_b32 vcc_lo, exec_lo, s2
	s_cbranch_vccnz .LBB15_638
; %bb.637:
	global_load_u8 v3, v[0:1], off
	s_waitcnt vmcnt(0)
	v_lshlrev_b32_e32 v4, 25, v3
	v_lshlrev_b16 v3, 8, v3
	s_delay_alu instid0(VALU_DEP_2) | instskip(NEXT) | instid1(VALU_DEP_2)
	v_lshrrev_b32_e32 v5, 4, v4
	v_and_or_b32 v6, 0x7f00, v3, 0.5
	v_bfe_i32 v3, v3, 0, 16
	s_delay_alu instid0(VALU_DEP_3) | instskip(NEXT) | instid1(VALU_DEP_1)
	v_or_b32_e32 v5, 0x70000000, v5
	v_dual_add_f32 v6, -0.5, v6 :: v_dual_mul_f32 v5, 0x7800000, v5
	v_cmp_gt_u32_e32 vcc_lo, 0x8000000, v4
	s_delay_alu instid0(VALU_DEP_2) | instskip(NEXT) | instid1(VALU_DEP_1)
	v_cndmask_b32_e32 v4, v5, v6, vcc_lo
	v_and_or_b32 v3, 0x80000000, v3, v4
	s_delay_alu instid0(VALU_DEP_1)
	v_cvt_f64_f32_e32 v[3:4], v3
.LBB15_638:
	s_mov_b32 s3, 0
	s_mov_b32 s2, -1
.LBB15_639:
	s_and_not1_b32 vcc_lo, exec_lo, s3
	s_cbranch_vccnz .LBB15_650
; %bb.640:
	v_cmp_lt_i16_e32 vcc_lo, 14, v9
	s_cbranch_vccz .LBB15_643
; %bb.641:
	v_cmp_eq_u16_e32 vcc_lo, 15, v9
	s_cbranch_vccz .LBB15_644
; %bb.642:
	global_load_u16 v3, v[0:1], off
	s_mov_b32 s2, -1
	s_mov_b32 s26, 0
	s_waitcnt vmcnt(0)
	v_lshlrev_b32_e32 v3, 16, v3
	s_delay_alu instid0(VALU_DEP_1)
	v_cvt_f64_f32_e32 v[3:4], v3
	s_branch .LBB15_645
.LBB15_643:
	s_mov_b32 s3, -1
                                        ; implicit-def: $vgpr3_vgpr4
	s_branch .LBB15_646
.LBB15_644:
	s_mov_b32 s26, -1
                                        ; implicit-def: $vgpr3_vgpr4
.LBB15_645:
	s_mov_b32 s3, 0
.LBB15_646:
	s_delay_alu instid0(SALU_CYCLE_1)
	s_and_b32 vcc_lo, exec_lo, s3
	s_cbranch_vccz .LBB15_650
; %bb.647:
	v_cmp_eq_u16_e32 vcc_lo, 11, v9
	s_cbranch_vccz .LBB15_649
; %bb.648:
	global_load_u8 v3, v[0:1], off
	s_mov_b32 s26, 0
	s_mov_b32 s2, -1
	s_waitcnt vmcnt(0)
	v_cmp_ne_u16_e32 vcc_lo, 0, v3
	v_mov_b32_e32 v3, 0
	v_cndmask_b32_e64 v4, 0, 0x3ff00000, vcc_lo
	s_branch .LBB15_650
.LBB15_649:
	s_mov_b32 s26, -1
                                        ; implicit-def: $vgpr3_vgpr4
.LBB15_650:
	s_mov_b32 s3, 0
.LBB15_651:
	s_delay_alu instid0(SALU_CYCLE_1)
	s_and_b32 vcc_lo, exec_lo, s3
	s_cbranch_vccz .LBB15_700
; %bb.652:
	v_cmp_gt_i16_e32 vcc_lo, 5, v9
	s_cbranch_vccnz .LBB15_657
; %bb.653:
	v_cmp_gt_i16_e32 vcc_lo, 8, v9
	s_cbranch_vccnz .LBB15_658
	;; [unrolled: 3-line block ×3, first 2 shown]
; %bb.655:
	v_cmp_lt_i16_e32 vcc_lo, 9, v9
	s_cbranch_vccz .LBB15_660
; %bb.656:
	global_load_b64 v[3:4], v[0:1], off
	s_mov_b32 s2, 0
	s_branch .LBB15_661
.LBB15_657:
	s_mov_b32 s2, -1
                                        ; implicit-def: $vgpr3_vgpr4
	s_branch .LBB15_679
.LBB15_658:
	s_mov_b32 s2, -1
                                        ; implicit-def: $vgpr3_vgpr4
	s_branch .LBB15_667
.LBB15_659:
	s_mov_b32 s2, -1
                                        ; implicit-def: $vgpr3_vgpr4
	s_branch .LBB15_664
.LBB15_660:
	s_mov_b32 s2, -1
                                        ; implicit-def: $vgpr3_vgpr4
.LBB15_661:
	s_delay_alu instid0(SALU_CYCLE_1)
	s_and_not1_b32 vcc_lo, exec_lo, s2
	s_cbranch_vccnz .LBB15_663
; %bb.662:
	global_load_b32 v3, v[0:1], off
	s_waitcnt vmcnt(0)
	v_cvt_f64_f32_e32 v[3:4], v3
.LBB15_663:
	s_mov_b32 s2, 0
.LBB15_664:
	s_delay_alu instid0(SALU_CYCLE_1)
	s_and_not1_b32 vcc_lo, exec_lo, s2
	s_cbranch_vccnz .LBB15_666
; %bb.665:
	global_load_b32 v3, v[0:1], off
	s_waitcnt vmcnt(0)
	v_cvt_f32_f16_e32 v3, v3
	s_delay_alu instid0(VALU_DEP_1)
	v_cvt_f64_f32_e32 v[3:4], v3
.LBB15_666:
	s_mov_b32 s2, 0
.LBB15_667:
	s_delay_alu instid0(SALU_CYCLE_1)
	s_and_not1_b32 vcc_lo, exec_lo, s2
	s_cbranch_vccnz .LBB15_678
; %bb.668:
	v_cmp_gt_i16_e32 vcc_lo, 6, v9
	s_cbranch_vccnz .LBB15_671
; %bb.669:
	v_cmp_lt_i16_e32 vcc_lo, 6, v9
	s_cbranch_vccz .LBB15_672
; %bb.670:
	global_load_b64 v[3:4], v[0:1], off
	s_mov_b32 s2, 0
	s_branch .LBB15_673
.LBB15_671:
	s_mov_b32 s2, -1
                                        ; implicit-def: $vgpr3_vgpr4
	s_branch .LBB15_676
.LBB15_672:
	s_mov_b32 s2, -1
                                        ; implicit-def: $vgpr3_vgpr4
.LBB15_673:
	s_delay_alu instid0(SALU_CYCLE_1)
	s_and_not1_b32 vcc_lo, exec_lo, s2
	s_cbranch_vccnz .LBB15_675
; %bb.674:
	global_load_b32 v3, v[0:1], off
	s_waitcnt vmcnt(0)
	v_cvt_f64_f32_e32 v[3:4], v3
.LBB15_675:
	s_mov_b32 s2, 0
.LBB15_676:
	s_delay_alu instid0(SALU_CYCLE_1)
	s_and_not1_b32 vcc_lo, exec_lo, s2
	s_cbranch_vccnz .LBB15_678
; %bb.677:
	global_load_u16 v3, v[0:1], off
	s_waitcnt vmcnt(0)
	v_cvt_f32_f16_e32 v3, v3
	s_delay_alu instid0(VALU_DEP_1)
	v_cvt_f64_f32_e32 v[3:4], v3
.LBB15_678:
	s_mov_b32 s2, 0
.LBB15_679:
	s_delay_alu instid0(SALU_CYCLE_1)
	s_and_not1_b32 vcc_lo, exec_lo, s2
	s_cbranch_vccnz .LBB15_699
; %bb.680:
	v_cmp_gt_i16_e32 vcc_lo, 2, v9
	s_cbranch_vccnz .LBB15_684
; %bb.681:
	v_cmp_gt_i16_e32 vcc_lo, 3, v9
	s_cbranch_vccnz .LBB15_685
; %bb.682:
	v_cmp_lt_i16_e32 vcc_lo, 3, v9
	s_cbranch_vccz .LBB15_686
; %bb.683:
	global_load_b64 v[3:4], v[0:1], off
	s_mov_b32 s2, 0
	s_waitcnt vmcnt(0)
	v_cvt_f64_i32_e32 v[4:5], v4
	v_cvt_f64_u32_e32 v[6:7], v3
	s_delay_alu instid0(VALU_DEP_2) | instskip(NEXT) | instid1(VALU_DEP_1)
	v_ldexp_f64 v[4:5], v[4:5], 32
	v_add_f64 v[3:4], v[4:5], v[6:7]
	s_branch .LBB15_687
.LBB15_684:
	s_mov_b32 s2, -1
                                        ; implicit-def: $vgpr3_vgpr4
	s_branch .LBB15_693
.LBB15_685:
	s_mov_b32 s2, -1
                                        ; implicit-def: $vgpr3_vgpr4
	s_branch .LBB15_690
.LBB15_686:
	s_mov_b32 s2, -1
                                        ; implicit-def: $vgpr3_vgpr4
.LBB15_687:
	s_delay_alu instid0(SALU_CYCLE_1)
	s_and_not1_b32 vcc_lo, exec_lo, s2
	s_cbranch_vccnz .LBB15_689
; %bb.688:
	global_load_b32 v3, v[0:1], off
	s_waitcnt vmcnt(0)
	v_cvt_f64_i32_e32 v[3:4], v3
.LBB15_689:
	s_mov_b32 s2, 0
.LBB15_690:
	s_delay_alu instid0(SALU_CYCLE_1)
	s_and_not1_b32 vcc_lo, exec_lo, s2
	s_cbranch_vccnz .LBB15_692
; %bb.691:
	global_load_i16 v3, v[0:1], off
	s_waitcnt vmcnt(0)
	v_cvt_f64_i32_e32 v[3:4], v3
.LBB15_692:
	s_mov_b32 s2, 0
.LBB15_693:
	s_delay_alu instid0(SALU_CYCLE_1)
	s_and_not1_b32 vcc_lo, exec_lo, s2
	s_cbranch_vccnz .LBB15_699
; %bb.694:
	v_cmp_lt_i16_e32 vcc_lo, 0, v9
	s_mov_b32 s2, 0
	s_cbranch_vccz .LBB15_696
; %bb.695:
	global_load_i8 v3, v[0:1], off
	s_waitcnt vmcnt(0)
	v_cvt_f64_i32_e32 v[3:4], v3
	s_branch .LBB15_697
.LBB15_696:
	s_mov_b32 s2, -1
                                        ; implicit-def: $vgpr3_vgpr4
.LBB15_697:
	s_delay_alu instid0(SALU_CYCLE_1)
	s_and_not1_b32 vcc_lo, exec_lo, s2
	s_cbranch_vccnz .LBB15_699
; %bb.698:
	global_load_u8 v0, v[0:1], off
	s_waitcnt vmcnt(0)
	v_cvt_f64_u32_e32 v[3:4], v0
.LBB15_699:
	s_mov_b32 s2, -1
.LBB15_700:
	s_delay_alu instid0(SALU_CYCLE_1)
	s_and_not1_b32 vcc_lo, exec_lo, s2
	s_cbranch_vccnz .LBB15_708
; %bb.701:
	v_mov_b32_e32 v0, 0
	v_mov_b32_e32 v1, 0
	s_and_not1_b32 vcc_lo, exec_lo, s36
	s_cbranch_vccnz .LBB15_712
; %bb.702:
	v_cmp_lt_i64_e64 s2, s[20:21], 1
	v_mov_b32_e32 v0, 0
	v_mov_b32_e32 v1, 0x3ff00000
	s_delay_alu instid0(VALU_DEP_3)
	s_and_b32 vcc_lo, exec_lo, s2
	s_cbranch_vccnz .LBB15_712
; %bb.703:
	s_cmp_lg_u64 s[20:21], 1
	s_cbranch_scc0 .LBB15_709
; %bb.704:
	v_mov_b32_e32 v0, 0
	v_mov_b32_e32 v1, 0x7ff80000
	s_and_not1_b32 vcc_lo, exec_lo, s35
	s_cbranch_vccnz .LBB15_707
; %bb.705:
	s_waitcnt vmcnt(0)
	v_add_f64 v[5:6], v[3:4], v[3:4]
	v_mov_b32_e32 v7, 0
	v_mov_b32_e32 v8, 0x3ff00000
	s_mov_b64 s[2:3], 2
	s_delay_alu instid0(VALU_DEP_3)
	v_dual_mov_b32 v0, v5 :: v_dual_mov_b32 v1, v6
.LBB15_706:                             ; =>This Inner Loop Header: Depth=1
	v_cvt_f64_u32_e32 v[11:12], s3
	v_cvt_f64_u32_e32 v[13:14], s2
	s_add_u32 s2, s2, 2
	s_addc_u32 s3, s3, 0
	s_delay_alu instid0(SALU_CYCLE_1) | instskip(NEXT) | instid1(VALU_DEP_1)
	v_cmp_lt_u64_e64 s27, s[2:3], s[18:19]
	s_and_b32 vcc_lo, exec_lo, s27
	s_delay_alu instid0(VALU_DEP_3) | instskip(NEXT) | instid1(VALU_DEP_1)
	v_ldexp_f64 v[11:12], v[11:12], 32
	v_add_f64 v[11:12], v[11:12], v[13:14]
	s_delay_alu instid0(VALU_DEP_1) | instskip(SKIP_1) | instid1(VALU_DEP_1)
	v_mul_f64 v[7:8], v[7:8], v[11:12]
	v_dual_mov_b32 v12, v1 :: v_dual_mov_b32 v11, v0
	v_fma_f64 v[0:1], v[5:6], v[11:12], -v[7:8]
	v_dual_mov_b32 v7, v11 :: v_dual_mov_b32 v8, v12
	s_cbranch_vccnz .LBB15_706
.LBB15_707:
	s_mov_b32 s2, 0
	s_branch .LBB15_710
.LBB15_708:
	s_mov_b32 s3, 0
	s_mov_b32 s2, s45
	s_branch .LBB15_759
.LBB15_709:
	s_mov_b32 s2, -1
                                        ; implicit-def: $vgpr0_vgpr1
.LBB15_710:
	s_delay_alu instid0(SALU_CYCLE_1)
	s_and_not1_b32 vcc_lo, exec_lo, s2
	s_cbranch_vccnz .LBB15_712
; %bb.711:
	s_waitcnt vmcnt(0)
	v_add_f64 v[0:1], v[3:4], v[3:4]
.LBB15_712:
	v_and_b32_e64 v6, 0xff, s34
	s_waitcnt vmcnt(0)
	v_add_co_u32 v4, s2, s4, v2
	s_delay_alu instid0(VALU_DEP_1) | instskip(NEXT) | instid1(VALU_DEP_3)
	v_add_co_ci_u32_e64 v5, null, s5, 0, s2
	v_cmp_gt_i16_e32 vcc_lo, 11, v6
	s_mov_b32 s3, 0
	s_mov_b32 s27, -1
	s_mov_b32 s2, s45
	s_cbranch_vccnz .LBB15_719
; %bb.713:
	v_cmp_lt_i16_e32 vcc_lo, 25, v6
	s_cbranch_vccz .LBB15_760
; %bb.714:
	v_cmp_lt_i16_e32 vcc_lo, 28, v6
	s_cbranch_vccz .LBB15_761
	;; [unrolled: 3-line block ×4, first 2 shown]
; %bb.717:
	v_cmp_eq_u16_e32 vcc_lo, 46, v6
	s_mov_b32 s27, 0
	s_mov_b32 s2, -1
	s_cbranch_vccz .LBB15_764
; %bb.718:
	v_cvt_f32_f64_e32 v2, v[0:1]
	s_mov_b32 s3, -1
	s_mov_b32 s2, 0
	s_delay_alu instid0(VALU_DEP_1) | instskip(SKIP_1) | instid1(VALU_DEP_2)
	v_bfe_u32 v3, v2, 16, 1
	v_cmp_o_f32_e32 vcc_lo, v2, v2
	v_add3_u32 v3, v2, v3, 0x7fff
	s_delay_alu instid0(VALU_DEP_1) | instskip(NEXT) | instid1(VALU_DEP_1)
	v_lshrrev_b32_e32 v3, 16, v3
	v_cndmask_b32_e32 v2, 0x7fc0, v3, vcc_lo
	global_store_b32 v[4:5], v2, off
	s_branch .LBB15_764
.LBB15_719:
	s_and_b32 vcc_lo, exec_lo, s27
	s_cbranch_vccz .LBB15_833
; %bb.720:
	v_cmp_gt_i16_e32 vcc_lo, 5, v6
	s_mov_b32 s3, -1
	s_cbranch_vccnz .LBB15_741
; %bb.721:
	v_cmp_gt_i16_e32 vcc_lo, 8, v6
	s_cbranch_vccnz .LBB15_731
; %bb.722:
	v_cmp_gt_i16_e32 vcc_lo, 9, v6
	s_cbranch_vccnz .LBB15_728
; %bb.723:
	v_cmp_lt_i16_e32 vcc_lo, 9, v6
	s_cbranch_vccz .LBB15_725
; %bb.724:
	v_mov_b32_e32 v2, 0
	s_mov_b32 s3, 0
	s_delay_alu instid0(VALU_DEP_1)
	v_mov_b32_e32 v3, v2
	global_store_b128 v[4:5], v[0:3], off
.LBB15_725:
	s_and_not1_b32 vcc_lo, exec_lo, s3
	s_cbranch_vccnz .LBB15_727
; %bb.726:
	v_cvt_f32_f64_e32 v2, v[0:1]
	v_mov_b32_e32 v3, 0
	global_store_b64 v[4:5], v[2:3], off
.LBB15_727:
	s_mov_b32 s3, 0
.LBB15_728:
	s_delay_alu instid0(SALU_CYCLE_1)
	s_and_not1_b32 vcc_lo, exec_lo, s3
	s_cbranch_vccnz .LBB15_730
; %bb.729:
	v_cvt_f32_f64_e32 v2, v[0:1]
	s_delay_alu instid0(VALU_DEP_1) | instskip(NEXT) | instid1(VALU_DEP_1)
	v_cvt_f16_f32_e32 v2, v2
	v_and_b32_e32 v2, 0xffff, v2
	global_store_b32 v[4:5], v2, off
.LBB15_730:
	s_mov_b32 s3, 0
.LBB15_731:
	s_delay_alu instid0(SALU_CYCLE_1)
	s_and_not1_b32 vcc_lo, exec_lo, s3
	s_cbranch_vccnz .LBB15_740
; %bb.732:
	v_cmp_gt_i16_e32 vcc_lo, 6, v6
	s_mov_b32 s3, -1
	s_cbranch_vccnz .LBB15_738
; %bb.733:
	v_cmp_lt_i16_e32 vcc_lo, 6, v6
	s_cbranch_vccz .LBB15_735
; %bb.734:
	s_mov_b32 s3, 0
	global_store_b64 v[4:5], v[0:1], off
.LBB15_735:
	s_and_not1_b32 vcc_lo, exec_lo, s3
	s_cbranch_vccnz .LBB15_737
; %bb.736:
	v_cvt_f32_f64_e32 v2, v[0:1]
	global_store_b32 v[4:5], v2, off
.LBB15_737:
	s_mov_b32 s3, 0
.LBB15_738:
	s_delay_alu instid0(SALU_CYCLE_1)
	s_and_not1_b32 vcc_lo, exec_lo, s3
	s_cbranch_vccnz .LBB15_740
; %bb.739:
	v_cvt_f32_f64_e32 v2, v[0:1]
	s_delay_alu instid0(VALU_DEP_1)
	v_cvt_f16_f32_e32 v2, v2
	global_store_b16 v[4:5], v2, off
.LBB15_740:
	s_mov_b32 s3, 0
.LBB15_741:
	s_delay_alu instid0(SALU_CYCLE_1)
	s_and_not1_b32 vcc_lo, exec_lo, s3
	s_cbranch_vccnz .LBB15_757
; %bb.742:
	v_cmp_gt_i16_e32 vcc_lo, 2, v6
	s_mov_b32 s3, -1
	s_cbranch_vccnz .LBB15_752
; %bb.743:
	v_cmp_gt_i16_e32 vcc_lo, 3, v6
	s_cbranch_vccnz .LBB15_749
; %bb.744:
	v_cmp_lt_i16_e32 vcc_lo, 3, v6
	s_cbranch_vccz .LBB15_746
; %bb.745:
	v_trunc_f64_e32 v[2:3], v[0:1]
	s_mov_b32 s3, 0
	s_delay_alu instid0(VALU_DEP_1) | instskip(NEXT) | instid1(VALU_DEP_1)
	v_ldexp_f64 v[7:8], v[2:3], 0xffffffe0
	v_floor_f64_e32 v[7:8], v[7:8]
	s_delay_alu instid0(VALU_DEP_1) | instskip(SKIP_1) | instid1(VALU_DEP_2)
	v_fma_f64 v[2:3], 0xc1f00000, v[7:8], v[2:3]
	v_cvt_i32_f64_e32 v8, v[7:8]
	v_cvt_u32_f64_e32 v7, v[2:3]
	global_store_b64 v[4:5], v[7:8], off
.LBB15_746:
	s_and_not1_b32 vcc_lo, exec_lo, s3
	s_cbranch_vccnz .LBB15_748
; %bb.747:
	v_cvt_i32_f64_e32 v2, v[0:1]
	global_store_b32 v[4:5], v2, off
.LBB15_748:
	s_mov_b32 s3, 0
.LBB15_749:
	s_delay_alu instid0(SALU_CYCLE_1)
	s_and_not1_b32 vcc_lo, exec_lo, s3
	s_cbranch_vccnz .LBB15_751
; %bb.750:
	v_cvt_i32_f64_e32 v2, v[0:1]
	global_store_b16 v[4:5], v2, off
.LBB15_751:
	s_mov_b32 s3, 0
.LBB15_752:
	s_delay_alu instid0(SALU_CYCLE_1)
	s_and_not1_b32 vcc_lo, exec_lo, s3
	s_cbranch_vccnz .LBB15_757
; %bb.753:
	v_cmp_lt_i16_e32 vcc_lo, 0, v6
	s_mov_b32 s3, -1
	s_cbranch_vccz .LBB15_755
; %bb.754:
	v_cvt_i32_f64_e32 v2, v[0:1]
	s_mov_b32 s3, 0
	global_store_b8 v[4:5], v2, off
.LBB15_755:
	s_and_not1_b32 vcc_lo, exec_lo, s3
	s_cbranch_vccnz .LBB15_757
; %bb.756:
	v_trunc_f64_e32 v[0:1], v[0:1]
	s_delay_alu instid0(VALU_DEP_1) | instskip(NEXT) | instid1(VALU_DEP_1)
	v_ldexp_f64 v[2:3], v[0:1], 0xffffffe0
	v_floor_f64_e32 v[2:3], v[2:3]
	s_delay_alu instid0(VALU_DEP_1) | instskip(NEXT) | instid1(VALU_DEP_1)
	v_fma_f64 v[0:1], 0xc1f00000, v[2:3], v[0:1]
	v_cvt_u32_f64_e32 v0, v[0:1]
	global_store_b8 v[4:5], v0, off
.LBB15_757:
	s_branch .LBB15_834
.LBB15_758:
	s_mov_b32 s3, 0
.LBB15_759:
                                        ; implicit-def: $vgpr10
	s_branch .LBB15_835
.LBB15_760:
	s_mov_b32 s2, s45
	s_branch .LBB15_791
.LBB15_761:
	s_mov_b32 s2, s45
	s_branch .LBB15_774
.LBB15_762:
	s_mov_b32 s2, s45
	s_branch .LBB15_770
.LBB15_763:
	s_mov_b32 s2, s45
.LBB15_764:
	s_and_b32 vcc_lo, exec_lo, s27
	s_cbranch_vccz .LBB15_769
; %bb.765:
	v_cmp_eq_u16_e32 vcc_lo, 44, v6
	s_mov_b32 s2, -1
	s_cbranch_vccz .LBB15_769
; %bb.766:
	v_cvt_f32_f64_e32 v2, v[0:1]
	v_mov_b32_e32 v3, 0xff
	s_mov_b32 s3, exec_lo
	s_delay_alu instid0(VALU_DEP_2) | instskip(NEXT) | instid1(VALU_DEP_1)
	v_bfe_u32 v7, v2, 23, 8
	v_cmpx_ne_u32_e32 0xff, v7
; %bb.767:
	v_and_b32_e32 v3, 0x400000, v2
	v_and_or_b32 v7, 0x3fffff, v2, v7
	v_lshrrev_b32_e32 v2, 23, v2
	s_delay_alu instid0(VALU_DEP_3) | instskip(NEXT) | instid1(VALU_DEP_3)
	v_cmp_ne_u32_e32 vcc_lo, 0, v3
	v_cmp_ne_u32_e64 s2, 0, v7
	s_delay_alu instid0(VALU_DEP_1) | instskip(NEXT) | instid1(SALU_CYCLE_1)
	s_and_b32 s2, vcc_lo, s2
	v_cndmask_b32_e64 v3, 0, 1, s2
	s_delay_alu instid0(VALU_DEP_1)
	v_add_nc_u32_e32 v3, v2, v3
; %bb.768:
	s_or_b32 exec_lo, exec_lo, s3
	s_mov_b32 s3, -1
	s_mov_b32 s2, 0
	global_store_b8 v[4:5], v3, off
.LBB15_769:
	s_mov_b32 s27, 0
.LBB15_770:
	s_delay_alu instid0(SALU_CYCLE_1)
	s_and_b32 vcc_lo, exec_lo, s27
	s_cbranch_vccz .LBB15_773
; %bb.771:
	v_cmp_eq_u16_e32 vcc_lo, 29, v6
	s_mov_b32 s2, -1
	s_cbranch_vccz .LBB15_773
; %bb.772:
	v_trunc_f64_e32 v[2:3], v[0:1]
	s_mov_b32 s3, -1
	s_mov_b32 s2, 0
	s_mov_b32 s27, 0
	s_delay_alu instid0(VALU_DEP_1) | instskip(NEXT) | instid1(VALU_DEP_1)
	v_ldexp_f64 v[7:8], v[2:3], 0xffffffe0
	v_floor_f64_e32 v[7:8], v[7:8]
	s_delay_alu instid0(VALU_DEP_1) | instskip(SKIP_1) | instid1(VALU_DEP_2)
	v_fma_f64 v[2:3], 0xc1f00000, v[7:8], v[2:3]
	v_cvt_u32_f64_e32 v8, v[7:8]
	v_cvt_u32_f64_e32 v7, v[2:3]
	global_store_b64 v[4:5], v[7:8], off
	s_branch .LBB15_774
.LBB15_773:
	s_mov_b32 s27, 0
.LBB15_774:
	s_delay_alu instid0(SALU_CYCLE_1)
	s_and_b32 vcc_lo, exec_lo, s27
	s_cbranch_vccz .LBB15_790
; %bb.775:
	v_cmp_gt_i16_e32 vcc_lo, 27, v6
	s_mov_b32 s3, -1
	s_cbranch_vccnz .LBB15_781
; %bb.776:
	v_cmp_lt_i16_e32 vcc_lo, 27, v6
	s_cbranch_vccz .LBB15_778
; %bb.777:
	v_cvt_u32_f64_e32 v2, v[0:1]
	s_mov_b32 s3, 0
	global_store_b32 v[4:5], v2, off
.LBB15_778:
	s_and_not1_b32 vcc_lo, exec_lo, s3
	s_cbranch_vccnz .LBB15_780
; %bb.779:
	v_cvt_u32_f64_e32 v2, v[0:1]
	global_store_b16 v[4:5], v2, off
.LBB15_780:
	s_mov_b32 s3, 0
.LBB15_781:
	s_delay_alu instid0(SALU_CYCLE_1)
	s_and_not1_b32 vcc_lo, exec_lo, s3
	s_cbranch_vccnz .LBB15_789
; %bb.782:
	v_cvt_f32_f64_e32 v2, v[0:1]
	v_mov_b32_e32 v7, 0x80
	s_mov_b32 s3, exec_lo
	s_delay_alu instid0(VALU_DEP_2) | instskip(NEXT) | instid1(VALU_DEP_1)
	v_and_b32_e32 v3, 0x7fffffff, v2
	v_cmpx_gt_u32_e32 0x43800000, v3
	s_cbranch_execz .LBB15_788
; %bb.783:
	v_cmp_lt_u32_e32 vcc_lo, 0x3bffffff, v3
	s_mov_b32 s27, 0
                                        ; implicit-def: $vgpr3
	s_and_saveexec_b32 s48, vcc_lo
	s_delay_alu instid0(SALU_CYCLE_1)
	s_xor_b32 s48, exec_lo, s48
	s_cbranch_execz .LBB15_862
; %bb.784:
	v_bfe_u32 v3, v2, 20, 1
	s_mov_b32 s27, exec_lo
	s_delay_alu instid0(VALU_DEP_1) | instskip(NEXT) | instid1(VALU_DEP_1)
	v_add3_u32 v3, v2, v3, 0x487ffff
	v_lshrrev_b32_e32 v3, 20, v3
	s_or_saveexec_b32 s48, s48
                                        ; implicit-def: $sgpr49
	s_delay_alu instid0(SALU_CYCLE_1)
	s_xor_b32 exec_lo, exec_lo, s48
	s_cbranch_execnz .LBB15_863
.LBB15_785:
	s_or_b32 exec_lo, exec_lo, s48
	v_mov_b32_e32 v7, s49
	s_and_saveexec_b32 s48, s27
.LBB15_786:
	v_lshrrev_b32_e32 v2, 24, v2
	s_delay_alu instid0(VALU_DEP_1)
	v_and_or_b32 v7, 0x80, v2, v3
.LBB15_787:
	s_or_b32 exec_lo, exec_lo, s48
.LBB15_788:
	s_delay_alu instid0(SALU_CYCLE_1)
	s_or_b32 exec_lo, exec_lo, s3
	global_store_b8 v[4:5], v7, off
.LBB15_789:
	s_mov_b32 s3, -1
.LBB15_790:
	s_mov_b32 s27, 0
.LBB15_791:
	s_delay_alu instid0(SALU_CYCLE_1)
	s_and_b32 vcc_lo, exec_lo, s27
	s_cbranch_vccz .LBB15_832
; %bb.792:
	v_cmp_lt_i16_e32 vcc_lo, 22, v6
	s_mov_b32 s27, -1
	s_cbranch_vccz .LBB15_824
; %bb.793:
	v_cmp_gt_i16_e32 vcc_lo, 24, v6
	s_mov_b32 s3, -1
	s_cbranch_vccnz .LBB15_813
; %bb.794:
	v_cmp_lt_i16_e32 vcc_lo, 24, v6
	s_cbranch_vccz .LBB15_802
; %bb.795:
	v_cvt_f32_f64_e32 v2, v[0:1]
	v_mov_b32_e32 v7, 0x80
	s_mov_b32 s3, exec_lo
	s_delay_alu instid0(VALU_DEP_2) | instskip(NEXT) | instid1(VALU_DEP_1)
	v_and_b32_e32 v3, 0x7fffffff, v2
	v_cmpx_gt_u32_e32 0x47800000, v3
	s_cbranch_execz .LBB15_801
; %bb.796:
	v_cmp_lt_u32_e32 vcc_lo, 0x37ffffff, v3
	s_mov_b32 s27, 0
                                        ; implicit-def: $vgpr3
	s_and_saveexec_b32 s48, vcc_lo
	s_delay_alu instid0(SALU_CYCLE_1)
	s_xor_b32 s48, exec_lo, s48
	s_cbranch_execz .LBB15_865
; %bb.797:
	v_bfe_u32 v3, v2, 21, 1
	s_mov_b32 s27, exec_lo
	s_delay_alu instid0(VALU_DEP_1) | instskip(NEXT) | instid1(VALU_DEP_1)
	v_add3_u32 v3, v2, v3, 0x88fffff
	v_lshrrev_b32_e32 v3, 21, v3
	s_or_saveexec_b32 s48, s48
                                        ; implicit-def: $sgpr49
	s_delay_alu instid0(SALU_CYCLE_1)
	s_xor_b32 exec_lo, exec_lo, s48
	s_cbranch_execnz .LBB15_866
.LBB15_798:
	s_or_b32 exec_lo, exec_lo, s48
	v_mov_b32_e32 v7, s49
	s_and_saveexec_b32 s48, s27
.LBB15_799:
	v_lshrrev_b32_e32 v2, 24, v2
	s_delay_alu instid0(VALU_DEP_1)
	v_and_or_b32 v7, 0x80, v2, v3
.LBB15_800:
	s_or_b32 exec_lo, exec_lo, s48
.LBB15_801:
	s_delay_alu instid0(SALU_CYCLE_1)
	s_or_b32 exec_lo, exec_lo, s3
	s_mov_b32 s3, 0
	global_store_b8 v[4:5], v7, off
.LBB15_802:
	s_and_b32 vcc_lo, exec_lo, s3
	s_cbranch_vccz .LBB15_812
; %bb.803:
	v_cvt_f32_f64_e32 v2, v[0:1]
	s_mov_b32 s3, exec_lo
                                        ; implicit-def: $vgpr3
	s_delay_alu instid0(VALU_DEP_1) | instskip(NEXT) | instid1(VALU_DEP_1)
	v_and_b32_e32 v7, 0x7fffffff, v2
	v_cmpx_gt_u32_e32 0x43f00000, v7
	s_xor_b32 s3, exec_lo, s3
	s_cbranch_execz .LBB15_809
; %bb.804:
	s_mov_b32 s27, exec_lo
                                        ; implicit-def: $vgpr3
	v_cmpx_lt_u32_e32 0x3c7fffff, v7
	s_xor_b32 s27, exec_lo, s27
; %bb.805:
	v_bfe_u32 v3, v2, 20, 1
	s_delay_alu instid0(VALU_DEP_1) | instskip(NEXT) | instid1(VALU_DEP_1)
	v_add3_u32 v3, v2, v3, 0x407ffff
	v_and_b32_e32 v7, 0xff00000, v3
	v_lshrrev_b32_e32 v3, 20, v3
	s_delay_alu instid0(VALU_DEP_2) | instskip(NEXT) | instid1(VALU_DEP_2)
	v_cmp_ne_u32_e32 vcc_lo, 0x7f00000, v7
	v_cndmask_b32_e32 v3, 0x7e, v3, vcc_lo
; %bb.806:
	s_and_not1_saveexec_b32 s27, s27
; %bb.807:
	v_add_f32_e64 v3, 0x46800000, |v2|
; %bb.808:
	s_or_b32 exec_lo, exec_lo, s27
                                        ; implicit-def: $vgpr7
.LBB15_809:
	s_and_not1_saveexec_b32 s3, s3
; %bb.810:
	v_mov_b32_e32 v3, 0x7f
	v_cmp_lt_u32_e32 vcc_lo, 0x7f800000, v7
	s_delay_alu instid0(VALU_DEP_2)
	v_cndmask_b32_e32 v3, 0x7e, v3, vcc_lo
; %bb.811:
	s_or_b32 exec_lo, exec_lo, s3
	v_lshrrev_b32_e32 v2, 24, v2
	s_delay_alu instid0(VALU_DEP_1)
	v_and_or_b32 v2, 0x80, v2, v3
	global_store_b8 v[4:5], v2, off
.LBB15_812:
	s_mov_b32 s3, 0
.LBB15_813:
	s_delay_alu instid0(SALU_CYCLE_1)
	s_and_not1_b32 vcc_lo, exec_lo, s3
	s_cbranch_vccnz .LBB15_823
; %bb.814:
	v_cvt_f32_f64_e32 v2, v[0:1]
	s_mov_b32 s3, exec_lo
                                        ; implicit-def: $vgpr3
	s_delay_alu instid0(VALU_DEP_1) | instskip(NEXT) | instid1(VALU_DEP_1)
	v_and_b32_e32 v7, 0x7fffffff, v2
	v_cmpx_gt_u32_e32 0x47800000, v7
	s_xor_b32 s3, exec_lo, s3
	s_cbranch_execz .LBB15_820
; %bb.815:
	s_mov_b32 s27, exec_lo
                                        ; implicit-def: $vgpr3
	v_cmpx_lt_u32_e32 0x387fffff, v7
	s_xor_b32 s27, exec_lo, s27
; %bb.816:
	v_bfe_u32 v3, v2, 21, 1
	s_delay_alu instid0(VALU_DEP_1) | instskip(NEXT) | instid1(VALU_DEP_1)
	v_add3_u32 v3, v2, v3, 0x80fffff
	v_lshrrev_b32_e32 v3, 21, v3
; %bb.817:
	s_and_not1_saveexec_b32 s27, s27
; %bb.818:
	v_add_f32_e64 v3, 0x43000000, |v2|
; %bb.819:
	s_or_b32 exec_lo, exec_lo, s27
                                        ; implicit-def: $vgpr7
.LBB15_820:
	s_and_not1_saveexec_b32 s3, s3
; %bb.821:
	v_mov_b32_e32 v3, 0x7f
	v_cmp_lt_u32_e32 vcc_lo, 0x7f800000, v7
	s_delay_alu instid0(VALU_DEP_2)
	v_cndmask_b32_e32 v3, 0x7c, v3, vcc_lo
; %bb.822:
	s_or_b32 exec_lo, exec_lo, s3
	v_lshrrev_b32_e32 v2, 24, v2
	s_delay_alu instid0(VALU_DEP_1)
	v_and_or_b32 v2, 0x80, v2, v3
	global_store_b8 v[4:5], v2, off
.LBB15_823:
	s_mov_b32 s27, 0
	s_mov_b32 s3, -1
.LBB15_824:
	s_and_not1_b32 vcc_lo, exec_lo, s27
	s_cbranch_vccnz .LBB15_832
; %bb.825:
	v_cmp_lt_i16_e32 vcc_lo, 14, v6
	s_mov_b32 s27, -1
	s_cbranch_vccz .LBB15_829
; %bb.826:
	v_cmp_eq_u16_e32 vcc_lo, 15, v6
	s_mov_b32 s2, -1
	s_cbranch_vccz .LBB15_828
; %bb.827:
	v_cvt_f32_f64_e32 v2, v[0:1]
	s_mov_b32 s3, -1
	s_mov_b32 s2, 0
	s_delay_alu instid0(VALU_DEP_1) | instskip(SKIP_1) | instid1(VALU_DEP_2)
	v_bfe_u32 v3, v2, 16, 1
	v_cmp_o_f32_e32 vcc_lo, v2, v2
	v_add3_u32 v3, v2, v3, 0x7fff
	s_delay_alu instid0(VALU_DEP_1) | instskip(NEXT) | instid1(VALU_DEP_1)
	v_lshrrev_b32_e32 v3, 16, v3
	v_cndmask_b32_e32 v2, 0x7fc0, v3, vcc_lo
	global_store_b16 v[4:5], v2, off
.LBB15_828:
	s_mov_b32 s27, 0
.LBB15_829:
	s_delay_alu instid0(SALU_CYCLE_1)
	s_and_b32 vcc_lo, exec_lo, s27
	s_cbranch_vccz .LBB15_832
; %bb.830:
	v_cmp_eq_u16_e32 vcc_lo, 11, v6
	s_mov_b32 s2, -1
	s_cbranch_vccz .LBB15_832
; %bb.831:
	v_cmp_neq_f64_e32 vcc_lo, 0, v[0:1]
	s_mov_b32 s3, -1
	s_mov_b32 s2, 0
	v_cndmask_b32_e64 v2, 0, 1, vcc_lo
	global_store_b8 v[4:5], v2, off
.LBB15_832:
.LBB15_833:
	s_and_not1_b32 vcc_lo, exec_lo, s3
	s_cbranch_vccnz .LBB15_758
.LBB15_834:
	v_add_nc_u32_e32 v10, 0x80, v10
	s_mov_b32 s3, -1
.LBB15_835:
	s_and_not1_b32 s27, s45, exec_lo
	s_and_b32 s2, s2, exec_lo
	s_and_not1_b32 s48, s44, exec_lo
	s_and_b32 s26, s26, exec_lo
	s_or_b32 s27, s27, s2
	s_or_b32 s26, s48, s26
	s_or_not1_b32 s49, s3, exec_lo
.LBB15_836:
	s_or_b32 exec_lo, exec_lo, s47
	s_mov_b32 s2, 0
	s_mov_b32 s3, 0
	;; [unrolled: 1-line block ×3, first 2 shown]
                                        ; implicit-def: $vgpr0_vgpr1
                                        ; implicit-def: $vgpr2
                                        ; implicit-def: $vgpr6_vgpr7
	s_and_saveexec_b32 s47, s49
	s_cbranch_execz .LBB15_934
; %bb.837:
	v_cmp_gt_i32_e32 vcc_lo, s38, v10
	s_mov_b32 s49, s26
                                        ; implicit-def: $vgpr0_vgpr1
                                        ; implicit-def: $vgpr2
                                        ; implicit-def: $vgpr6_vgpr7
	s_and_saveexec_b32 s38, vcc_lo
	s_cbranch_execz .LBB15_933
; %bb.838:
	s_and_not1_b32 vcc_lo, exec_lo, s31
	s_cbranch_vccnz .LBB15_843
; %bb.839:
	v_mov_b32_e32 v2, 0
	v_mov_b32_e32 v0, 0
	s_and_not1_b32 vcc_lo, exec_lo, s40
	s_mov_b32 s40, 0
	s_cbranch_vccnz .LBB15_848
; %bb.840:
	v_mov_b32_e32 v2, 0
	s_add_i32 s48, s39, 1
	s_cmp_eq_u32 s29, 2
	s_mov_b32 s39, 0
	s_cbranch_scc1 .LBB15_844
; %bb.841:
	v_dual_mov_b32 v0, 0 :: v_dual_mov_b32 v1, v10
	v_mov_b32_e32 v2, 0
	s_and_b32 s39, s48, 28
	s_mov_b32 s49, 0
	s_mov_b64 s[2:3], s[16:17]
.LBB15_842:                             ; =>This Inner Loop Header: Depth=1
	s_clause 0x1
	s_load_b256 s[52:59], s[2:3], 0x4
	s_load_b128 s[68:71], s[2:3], 0x24
	s_load_b256 s[60:67], s[24:25], 0x0
	s_add_u32 s2, s2, 48
	s_addc_u32 s3, s3, 0
	s_add_i32 s49, s49, 4
	s_add_u32 s24, s24, 32
	s_addc_u32 s25, s25, 0
	s_cmp_eq_u32 s39, s49
	s_waitcnt vmcnt(0) lgkmcnt(0)
	v_mul_hi_u32 v3, s53, v1
	s_delay_alu instid0(VALU_DEP_1) | instskip(NEXT) | instid1(VALU_DEP_1)
	v_add_nc_u32_e32 v3, v1, v3
	v_lshrrev_b32_e32 v3, s54, v3
	s_delay_alu instid0(VALU_DEP_1) | instskip(SKIP_1) | instid1(VALU_DEP_2)
	v_mul_hi_u32 v4, s56, v3
	v_mul_lo_u32 v6, v3, s52
	v_add_nc_u32_e32 v4, v3, v4
	s_delay_alu instid0(VALU_DEP_2) | instskip(NEXT) | instid1(VALU_DEP_2)
	v_sub_nc_u32_e32 v1, v1, v6
	v_lshrrev_b32_e32 v4, s57, v4
	s_delay_alu instid0(VALU_DEP_2) | instskip(SKIP_1) | instid1(VALU_DEP_3)
	v_mul_lo_u32 v6, v1, s60
	v_mul_lo_u32 v8, v1, s61
	v_mul_hi_u32 v5, s59, v4
	s_delay_alu instid0(VALU_DEP_1) | instskip(NEXT) | instid1(VALU_DEP_1)
	v_add_nc_u32_e32 v5, v4, v5
	v_lshrrev_b32_e32 v5, s68, v5
	s_delay_alu instid0(VALU_DEP_1) | instskip(SKIP_1) | instid1(VALU_DEP_2)
	v_mul_hi_u32 v7, s70, v5
	v_mul_lo_u32 v11, v5, s58
	v_add_nc_u32_e32 v1, v5, v7
	v_mul_lo_u32 v7, v4, s55
	s_delay_alu instid0(VALU_DEP_3) | instskip(NEXT) | instid1(VALU_DEP_3)
	v_sub_nc_u32_e32 v4, v4, v11
	v_lshrrev_b32_e32 v1, s71, v1
	s_delay_alu instid0(VALU_DEP_2) | instskip(SKIP_2) | instid1(VALU_DEP_4)
	v_mul_lo_u32 v11, v4, s64
	v_mul_lo_u32 v4, v4, s65
	v_sub_nc_u32_e32 v3, v3, v7
	v_mul_lo_u32 v12, v1, s69
	s_delay_alu instid0(VALU_DEP_2) | instskip(SKIP_1) | instid1(VALU_DEP_3)
	v_mul_lo_u32 v7, v3, s62
	v_mul_lo_u32 v3, v3, s63
	v_sub_nc_u32_e32 v5, v5, v12
	s_delay_alu instid0(VALU_DEP_3) | instskip(NEXT) | instid1(VALU_DEP_2)
	v_add3_u32 v2, v6, v2, v7
	v_mul_lo_u32 v12, v5, s66
	v_mul_lo_u32 v5, v5, s67
	v_add3_u32 v0, v8, v0, v3
	s_delay_alu instid0(VALU_DEP_3) | instskip(NEXT) | instid1(VALU_DEP_2)
	v_add3_u32 v2, v11, v2, v12
	v_add3_u32 v0, v4, v0, v5
	s_cbranch_scc0 .LBB15_842
	s_branch .LBB15_845
.LBB15_843:
	s_mov_b32 s40, -1
                                        ; implicit-def: $vgpr2
                                        ; implicit-def: $vgpr0
	s_branch .LBB15_848
.LBB15_844:
	v_dual_mov_b32 v1, v10 :: v_dual_mov_b32 v0, 0
.LBB15_845:
	s_and_b32 s48, s48, 3
	s_delay_alu instid0(SALU_CYCLE_1)
	s_cmp_eq_u32 s48, 0
	s_cbranch_scc1 .LBB15_848
; %bb.846:
	s_lshl_b32 s2, s39, 3
	s_mul_i32 s24, s39, 12
	s_add_u32 s2, s2, s16
	s_addc_u32 s3, s17, 0
	s_add_u32 s2, s2, 0xc4
	s_addc_u32 s3, s3, 0
	;; [unrolled: 2-line block ×3, first 2 shown]
.LBB15_847:                             ; =>This Inner Loop Header: Depth=1
	s_clause 0x1
	s_load_b64 s[50:51], s[24:25], 0x4
	s_load_b32 s39, s[24:25], 0xc
	s_load_b64 s[52:53], s[2:3], 0x0
	s_add_u32 s24, s24, 12
	s_addc_u32 s25, s25, 0
	s_add_u32 s2, s2, 8
	s_addc_u32 s3, s3, 0
	s_add_i32 s48, s48, -1
	s_delay_alu instid0(SALU_CYCLE_1) | instskip(SKIP_2) | instid1(VALU_DEP_1)
	s_cmp_lg_u32 s48, 0
	s_waitcnt vmcnt(0) lgkmcnt(0)
	v_mul_hi_u32 v3, s51, v1
	v_add_nc_u32_e32 v3, v1, v3
	s_delay_alu instid0(VALU_DEP_1) | instskip(NEXT) | instid1(VALU_DEP_1)
	v_lshrrev_b32_e32 v6, s39, v3
	v_mul_lo_u32 v3, v6, s50
	s_delay_alu instid0(VALU_DEP_1) | instskip(NEXT) | instid1(VALU_DEP_1)
	v_sub_nc_u32_e32 v1, v1, v3
	v_mad_u64_u32 v[3:4], null, v1, s52, v[2:3]
	v_mad_u64_u32 v[4:5], null, v1, s53, v[0:1]
	s_delay_alu instid0(VALU_DEP_2) | instskip(NEXT) | instid1(VALU_DEP_2)
	v_dual_mov_b32 v1, v6 :: v_dual_mov_b32 v2, v3
	v_mov_b32_e32 v0, v4
	s_cbranch_scc1 .LBB15_847
.LBB15_848:
	s_and_not1_b32 vcc_lo, exec_lo, s40
	s_cbranch_vccnz .LBB15_851
; %bb.849:
	s_waitcnt lgkmcnt(0)
	v_mul_hi_u32 v0, s13, v10
	s_and_not1_b32 vcc_lo, exec_lo, s37
	s_delay_alu instid0(VALU_DEP_1) | instskip(NEXT) | instid1(VALU_DEP_1)
	v_add_nc_u32_e32 v0, v10, v0
	v_lshrrev_b32_e32 v1, s14, v0
	s_delay_alu instid0(VALU_DEP_1) | instskip(NEXT) | instid1(VALU_DEP_1)
	v_mul_lo_u32 v0, v1, s12
	v_sub_nc_u32_e32 v0, v10, v0
	s_delay_alu instid0(VALU_DEP_1)
	v_mul_lo_u32 v2, v0, s8
	v_mul_lo_u32 v0, v0, s9
	s_cbranch_vccnz .LBB15_851
; %bb.850:
	s_waitcnt vmcnt(0)
	v_mul_hi_u32 v3, s22, v1
	s_delay_alu instid0(VALU_DEP_1) | instskip(NEXT) | instid1(VALU_DEP_1)
	v_add_nc_u32_e32 v3, v1, v3
	v_lshrrev_b32_e32 v3, s23, v3
	s_delay_alu instid0(VALU_DEP_1) | instskip(NEXT) | instid1(VALU_DEP_1)
	v_mul_lo_u32 v3, v3, s15
	v_sub_nc_u32_e32 v5, v1, v3
	s_delay_alu instid0(VALU_DEP_1) | instskip(SKIP_1) | instid1(VALU_DEP_2)
	v_mad_u64_u32 v[3:4], null, v5, s10, v[2:3]
	v_mad_u64_u32 v[1:2], null, v5, s11, v[0:1]
	v_mov_b32_e32 v2, v3
	s_delay_alu instid0(VALU_DEP_2)
	v_mov_b32_e32 v0, v1
.LBB15_851:
	v_cmp_gt_i16_e32 vcc_lo, 11, v9
	s_waitcnt lgkmcnt(0)
	s_delay_alu instid0(VALU_DEP_2) | instskip(NEXT) | instid1(VALU_DEP_1)
	v_add_co_u32 v0, s2, s6, v0
	v_add_co_ci_u32_e64 v1, null, s7, 0, s2
	s_mov_b32 s2, 0
	s_cbranch_vccnz .LBB15_858
; %bb.852:
	v_cmp_lt_i16_e32 vcc_lo, 25, v9
	s_mov_b32 s7, 0
	s_cbranch_vccz .LBB15_859
; %bb.853:
	v_cmp_lt_i16_e32 vcc_lo, 28, v9
	s_cbranch_vccz .LBB15_860
; %bb.854:
	v_cmp_lt_i16_e32 vcc_lo, 43, v9
	;; [unrolled: 3-line block ×3, first 2 shown]
	s_cbranch_vccz .LBB15_864
; %bb.856:
	v_cmp_eq_u16_e32 vcc_lo, 46, v9
	s_mov_b32 s3, 0
	s_cbranch_vccz .LBB15_867
; %bb.857:
	global_load_b32 v3, v[0:1], off
	s_mov_b32 s6, 0
	s_mov_b32 s2, -1
	s_waitcnt vmcnt(0)
	v_lshlrev_b32_e32 v3, 16, v3
	s_delay_alu instid0(VALU_DEP_1)
	v_cvt_f64_f32_e32 v[6:7], v3
	s_branch .LBB15_869
.LBB15_858:
	s_mov_b32 s3, -1
	s_mov_b32 s7, 0
	s_mov_b32 s6, s26
                                        ; implicit-def: $vgpr6_vgpr7
	s_branch .LBB15_932
.LBB15_859:
	s_mov_b32 s3, -1
	s_mov_b32 s6, s26
                                        ; implicit-def: $vgpr6_vgpr7
	s_branch .LBB15_900
.LBB15_860:
	s_mov_b32 s3, -1
	s_mov_b32 s6, s26
                                        ; implicit-def: $vgpr6_vgpr7
	s_branch .LBB15_879
.LBB15_861:
	s_mov_b32 s3, -1
	s_mov_b32 s6, s26
                                        ; implicit-def: $vgpr6_vgpr7
	s_branch .LBB15_874
.LBB15_862:
	s_or_saveexec_b32 s48, s48
                                        ; implicit-def: $sgpr49
	s_delay_alu instid0(SALU_CYCLE_1)
	s_xor_b32 exec_lo, exec_lo, s48
	s_cbranch_execz .LBB15_785
.LBB15_863:
	v_add_f32_e64 v3, 0x46000000, |v2|
	s_and_not1_b32 s27, s27, exec_lo
	s_mov_b32 s49, 0
	s_delay_alu instid0(VALU_DEP_1) | instskip(NEXT) | instid1(VALU_DEP_1)
	v_and_b32_e32 v3, 0xff, v3
	v_cmp_ne_u32_e32 vcc_lo, 0, v3
	s_and_b32 s50, vcc_lo, exec_lo
	s_delay_alu instid0(SALU_CYCLE_1)
	s_or_b32 s27, s27, s50
	s_or_b32 exec_lo, exec_lo, s48
	v_mov_b32_e32 v7, s49
	s_and_saveexec_b32 s48, s27
	s_cbranch_execnz .LBB15_786
	s_branch .LBB15_787
.LBB15_864:
	s_mov_b32 s3, -1
	s_mov_b32 s6, s26
	s_branch .LBB15_868
.LBB15_865:
	s_or_saveexec_b32 s48, s48
                                        ; implicit-def: $sgpr49
	s_delay_alu instid0(SALU_CYCLE_1)
	s_xor_b32 exec_lo, exec_lo, s48
	s_cbranch_execz .LBB15_798
.LBB15_866:
	v_add_f32_e64 v3, 0x42800000, |v2|
	s_and_not1_b32 s27, s27, exec_lo
	s_mov_b32 s49, 0
	s_delay_alu instid0(VALU_DEP_1) | instskip(NEXT) | instid1(VALU_DEP_1)
	v_and_b32_e32 v3, 0xff, v3
	v_cmp_ne_u32_e32 vcc_lo, 0, v3
	s_and_b32 s50, vcc_lo, exec_lo
	s_delay_alu instid0(SALU_CYCLE_1)
	s_or_b32 s27, s27, s50
	s_or_b32 exec_lo, exec_lo, s48
	v_mov_b32_e32 v7, s49
	s_and_saveexec_b32 s48, s27
	s_cbranch_execnz .LBB15_799
	s_branch .LBB15_800
.LBB15_867:
	s_mov_b32 s6, -1
.LBB15_868:
                                        ; implicit-def: $vgpr6_vgpr7
.LBB15_869:
	s_and_b32 vcc_lo, exec_lo, s3
	s_cbranch_vccz .LBB15_873
; %bb.870:
	v_cmp_eq_u16_e32 vcc_lo, 44, v9
	s_cbranch_vccz .LBB15_872
; %bb.871:
	global_load_u8 v5, v[0:1], off
	s_mov_b32 s6, 0
	s_mov_b32 s2, -1
	s_waitcnt vmcnt(0)
	v_cmp_ne_u32_e32 vcc_lo, 0xff, v5
	v_lshlrev_b32_e32 v3, 23, v5
	s_delay_alu instid0(VALU_DEP_1) | instskip(NEXT) | instid1(VALU_DEP_1)
	v_cvt_f64_f32_e32 v[3:4], v3
	v_cndmask_b32_e32 v4, 0x7ff80000, v4, vcc_lo
	s_delay_alu instid0(VALU_DEP_2) | instskip(SKIP_1) | instid1(VALU_DEP_3)
	v_cndmask_b32_e32 v3, 0x20000000, v3, vcc_lo
	v_cmp_ne_u32_e32 vcc_lo, 0, v5
	v_cndmask_b32_e32 v7, 0x38000000, v4, vcc_lo
	s_delay_alu instid0(VALU_DEP_3)
	v_cndmask_b32_e32 v6, 0, v3, vcc_lo
	s_branch .LBB15_873
.LBB15_872:
	s_mov_b32 s6, -1
                                        ; implicit-def: $vgpr6_vgpr7
.LBB15_873:
	s_mov_b32 s3, 0
.LBB15_874:
	s_delay_alu instid0(SALU_CYCLE_1)
	s_and_b32 vcc_lo, exec_lo, s3
	s_cbranch_vccz .LBB15_878
; %bb.875:
	v_cmp_eq_u16_e32 vcc_lo, 29, v9
	s_cbranch_vccz .LBB15_877
; %bb.876:
	global_load_b64 v[3:4], v[0:1], off
	s_mov_b32 s6, 0
	s_mov_b32 s2, -1
	s_mov_b32 s3, 0
	s_waitcnt vmcnt(0)
	v_cvt_f64_u32_e32 v[4:5], v4
	v_cvt_f64_u32_e32 v[6:7], v3
	s_delay_alu instid0(VALU_DEP_2) | instskip(NEXT) | instid1(VALU_DEP_1)
	v_ldexp_f64 v[4:5], v[4:5], 32
	v_add_f64 v[6:7], v[4:5], v[6:7]
	s_branch .LBB15_879
.LBB15_877:
	s_mov_b32 s6, -1
                                        ; implicit-def: $vgpr6_vgpr7
.LBB15_878:
	s_mov_b32 s3, 0
.LBB15_879:
	s_delay_alu instid0(SALU_CYCLE_1)
	s_and_b32 vcc_lo, exec_lo, s3
	s_cbranch_vccz .LBB15_899
; %bb.880:
	v_cmp_gt_i16_e32 vcc_lo, 27, v9
	s_cbranch_vccnz .LBB15_883
; %bb.881:
	v_cmp_lt_i16_e32 vcc_lo, 27, v9
	s_cbranch_vccz .LBB15_884
; %bb.882:
	global_load_b32 v3, v[0:1], off
	s_mov_b32 s2, 0
	s_waitcnt vmcnt(0)
	v_cvt_f64_u32_e32 v[6:7], v3
	s_branch .LBB15_885
.LBB15_883:
	s_mov_b32 s2, -1
                                        ; implicit-def: $vgpr6_vgpr7
	s_branch .LBB15_888
.LBB15_884:
	s_mov_b32 s2, -1
                                        ; implicit-def: $vgpr6_vgpr7
.LBB15_885:
	s_delay_alu instid0(SALU_CYCLE_1)
	s_and_not1_b32 vcc_lo, exec_lo, s2
	s_cbranch_vccnz .LBB15_887
; %bb.886:
	global_load_u16 v3, v[0:1], off
	s_waitcnt vmcnt(0)
	v_cvt_f64_u32_e32 v[6:7], v3
.LBB15_887:
	s_mov_b32 s2, 0
.LBB15_888:
	s_delay_alu instid0(SALU_CYCLE_1)
	s_and_not1_b32 vcc_lo, exec_lo, s2
	s_cbranch_vccnz .LBB15_898
; %bb.889:
	global_load_u8 v3, v[0:1], off
	s_mov_b32 s8, 0
	s_mov_b32 s9, exec_lo
                                        ; implicit-def: $sgpr2_sgpr3
	s_waitcnt vmcnt(0)
	v_cmpx_lt_i16_e32 0x7f, v3
	s_xor_b32 s9, exec_lo, s9
	s_cbranch_execz .LBB15_893
; %bb.890:
	s_mov_b32 s10, -1
	s_mov_b32 s8, exec_lo
                                        ; implicit-def: $sgpr2_sgpr3
	v_cmpx_eq_u16_e32 0x80, v3
; %bb.891:
	s_mov_b32 s3, 0x7ff80000
	s_brev_b32 s2, 4
	s_xor_b32 s10, exec_lo, -1
; %bb.892:
	s_or_b32 exec_lo, exec_lo, s8
	s_delay_alu instid0(SALU_CYCLE_1)
	s_and_b32 s8, s10, exec_lo
.LBB15_893:
	s_or_saveexec_b32 s9, s9
	v_dual_mov_b32 v7, s3 :: v_dual_mov_b32 v6, s2
	s_xor_b32 exec_lo, exec_lo, s9
; %bb.894:
	v_cmp_ne_u16_e32 vcc_lo, 0, v3
	v_mov_b32_e32 v6, 0
	v_mov_b32_e32 v7, 0
	s_and_not1_b32 s2, s8, exec_lo
	s_and_b32 s3, vcc_lo, exec_lo
	s_delay_alu instid0(SALU_CYCLE_1)
	s_or_b32 s8, s2, s3
; %bb.895:
	s_or_b32 exec_lo, exec_lo, s9
	s_and_saveexec_b32 s2, s8
	s_cbranch_execz .LBB15_897
; %bb.896:
	v_and_b32_e32 v4, 0xffff, v3
	v_lshlrev_b32_e32 v3, 24, v3
	s_delay_alu instid0(VALU_DEP_2) | instskip(NEXT) | instid1(VALU_DEP_2)
	v_and_b32_e32 v5, 7, v4
	v_and_b32_e32 v3, 0x80000000, v3
	s_delay_alu instid0(VALU_DEP_2) | instskip(NEXT) | instid1(VALU_DEP_1)
	v_clz_i32_u32_e32 v6, v5
	v_min_u32_e32 v6, 32, v6
	s_delay_alu instid0(VALU_DEP_1) | instskip(SKIP_1) | instid1(VALU_DEP_2)
	v_subrev_nc_u32_e32 v7, 28, v6
	v_sub_nc_u32_e32 v6, 29, v6
	v_lshlrev_b32_e32 v7, v7, v4
	v_bfe_u32 v4, v4, 3, 4
	s_delay_alu instid0(VALU_DEP_2) | instskip(NEXT) | instid1(VALU_DEP_2)
	v_and_b32_e32 v7, 7, v7
	v_cmp_eq_u32_e32 vcc_lo, 0, v4
	s_delay_alu instid0(VALU_DEP_2) | instskip(NEXT) | instid1(VALU_DEP_1)
	v_dual_cndmask_b32 v4, v4, v6 :: v_dual_cndmask_b32 v5, v5, v7
	v_lshl_add_u32 v4, v4, 23, 0x3b800000
	s_delay_alu instid0(VALU_DEP_2) | instskip(NEXT) | instid1(VALU_DEP_1)
	v_lshlrev_b32_e32 v5, 20, v5
	v_or3_b32 v3, v3, v4, v5
	s_delay_alu instid0(VALU_DEP_1)
	v_cvt_f64_f32_e32 v[6:7], v3
.LBB15_897:
	s_or_b32 exec_lo, exec_lo, s2
.LBB15_898:
	s_mov_b32 s2, -1
.LBB15_899:
	s_mov_b32 s3, 0
.LBB15_900:
	s_delay_alu instid0(SALU_CYCLE_1)
	s_and_b32 vcc_lo, exec_lo, s3
	s_cbranch_vccz .LBB15_931
; %bb.901:
	v_cmp_lt_i16_e32 vcc_lo, 22, v9
	s_cbranch_vccz .LBB15_913
; %bb.902:
	v_cmp_gt_i16_e32 vcc_lo, 24, v9
	s_cbranch_vccnz .LBB15_914
; %bb.903:
	v_cmp_lt_i16_e32 vcc_lo, 24, v9
	s_cbranch_vccz .LBB15_915
; %bb.904:
	global_load_u8 v3, v[0:1], off
	s_mov_b32 s8, exec_lo
                                        ; implicit-def: $sgpr2_sgpr3
	s_waitcnt vmcnt(0)
	v_cmpx_lt_i16_e32 0x7f, v3
	s_xor_b32 s8, exec_lo, s8
	s_cbranch_execz .LBB15_908
; %bb.905:
	s_mov_b32 s9, -1
	s_mov_b32 s7, exec_lo
                                        ; implicit-def: $sgpr2_sgpr3
	v_cmpx_eq_u16_e32 0x80, v3
; %bb.906:
	s_mov_b32 s3, 0x7ff80000
	s_brev_b32 s2, 4
	s_xor_b32 s9, exec_lo, -1
; %bb.907:
	s_or_b32 exec_lo, exec_lo, s7
	s_delay_alu instid0(SALU_CYCLE_1)
	s_and_b32 s7, s9, exec_lo
.LBB15_908:
	s_or_saveexec_b32 s8, s8
	v_dual_mov_b32 v7, s3 :: v_dual_mov_b32 v6, s2
	s_xor_b32 exec_lo, exec_lo, s8
; %bb.909:
	v_cmp_ne_u16_e32 vcc_lo, 0, v3
	v_mov_b32_e32 v6, 0
	v_mov_b32_e32 v7, 0
	s_and_not1_b32 s2, s7, exec_lo
	s_and_b32 s3, vcc_lo, exec_lo
	s_delay_alu instid0(SALU_CYCLE_1)
	s_or_b32 s7, s2, s3
; %bb.910:
	s_or_b32 exec_lo, exec_lo, s8
	s_and_saveexec_b32 s2, s7
	s_cbranch_execz .LBB15_912
; %bb.911:
	v_and_b32_e32 v4, 0xffff, v3
	v_lshlrev_b32_e32 v3, 24, v3
	s_delay_alu instid0(VALU_DEP_2) | instskip(NEXT) | instid1(VALU_DEP_2)
	v_and_b32_e32 v5, 3, v4
	v_and_b32_e32 v3, 0x80000000, v3
	s_delay_alu instid0(VALU_DEP_2) | instskip(NEXT) | instid1(VALU_DEP_1)
	v_clz_i32_u32_e32 v6, v5
	v_min_u32_e32 v6, 32, v6
	s_delay_alu instid0(VALU_DEP_1) | instskip(SKIP_1) | instid1(VALU_DEP_2)
	v_subrev_nc_u32_e32 v7, 29, v6
	v_sub_nc_u32_e32 v6, 30, v6
	v_lshlrev_b32_e32 v7, v7, v4
	v_bfe_u32 v4, v4, 2, 5
	s_delay_alu instid0(VALU_DEP_2) | instskip(NEXT) | instid1(VALU_DEP_2)
	v_and_b32_e32 v7, 3, v7
	v_cmp_eq_u32_e32 vcc_lo, 0, v4
	s_delay_alu instid0(VALU_DEP_2) | instskip(NEXT) | instid1(VALU_DEP_1)
	v_dual_cndmask_b32 v4, v4, v6 :: v_dual_cndmask_b32 v5, v5, v7
	v_lshl_add_u32 v4, v4, 23, 0x37800000
	s_delay_alu instid0(VALU_DEP_2) | instskip(NEXT) | instid1(VALU_DEP_1)
	v_lshlrev_b32_e32 v5, 21, v5
	v_or3_b32 v3, v3, v4, v5
	s_delay_alu instid0(VALU_DEP_1)
	v_cvt_f64_f32_e32 v[6:7], v3
.LBB15_912:
	s_or_b32 exec_lo, exec_lo, s2
	s_mov_b32 s2, 0
	s_branch .LBB15_916
.LBB15_913:
	s_mov_b32 s3, -1
                                        ; implicit-def: $vgpr6_vgpr7
	s_branch .LBB15_922
.LBB15_914:
	s_mov_b32 s2, -1
                                        ; implicit-def: $vgpr6_vgpr7
	s_branch .LBB15_919
.LBB15_915:
	s_mov_b32 s2, -1
                                        ; implicit-def: $vgpr6_vgpr7
.LBB15_916:
	s_delay_alu instid0(SALU_CYCLE_1)
	s_and_b32 vcc_lo, exec_lo, s2
	s_cbranch_vccz .LBB15_918
; %bb.917:
	global_load_u8 v3, v[0:1], off
	s_waitcnt vmcnt(0)
	v_lshlrev_b32_e32 v3, 24, v3
	s_delay_alu instid0(VALU_DEP_1) | instskip(NEXT) | instid1(VALU_DEP_1)
	v_and_b32_e32 v4, 0x7f000000, v3
	v_clz_i32_u32_e32 v5, v4
	v_add_nc_u32_e32 v7, 0x1000000, v4
	v_cmp_ne_u32_e32 vcc_lo, 0, v4
	s_delay_alu instid0(VALU_DEP_3) | instskip(NEXT) | instid1(VALU_DEP_1)
	v_min_u32_e32 v5, 32, v5
	v_sub_nc_u32_e64 v5, v5, 4 clamp
	s_delay_alu instid0(VALU_DEP_1) | instskip(SKIP_1) | instid1(VALU_DEP_2)
	v_lshlrev_b32_e32 v6, v5, v4
	v_lshlrev_b32_e32 v5, 23, v5
	v_lshrrev_b32_e32 v6, 4, v6
	s_delay_alu instid0(VALU_DEP_1) | instskip(SKIP_1) | instid1(VALU_DEP_2)
	v_sub_nc_u32_e32 v5, v6, v5
	v_ashrrev_i32_e32 v6, 8, v7
	v_add_nc_u32_e32 v5, 0x3c000000, v5
	s_delay_alu instid0(VALU_DEP_1) | instskip(NEXT) | instid1(VALU_DEP_1)
	v_and_or_b32 v5, 0x7f800000, v6, v5
	v_cndmask_b32_e32 v4, 0, v5, vcc_lo
	s_delay_alu instid0(VALU_DEP_1) | instskip(NEXT) | instid1(VALU_DEP_1)
	v_and_or_b32 v3, 0x80000000, v3, v4
	v_cvt_f64_f32_e32 v[6:7], v3
.LBB15_918:
	s_mov_b32 s2, 0
.LBB15_919:
	s_delay_alu instid0(SALU_CYCLE_1)
	s_and_not1_b32 vcc_lo, exec_lo, s2
	s_cbranch_vccnz .LBB15_921
; %bb.920:
	global_load_u8 v3, v[0:1], off
	s_waitcnt vmcnt(0)
	v_lshlrev_b32_e32 v4, 25, v3
	v_lshlrev_b16 v3, 8, v3
	s_delay_alu instid0(VALU_DEP_2) | instskip(NEXT) | instid1(VALU_DEP_2)
	v_lshrrev_b32_e32 v5, 4, v4
	v_and_or_b32 v6, 0x7f00, v3, 0.5
	v_bfe_i32 v3, v3, 0, 16
	s_delay_alu instid0(VALU_DEP_3) | instskip(NEXT) | instid1(VALU_DEP_1)
	v_or_b32_e32 v5, 0x70000000, v5
	v_dual_add_f32 v6, -0.5, v6 :: v_dual_mul_f32 v5, 0x7800000, v5
	v_cmp_gt_u32_e32 vcc_lo, 0x8000000, v4
	s_delay_alu instid0(VALU_DEP_2) | instskip(NEXT) | instid1(VALU_DEP_1)
	v_cndmask_b32_e32 v4, v5, v6, vcc_lo
	v_and_or_b32 v3, 0x80000000, v3, v4
	s_delay_alu instid0(VALU_DEP_1)
	v_cvt_f64_f32_e32 v[6:7], v3
.LBB15_921:
	s_mov_b32 s3, 0
	s_mov_b32 s2, -1
.LBB15_922:
	s_and_not1_b32 vcc_lo, exec_lo, s3
	s_mov_b32 s7, 0
	s_cbranch_vccnz .LBB15_931
; %bb.923:
	v_cmp_lt_i16_e32 vcc_lo, 14, v9
	s_cbranch_vccz .LBB15_926
; %bb.924:
	v_cmp_eq_u16_e32 vcc_lo, 15, v9
	s_cbranch_vccz .LBB15_927
; %bb.925:
	global_load_u16 v3, v[0:1], off
	s_mov_b32 s6, 0
	s_mov_b32 s2, -1
	s_waitcnt vmcnt(0)
	v_lshlrev_b32_e32 v3, 16, v3
	s_delay_alu instid0(VALU_DEP_1)
	v_cvt_f64_f32_e32 v[6:7], v3
	s_branch .LBB15_928
.LBB15_926:
	s_mov_b32 s3, -1
                                        ; implicit-def: $vgpr6_vgpr7
	s_branch .LBB15_929
.LBB15_927:
	s_mov_b32 s6, -1
                                        ; implicit-def: $vgpr6_vgpr7
.LBB15_928:
	s_mov_b32 s3, 0
.LBB15_929:
	s_delay_alu instid0(SALU_CYCLE_1)
	s_and_b32 vcc_lo, exec_lo, s3
	s_cbranch_vccz .LBB15_931
; %bb.930:
	v_cmp_ne_u16_e32 vcc_lo, 11, v9
	s_and_not1_b32 s3, s6, exec_lo
	s_mov_b32 s7, -1
                                        ; implicit-def: $vgpr6_vgpr7
	s_and_b32 s6, vcc_lo, exec_lo
	s_delay_alu instid0(SALU_CYCLE_1)
	s_or_b32 s6, s3, s6
.LBB15_931:
	s_mov_b32 s3, 0
.LBB15_932:
	s_and_not1_b32 s8, s26, exec_lo
	s_and_b32 s6, s6, exec_lo
	s_and_b32 s48, s2, exec_lo
	s_and_b32 s3, s3, exec_lo
	s_and_b32 s2, s7, exec_lo
	s_or_b32 s49, s8, s6
.LBB15_933:
	s_or_b32 exec_lo, exec_lo, s38
	s_waitcnt lgkmcnt(0)
	s_and_not1_b32 s6, s26, exec_lo
	s_and_b32 s7, s49, exec_lo
	s_and_b32 s48, s48, exec_lo
	;; [unrolled: 1-line block ×4, first 2 shown]
	s_or_b32 s26, s6, s7
.LBB15_934:
	s_or_b32 exec_lo, exec_lo, s47
	s_waitcnt lgkmcnt(0)
	s_and_not1_b32 s6, s45, exec_lo
	s_and_b32 s7, s27, exec_lo
	s_and_b32 s47, s48, exec_lo
	s_or_b32 s45, s6, s7
	s_and_not1_b32 s6, s44, exec_lo
	s_and_b32 s7, s26, exec_lo
	s_and_b32 s27, s3, exec_lo
	;; [unrolled: 1-line block ×3, first 2 shown]
	s_or_b32 s44, s6, s7
.LBB15_935:
	s_or_b32 exec_lo, exec_lo, s46
	s_delay_alu instid0(SALU_CYCLE_1)
	s_and_not1_b32 s2, s41, exec_lo
	s_waitcnt lgkmcnt(0)
	s_and_b32 s6, s45, exec_lo
	s_and_b32 s7, s44, exec_lo
	s_or_b32 s41, s2, s6
	s_and_not1_b32 s6, s42, exec_lo
	s_and_b32 s2, s47, exec_lo
	s_and_b32 s26, s27, exec_lo
	;; [unrolled: 1-line block ×3, first 2 shown]
	s_or_b32 s42, s6, s7
.LBB15_936:
	s_or_b32 exec_lo, exec_lo, s43
	s_waitcnt lgkmcnt(0)
	s_mov_b32 s6, 0
	s_and_saveexec_b32 s3, s42
	s_cbranch_execnz .LBB15_948
; %bb.937:
	s_or_b32 exec_lo, exec_lo, s3
	s_and_saveexec_b32 s3, s44
	s_delay_alu instid0(SALU_CYCLE_1)
	s_xor_b32 s3, exec_lo, s3
	s_cbranch_execz .LBB15_939
.LBB15_938:
	global_load_u8 v3, v[0:1], off
	v_mov_b32_e32 v6, 0
	s_or_b32 s2, s2, exec_lo
	s_waitcnt vmcnt(0)
	v_cmp_ne_u16_e32 vcc_lo, 0, v3
	v_cndmask_b32_e64 v7, 0, 0x3ff00000, vcc_lo
.LBB15_939:
	s_or_b32 exec_lo, exec_lo, s3
	s_and_saveexec_b32 s3, s26
	s_cbranch_execz .LBB15_987
; %bb.940:
	v_cmp_gt_i16_e32 vcc_lo, 5, v9
	s_cbranch_vccnz .LBB15_945
; %bb.941:
	v_cmp_gt_i16_e32 vcc_lo, 8, v9
	s_cbranch_vccnz .LBB15_946
	;; [unrolled: 3-line block ×3, first 2 shown]
; %bb.943:
	v_cmp_lt_i16_e32 vcc_lo, 9, v9
	s_cbranch_vccz .LBB15_950
; %bb.944:
	global_load_b64 v[6:7], v[0:1], off
	s_mov_b32 s7, 0
	s_branch .LBB15_951
.LBB15_945:
                                        ; implicit-def: $vgpr6_vgpr7
	s_branch .LBB15_968
.LBB15_946:
                                        ; implicit-def: $vgpr6_vgpr7
	s_branch .LBB15_957
.LBB15_947:
	s_mov_b32 s7, -1
                                        ; implicit-def: $vgpr6_vgpr7
	s_branch .LBB15_954
.LBB15_948:
	s_cbranch_execnz .LBB15_1228
; %bb.949:
	s_mov_b32 s6, exec_lo
	s_and_not1_b32 s44, s44, exec_lo
                                        ; implicit-def: $vgpr6_vgpr7
	s_or_b32 exec_lo, exec_lo, s3
	s_and_saveexec_b32 s3, s44
	s_delay_alu instid0(SALU_CYCLE_1)
	s_xor_b32 s3, exec_lo, s3
	s_cbranch_execnz .LBB15_938
	s_branch .LBB15_939
.LBB15_950:
	s_mov_b32 s7, -1
                                        ; implicit-def: $vgpr6_vgpr7
.LBB15_951:
	s_delay_alu instid0(SALU_CYCLE_1)
	s_and_not1_b32 vcc_lo, exec_lo, s7
	s_cbranch_vccnz .LBB15_953
; %bb.952:
	global_load_b32 v3, v[0:1], off
	s_waitcnt vmcnt(0)
	v_cvt_f64_f32_e32 v[6:7], v3
.LBB15_953:
	s_mov_b32 s7, 0
.LBB15_954:
	s_delay_alu instid0(SALU_CYCLE_1)
	s_and_not1_b32 vcc_lo, exec_lo, s7
	s_cbranch_vccnz .LBB15_956
; %bb.955:
	global_load_b32 v3, v[0:1], off
	s_waitcnt vmcnt(0)
	v_cvt_f32_f16_e32 v3, v3
	s_delay_alu instid0(VALU_DEP_1)
	v_cvt_f64_f32_e32 v[6:7], v3
.LBB15_956:
	s_cbranch_execnz .LBB15_967
.LBB15_957:
	v_cmp_gt_i16_e32 vcc_lo, 6, v9
	s_cbranch_vccnz .LBB15_960
; %bb.958:
	v_cmp_lt_i16_e32 vcc_lo, 6, v9
	s_cbranch_vccz .LBB15_961
; %bb.959:
	global_load_b64 v[6:7], v[0:1], off
	s_mov_b32 s7, 0
	s_branch .LBB15_962
.LBB15_960:
	s_mov_b32 s7, -1
                                        ; implicit-def: $vgpr6_vgpr7
	s_branch .LBB15_965
.LBB15_961:
	s_mov_b32 s7, -1
                                        ; implicit-def: $vgpr6_vgpr7
.LBB15_962:
	s_delay_alu instid0(SALU_CYCLE_1)
	s_and_not1_b32 vcc_lo, exec_lo, s7
	s_cbranch_vccnz .LBB15_964
; %bb.963:
	global_load_b32 v3, v[0:1], off
	s_waitcnt vmcnt(0)
	v_cvt_f64_f32_e32 v[6:7], v3
.LBB15_964:
	s_mov_b32 s7, 0
.LBB15_965:
	s_delay_alu instid0(SALU_CYCLE_1)
	s_and_not1_b32 vcc_lo, exec_lo, s7
	s_cbranch_vccnz .LBB15_967
; %bb.966:
	global_load_u16 v3, v[0:1], off
	s_waitcnt vmcnt(0)
	v_cvt_f32_f16_e32 v3, v3
	s_delay_alu instid0(VALU_DEP_1)
	v_cvt_f64_f32_e32 v[6:7], v3
.LBB15_967:
	s_cbranch_execnz .LBB15_986
.LBB15_968:
	v_cmp_gt_i16_e32 vcc_lo, 2, v9
	s_cbranch_vccnz .LBB15_972
; %bb.969:
	v_cmp_gt_i16_e32 vcc_lo, 3, v9
	s_cbranch_vccnz .LBB15_973
; %bb.970:
	v_cmp_lt_i16_e32 vcc_lo, 3, v9
	s_cbranch_vccz .LBB15_974
; %bb.971:
	global_load_b64 v[3:4], v[0:1], off
	s_mov_b32 s7, 0
	s_waitcnt vmcnt(0)
	v_cvt_f64_i32_e32 v[4:5], v4
	v_cvt_f64_u32_e32 v[6:7], v3
	s_delay_alu instid0(VALU_DEP_2) | instskip(NEXT) | instid1(VALU_DEP_1)
	v_ldexp_f64 v[4:5], v[4:5], 32
	v_add_f64 v[6:7], v[4:5], v[6:7]
	s_branch .LBB15_975
.LBB15_972:
                                        ; implicit-def: $vgpr6_vgpr7
	s_branch .LBB15_981
.LBB15_973:
	s_mov_b32 s7, -1
                                        ; implicit-def: $vgpr6_vgpr7
	s_branch .LBB15_978
.LBB15_974:
	s_mov_b32 s7, -1
                                        ; implicit-def: $vgpr6_vgpr7
.LBB15_975:
	s_delay_alu instid0(SALU_CYCLE_1)
	s_and_not1_b32 vcc_lo, exec_lo, s7
	s_cbranch_vccnz .LBB15_977
; %bb.976:
	global_load_b32 v3, v[0:1], off
	s_waitcnt vmcnt(0)
	v_cvt_f64_i32_e32 v[6:7], v3
.LBB15_977:
	s_mov_b32 s7, 0
.LBB15_978:
	s_delay_alu instid0(SALU_CYCLE_1)
	s_and_not1_b32 vcc_lo, exec_lo, s7
	s_cbranch_vccnz .LBB15_980
; %bb.979:
	global_load_i16 v3, v[0:1], off
	s_waitcnt vmcnt(0)
	v_cvt_f64_i32_e32 v[6:7], v3
.LBB15_980:
	s_cbranch_execnz .LBB15_986
.LBB15_981:
	v_cmp_lt_i16_e32 vcc_lo, 0, v9
	s_mov_b32 s7, 0
	s_cbranch_vccz .LBB15_983
; %bb.982:
	global_load_i8 v3, v[0:1], off
	s_waitcnt vmcnt(0)
	v_cvt_f64_i32_e32 v[6:7], v3
	s_branch .LBB15_984
.LBB15_983:
	s_mov_b32 s7, -1
                                        ; implicit-def: $vgpr6_vgpr7
.LBB15_984:
	s_delay_alu instid0(SALU_CYCLE_1)
	s_and_not1_b32 vcc_lo, exec_lo, s7
	s_cbranch_vccnz .LBB15_986
; %bb.985:
	global_load_u8 v0, v[0:1], off
	s_waitcnt vmcnt(0)
	v_cvt_f64_u32_e32 v[6:7], v0
.LBB15_986:
	s_or_b32 s2, s2, exec_lo
.LBB15_987:
	s_or_b32 exec_lo, exec_lo, s3
	s_mov_b32 s8, 0
	s_mov_b32 s3, 0
                                        ; implicit-def: $vgpr8
                                        ; implicit-def: $vgpr4_vgpr5
                                        ; implicit-def: $vgpr0_vgpr1
	s_and_saveexec_b32 s7, s2
	s_cbranch_execz .LBB15_1074
; %bb.988:
	v_mov_b32_e32 v0, 0
	v_mov_b32_e32 v1, 0
	s_and_not1_b32 vcc_lo, exec_lo, s36
	s_cbranch_vccnz .LBB15_998
; %bb.989:
	v_cmp_lt_i64_e64 s2, s[20:21], 1
	v_mov_b32_e32 v0, 0
	v_mov_b32_e32 v1, 0x3ff00000
	s_delay_alu instid0(VALU_DEP_3)
	s_and_b32 vcc_lo, exec_lo, s2
	s_cbranch_vccnz .LBB15_998
; %bb.990:
	s_cmp_lg_u64 s[20:21], 1
	s_cbranch_scc0 .LBB15_995
; %bb.991:
	v_mov_b32_e32 v0, 0
	v_mov_b32_e32 v1, 0x7ff80000
	s_and_not1_b32 vcc_lo, exec_lo, s35
	s_cbranch_vccnz .LBB15_994
; %bb.992:
	s_waitcnt vmcnt(0)
	v_add_f64 v[3:4], v[6:7], v[6:7]
	v_mov_b32_e32 v8, 0
	v_mov_b32_e32 v9, 0x3ff00000
	s_mov_b64 s[2:3], 2
	s_delay_alu instid0(VALU_DEP_3)
	v_dual_mov_b32 v0, v3 :: v_dual_mov_b32 v1, v4
	.p2align	6
.LBB15_993:                             ; =>This Inner Loop Header: Depth=1
	v_cvt_f64_u32_e32 v[10:11], s3
	v_cvt_f64_u32_e32 v[12:13], s2
	s_add_u32 s2, s2, 2
	s_addc_u32 s3, s3, 0
	s_delay_alu instid0(SALU_CYCLE_1) | instskip(NEXT) | instid1(VALU_DEP_1)
	v_cmp_lt_u64_e64 s8, s[2:3], s[18:19]
	s_and_b32 vcc_lo, exec_lo, s8
	s_delay_alu instid0(VALU_DEP_3) | instskip(NEXT) | instid1(VALU_DEP_1)
	v_ldexp_f64 v[10:11], v[10:11], 32
	v_add_f64 v[10:11], v[10:11], v[12:13]
	s_delay_alu instid0(VALU_DEP_1) | instskip(SKIP_1) | instid1(VALU_DEP_1)
	v_mul_f64 v[8:9], v[8:9], v[10:11]
	v_dual_mov_b32 v11, v1 :: v_dual_mov_b32 v10, v0
	v_fma_f64 v[0:1], v[3:4], v[10:11], -v[8:9]
	v_dual_mov_b32 v8, v10 :: v_dual_mov_b32 v9, v11
	s_cbranch_vccnz .LBB15_993
.LBB15_994:
	s_mov_b32 s2, 0
	s_branch .LBB15_996
.LBB15_995:
	s_mov_b32 s2, -1
                                        ; implicit-def: $vgpr0_vgpr1
.LBB15_996:
	s_delay_alu instid0(SALU_CYCLE_1)
	s_and_not1_b32 vcc_lo, exec_lo, s2
	s_cbranch_vccnz .LBB15_998
; %bb.997:
	s_waitcnt vmcnt(0)
	v_add_f64 v[0:1], v[6:7], v[6:7]
.LBB15_998:
	v_and_b32_e64 v8, 0xff, s34
	s_waitcnt vmcnt(0)
	v_add_co_u32 v4, s2, s4, v2
	s_delay_alu instid0(VALU_DEP_1) | instskip(NEXT) | instid1(VALU_DEP_3)
	v_add_co_ci_u32_e64 v5, null, s5, 0, s2
	v_cmp_gt_i16_e32 vcc_lo, 11, v8
	s_mov_b32 s8, 0
	s_mov_b32 s3, -1
	s_mov_b32 s2, s41
	s_cbranch_vccnz .LBB15_1073
; %bb.999:
	v_cmp_lt_i16_e32 vcc_lo, 25, v8
	s_mov_b32 s2, s41
	s_cbranch_vccz .LBB15_1032
; %bb.1000:
	v_cmp_lt_i16_e32 vcc_lo, 28, v8
	s_mov_b32 s2, s41
	s_cbranch_vccz .LBB15_1016
	;; [unrolled: 4-line block ×4, first 2 shown]
; %bb.1003:
	v_cmp_eq_u16_e32 vcc_lo, 46, v8
	s_mov_b32 s2, -1
	s_cbranch_vccz .LBB15_1005
; %bb.1004:
	v_cvt_f32_f64_e32 v2, v[0:1]
	s_mov_b32 s2, 0
	s_delay_alu instid0(VALU_DEP_1) | instskip(SKIP_1) | instid1(VALU_DEP_2)
	v_bfe_u32 v3, v2, 16, 1
	v_cmp_o_f32_e32 vcc_lo, v2, v2
	v_add3_u32 v3, v2, v3, 0x7fff
	s_delay_alu instid0(VALU_DEP_1) | instskip(NEXT) | instid1(VALU_DEP_1)
	v_lshrrev_b32_e32 v3, 16, v3
	v_cndmask_b32_e32 v2, 0x7fc0, v3, vcc_lo
	global_store_b32 v[4:5], v2, off
.LBB15_1005:
	s_mov_b32 s3, 0
.LBB15_1006:
	s_delay_alu instid0(SALU_CYCLE_1)
	s_and_b32 vcc_lo, exec_lo, s3
	s_cbranch_vccz .LBB15_1011
; %bb.1007:
	v_cmp_eq_u16_e32 vcc_lo, 44, v8
	s_mov_b32 s2, -1
	s_cbranch_vccz .LBB15_1011
; %bb.1008:
	v_cvt_f32_f64_e32 v2, v[0:1]
	v_mov_b32_e32 v3, 0xff
	s_mov_b32 s3, exec_lo
	s_delay_alu instid0(VALU_DEP_2) | instskip(NEXT) | instid1(VALU_DEP_1)
	v_bfe_u32 v6, v2, 23, 8
	v_cmpx_ne_u32_e32 0xff, v6
; %bb.1009:
	v_and_b32_e32 v3, 0x400000, v2
	v_and_or_b32 v6, 0x3fffff, v2, v6
	v_lshrrev_b32_e32 v2, 23, v2
	s_delay_alu instid0(VALU_DEP_3) | instskip(NEXT) | instid1(VALU_DEP_3)
	v_cmp_ne_u32_e32 vcc_lo, 0, v3
	v_cmp_ne_u32_e64 s2, 0, v6
	s_delay_alu instid0(VALU_DEP_1) | instskip(NEXT) | instid1(SALU_CYCLE_1)
	s_and_b32 s2, vcc_lo, s2
	v_cndmask_b32_e64 v3, 0, 1, s2
	s_delay_alu instid0(VALU_DEP_1)
	v_add_nc_u32_e32 v3, v2, v3
; %bb.1010:
	s_or_b32 exec_lo, exec_lo, s3
	s_mov_b32 s2, 0
	global_store_b8 v[4:5], v3, off
.LBB15_1011:
	s_mov_b32 s3, 0
.LBB15_1012:
	s_delay_alu instid0(SALU_CYCLE_1)
	s_and_b32 vcc_lo, exec_lo, s3
	s_cbranch_vccz .LBB15_1015
; %bb.1013:
	v_cmp_eq_u16_e32 vcc_lo, 29, v8
	s_mov_b32 s2, -1
	s_cbranch_vccz .LBB15_1015
; %bb.1014:
	v_trunc_f64_e32 v[2:3], v[0:1]
	s_mov_b32 s2, 0
	s_delay_alu instid0(VALU_DEP_1) | instskip(NEXT) | instid1(VALU_DEP_1)
	v_ldexp_f64 v[6:7], v[2:3], 0xffffffe0
	v_floor_f64_e32 v[6:7], v[6:7]
	s_delay_alu instid0(VALU_DEP_1) | instskip(SKIP_1) | instid1(VALU_DEP_2)
	v_fma_f64 v[2:3], 0xc1f00000, v[6:7], v[2:3]
	v_cvt_u32_f64_e32 v7, v[6:7]
	v_cvt_u32_f64_e32 v6, v[2:3]
	global_store_b64 v[4:5], v[6:7], off
.LBB15_1015:
	s_mov_b32 s3, 0
.LBB15_1016:
	s_delay_alu instid0(SALU_CYCLE_1)
	s_and_b32 vcc_lo, exec_lo, s3
	s_cbranch_vccz .LBB15_1031
; %bb.1017:
	v_cmp_gt_i16_e32 vcc_lo, 27, v8
	s_mov_b32 s3, -1
	s_cbranch_vccnz .LBB15_1023
; %bb.1018:
	v_cvt_u32_f64_e32 v2, v[0:1]
	v_cmp_lt_i16_e32 vcc_lo, 27, v8
	s_cbranch_vccz .LBB15_1020
; %bb.1019:
	s_mov_b32 s3, 0
	global_store_b32 v[4:5], v2, off
.LBB15_1020:
	s_and_not1_b32 vcc_lo, exec_lo, s3
	s_cbranch_vccnz .LBB15_1022
; %bb.1021:
	global_store_b16 v[4:5], v2, off
.LBB15_1022:
	s_mov_b32 s3, 0
.LBB15_1023:
	s_delay_alu instid0(SALU_CYCLE_1)
	s_and_not1_b32 vcc_lo, exec_lo, s3
	s_cbranch_vccnz .LBB15_1031
; %bb.1024:
	v_cvt_f32_f64_e32 v2, v[0:1]
	v_mov_b32_e32 v6, 0x80
	s_mov_b32 s3, exec_lo
	s_delay_alu instid0(VALU_DEP_2) | instskip(NEXT) | instid1(VALU_DEP_1)
	v_and_b32_e32 v3, 0x7fffffff, v2
	v_cmpx_gt_u32_e32 0x43800000, v3
	s_cbranch_execz .LBB15_1030
; %bb.1025:
	v_cmp_lt_u32_e32 vcc_lo, 0x3bffffff, v3
	s_mov_b32 s4, 0
                                        ; implicit-def: $vgpr3
	s_and_saveexec_b32 s5, vcc_lo
	s_delay_alu instid0(SALU_CYCLE_1)
	s_xor_b32 s5, exec_lo, s5
	s_cbranch_execz .LBB15_1329
; %bb.1026:
	v_bfe_u32 v3, v2, 20, 1
	s_mov_b32 s4, exec_lo
	s_delay_alu instid0(VALU_DEP_1) | instskip(NEXT) | instid1(VALU_DEP_1)
	v_add3_u32 v3, v2, v3, 0x487ffff
	v_lshrrev_b32_e32 v3, 20, v3
	s_or_saveexec_b32 s5, s5
                                        ; implicit-def: $sgpr8
	s_delay_alu instid0(SALU_CYCLE_1)
	s_xor_b32 exec_lo, exec_lo, s5
	s_cbranch_execnz .LBB15_1330
.LBB15_1027:
	s_or_b32 exec_lo, exec_lo, s5
	v_mov_b32_e32 v6, s8
	s_and_saveexec_b32 s5, s4
.LBB15_1028:
	v_lshrrev_b32_e32 v2, 24, v2
	s_delay_alu instid0(VALU_DEP_1)
	v_and_or_b32 v6, 0x80, v2, v3
.LBB15_1029:
	s_or_b32 exec_lo, exec_lo, s5
.LBB15_1030:
	s_delay_alu instid0(SALU_CYCLE_1)
	s_or_b32 exec_lo, exec_lo, s3
	global_store_b8 v[4:5], v6, off
.LBB15_1031:
	s_mov_b32 s3, 0
.LBB15_1032:
	s_delay_alu instid0(SALU_CYCLE_1)
	s_and_b32 vcc_lo, exec_lo, s3
	s_mov_b32 s3, 0
	s_cbranch_vccz .LBB15_1072
; %bb.1033:
	v_cmp_lt_i16_e32 vcc_lo, 22, v8
	s_mov_b32 s4, -1
	s_cbranch_vccz .LBB15_1065
; %bb.1034:
	v_cmp_gt_i16_e32 vcc_lo, 24, v8
	s_cbranch_vccnz .LBB15_1054
; %bb.1035:
	v_cmp_lt_i16_e32 vcc_lo, 24, v8
	s_cbranch_vccz .LBB15_1043
; %bb.1036:
	v_cvt_f32_f64_e32 v2, v[0:1]
	v_mov_b32_e32 v6, 0x80
	s_mov_b32 s4, exec_lo
	s_delay_alu instid0(VALU_DEP_2) | instskip(NEXT) | instid1(VALU_DEP_1)
	v_and_b32_e32 v3, 0x7fffffff, v2
	v_cmpx_gt_u32_e32 0x47800000, v3
	s_cbranch_execz .LBB15_1042
; %bb.1037:
	v_cmp_lt_u32_e32 vcc_lo, 0x37ffffff, v3
	s_mov_b32 s5, 0
                                        ; implicit-def: $vgpr3
	s_and_saveexec_b32 s8, vcc_lo
	s_delay_alu instid0(SALU_CYCLE_1)
	s_xor_b32 s8, exec_lo, s8
	s_cbranch_execz .LBB15_1373
; %bb.1038:
	v_bfe_u32 v3, v2, 21, 1
	s_mov_b32 s5, exec_lo
	s_delay_alu instid0(VALU_DEP_1) | instskip(NEXT) | instid1(VALU_DEP_1)
	v_add3_u32 v3, v2, v3, 0x88fffff
	v_lshrrev_b32_e32 v3, 21, v3
	s_or_saveexec_b32 s8, s8
                                        ; implicit-def: $sgpr9
	s_delay_alu instid0(SALU_CYCLE_1)
	s_xor_b32 exec_lo, exec_lo, s8
	s_cbranch_execnz .LBB15_1374
.LBB15_1039:
	s_or_b32 exec_lo, exec_lo, s8
	v_mov_b32_e32 v6, s9
	s_and_saveexec_b32 s8, s5
.LBB15_1040:
	v_lshrrev_b32_e32 v2, 24, v2
	s_delay_alu instid0(VALU_DEP_1)
	v_and_or_b32 v6, 0x80, v2, v3
.LBB15_1041:
	s_or_b32 exec_lo, exec_lo, s8
.LBB15_1042:
	s_delay_alu instid0(SALU_CYCLE_1)
	s_or_b32 exec_lo, exec_lo, s4
	s_mov_b32 s4, 0
	global_store_b8 v[4:5], v6, off
.LBB15_1043:
	s_and_b32 vcc_lo, exec_lo, s4
	s_cbranch_vccz .LBB15_1053
; %bb.1044:
	v_cvt_f32_f64_e32 v2, v[0:1]
	s_mov_b32 s4, exec_lo
                                        ; implicit-def: $vgpr3
	s_delay_alu instid0(VALU_DEP_1) | instskip(NEXT) | instid1(VALU_DEP_1)
	v_and_b32_e32 v6, 0x7fffffff, v2
	v_cmpx_gt_u32_e32 0x43f00000, v6
	s_xor_b32 s4, exec_lo, s4
	s_cbranch_execz .LBB15_1050
; %bb.1045:
	s_mov_b32 s5, exec_lo
                                        ; implicit-def: $vgpr3
	v_cmpx_lt_u32_e32 0x3c7fffff, v6
	s_xor_b32 s5, exec_lo, s5
; %bb.1046:
	v_bfe_u32 v3, v2, 20, 1
	s_delay_alu instid0(VALU_DEP_1) | instskip(NEXT) | instid1(VALU_DEP_1)
	v_add3_u32 v3, v2, v3, 0x407ffff
	v_and_b32_e32 v6, 0xff00000, v3
	v_lshrrev_b32_e32 v3, 20, v3
	s_delay_alu instid0(VALU_DEP_2) | instskip(NEXT) | instid1(VALU_DEP_2)
	v_cmp_ne_u32_e32 vcc_lo, 0x7f00000, v6
	v_cndmask_b32_e32 v3, 0x7e, v3, vcc_lo
; %bb.1047:
	s_and_not1_saveexec_b32 s5, s5
; %bb.1048:
	v_add_f32_e64 v3, 0x46800000, |v2|
; %bb.1049:
	s_or_b32 exec_lo, exec_lo, s5
                                        ; implicit-def: $vgpr6
.LBB15_1050:
	s_and_not1_saveexec_b32 s4, s4
; %bb.1051:
	v_mov_b32_e32 v3, 0x7f
	v_cmp_lt_u32_e32 vcc_lo, 0x7f800000, v6
	s_delay_alu instid0(VALU_DEP_2)
	v_cndmask_b32_e32 v3, 0x7e, v3, vcc_lo
; %bb.1052:
	s_or_b32 exec_lo, exec_lo, s4
	v_lshrrev_b32_e32 v2, 24, v2
	s_delay_alu instid0(VALU_DEP_1)
	v_and_or_b32 v2, 0x80, v2, v3
	global_store_b8 v[4:5], v2, off
.LBB15_1053:
	s_mov_b32 s4, 0
.LBB15_1054:
	s_delay_alu instid0(SALU_CYCLE_1)
	s_and_not1_b32 vcc_lo, exec_lo, s4
	s_cbranch_vccnz .LBB15_1064
; %bb.1055:
	v_cvt_f32_f64_e32 v2, v[0:1]
	s_mov_b32 s4, exec_lo
                                        ; implicit-def: $vgpr3
	s_delay_alu instid0(VALU_DEP_1) | instskip(NEXT) | instid1(VALU_DEP_1)
	v_and_b32_e32 v6, 0x7fffffff, v2
	v_cmpx_gt_u32_e32 0x47800000, v6
	s_xor_b32 s4, exec_lo, s4
	s_cbranch_execz .LBB15_1061
; %bb.1056:
	s_mov_b32 s5, exec_lo
                                        ; implicit-def: $vgpr3
	v_cmpx_lt_u32_e32 0x387fffff, v6
	s_xor_b32 s5, exec_lo, s5
; %bb.1057:
	v_bfe_u32 v3, v2, 21, 1
	s_delay_alu instid0(VALU_DEP_1) | instskip(NEXT) | instid1(VALU_DEP_1)
	v_add3_u32 v3, v2, v3, 0x80fffff
	v_lshrrev_b32_e32 v3, 21, v3
; %bb.1058:
	s_and_not1_saveexec_b32 s5, s5
; %bb.1059:
	v_add_f32_e64 v3, 0x43000000, |v2|
; %bb.1060:
	s_or_b32 exec_lo, exec_lo, s5
                                        ; implicit-def: $vgpr6
.LBB15_1061:
	s_and_not1_saveexec_b32 s4, s4
; %bb.1062:
	v_mov_b32_e32 v3, 0x7f
	v_cmp_lt_u32_e32 vcc_lo, 0x7f800000, v6
	s_delay_alu instid0(VALU_DEP_2)
	v_cndmask_b32_e32 v3, 0x7c, v3, vcc_lo
; %bb.1063:
	s_or_b32 exec_lo, exec_lo, s4
	v_lshrrev_b32_e32 v2, 24, v2
	s_delay_alu instid0(VALU_DEP_1)
	v_and_or_b32 v2, 0x80, v2, v3
	global_store_b8 v[4:5], v2, off
.LBB15_1064:
	s_mov_b32 s4, 0
.LBB15_1065:
	s_delay_alu instid0(SALU_CYCLE_1)
	s_and_not1_b32 vcc_lo, exec_lo, s4
	s_mov_b32 s8, 0
	s_cbranch_vccnz .LBB15_1073
; %bb.1066:
	v_cmp_lt_i16_e32 vcc_lo, 14, v8
	s_mov_b32 s4, -1
	s_cbranch_vccz .LBB15_1070
; %bb.1067:
	v_cmp_eq_u16_e32 vcc_lo, 15, v8
	s_mov_b32 s2, -1
	s_cbranch_vccz .LBB15_1069
; %bb.1068:
	v_cvt_f32_f64_e32 v2, v[0:1]
	s_mov_b32 s2, 0
	s_delay_alu instid0(VALU_DEP_1) | instskip(SKIP_1) | instid1(VALU_DEP_2)
	v_bfe_u32 v3, v2, 16, 1
	v_cmp_o_f32_e32 vcc_lo, v2, v2
	v_add3_u32 v3, v2, v3, 0x7fff
	s_delay_alu instid0(VALU_DEP_1) | instskip(NEXT) | instid1(VALU_DEP_1)
	v_lshrrev_b32_e32 v3, 16, v3
	v_cndmask_b32_e32 v2, 0x7fc0, v3, vcc_lo
	global_store_b16 v[4:5], v2, off
.LBB15_1069:
	s_mov_b32 s4, 0
.LBB15_1070:
	s_delay_alu instid0(SALU_CYCLE_1)
	s_and_b32 vcc_lo, exec_lo, s4
	s_cbranch_vccz .LBB15_1073
; %bb.1071:
	v_cmp_ne_u16_e32 vcc_lo, 11, v8
	s_and_not1_b32 s2, s2, exec_lo
	s_mov_b32 s8, -1
	s_and_b32 s4, vcc_lo, exec_lo
	s_delay_alu instid0(SALU_CYCLE_1)
	s_or_b32 s2, s2, s4
	s_branch .LBB15_1073
.LBB15_1072:
	s_mov_b32 s8, 0
.LBB15_1073:
	s_and_not1_b32 s4, s41, exec_lo
	s_and_b32 s2, s2, exec_lo
	s_and_b32 s3, s3, exec_lo
	;; [unrolled: 1-line block ×3, first 2 shown]
	s_or_b32 s41, s4, s2
.LBB15_1074:
	s_or_b32 exec_lo, exec_lo, s7
	s_and_saveexec_b32 s2, s41
	s_cbranch_execnz .LBB15_1188
; %bb.1075:
	s_or_b32 exec_lo, exec_lo, s2
	s_and_saveexec_b32 s2, s8
	s_delay_alu instid0(SALU_CYCLE_1)
	s_xor_b32 s2, exec_lo, s2
	s_cbranch_execz .LBB15_1077
.LBB15_1076:
	v_cmp_neq_f64_e32 vcc_lo, 0, v[0:1]
	v_cndmask_b32_e64 v2, 0, 1, vcc_lo
	s_waitcnt vmcnt(0)
	global_store_b8 v[4:5], v2, off
.LBB15_1077:
	s_or_b32 exec_lo, exec_lo, s2
	s_and_saveexec_b32 s2, s3
	s_delay_alu instid0(SALU_CYCLE_1)
	s_xor_b32 s2, exec_lo, s2
	s_cbranch_execz .LBB15_1115
; %bb.1078:
	v_cmp_gt_i16_e32 vcc_lo, 5, v8
	s_mov_b32 s3, -1
	s_cbranch_vccnz .LBB15_1099
; %bb.1079:
	v_cmp_gt_i16_e32 vcc_lo, 8, v8
	s_cbranch_vccnz .LBB15_1089
; %bb.1080:
	v_cmp_gt_i16_e32 vcc_lo, 9, v8
	s_cbranch_vccnz .LBB15_1086
; %bb.1081:
	v_cmp_lt_i16_e32 vcc_lo, 9, v8
	s_cbranch_vccz .LBB15_1083
; %bb.1082:
	v_mov_b32_e32 v2, 0
	s_mov_b32 s3, 0
	s_waitcnt vmcnt(0)
	s_delay_alu instid0(VALU_DEP_1)
	v_mov_b32_e32 v3, v2
	global_store_b128 v[4:5], v[0:3], off
.LBB15_1083:
	s_and_not1_b32 vcc_lo, exec_lo, s3
	s_cbranch_vccnz .LBB15_1085
; %bb.1084:
	v_cvt_f32_f64_e32 v2, v[0:1]
	s_waitcnt vmcnt(0)
	v_mov_b32_e32 v3, 0
	global_store_b64 v[4:5], v[2:3], off
.LBB15_1085:
	s_mov_b32 s3, 0
.LBB15_1086:
	s_delay_alu instid0(SALU_CYCLE_1)
	s_and_not1_b32 vcc_lo, exec_lo, s3
	s_cbranch_vccnz .LBB15_1088
; %bb.1087:
	v_cvt_f32_f64_e32 v2, v[0:1]
	s_delay_alu instid0(VALU_DEP_1) | instskip(NEXT) | instid1(VALU_DEP_1)
	v_cvt_f16_f32_e32 v2, v2
	v_and_b32_e32 v2, 0xffff, v2
	s_waitcnt vmcnt(0)
	global_store_b32 v[4:5], v2, off
.LBB15_1088:
	s_mov_b32 s3, 0
.LBB15_1089:
	s_delay_alu instid0(SALU_CYCLE_1)
	s_and_not1_b32 vcc_lo, exec_lo, s3
	s_cbranch_vccnz .LBB15_1098
; %bb.1090:
	v_cmp_gt_i16_e32 vcc_lo, 6, v8
	s_mov_b32 s3, -1
	s_cbranch_vccnz .LBB15_1096
; %bb.1091:
	v_cmp_lt_i16_e32 vcc_lo, 6, v8
	s_cbranch_vccz .LBB15_1093
; %bb.1092:
	s_mov_b32 s3, 0
	s_waitcnt vmcnt(0)
	global_store_b64 v[4:5], v[0:1], off
.LBB15_1093:
	s_and_not1_b32 vcc_lo, exec_lo, s3
	s_cbranch_vccnz .LBB15_1095
; %bb.1094:
	v_cvt_f32_f64_e32 v2, v[0:1]
	s_waitcnt vmcnt(0)
	global_store_b32 v[4:5], v2, off
.LBB15_1095:
	s_mov_b32 s3, 0
.LBB15_1096:
	s_delay_alu instid0(SALU_CYCLE_1)
	s_and_not1_b32 vcc_lo, exec_lo, s3
	s_cbranch_vccnz .LBB15_1098
; %bb.1097:
	v_cvt_f32_f64_e32 v2, v[0:1]
	s_delay_alu instid0(VALU_DEP_1)
	v_cvt_f16_f32_e32 v2, v2
	s_waitcnt vmcnt(0)
	global_store_b16 v[4:5], v2, off
.LBB15_1098:
	s_mov_b32 s3, 0
.LBB15_1099:
	s_delay_alu instid0(SALU_CYCLE_1)
	s_and_not1_b32 vcc_lo, exec_lo, s3
	s_cbranch_vccnz .LBB15_1115
; %bb.1100:
	v_cmp_gt_i16_e32 vcc_lo, 2, v8
	s_mov_b32 s3, -1
	s_cbranch_vccnz .LBB15_1110
; %bb.1101:
	v_cmp_gt_i16_e32 vcc_lo, 3, v8
	s_cbranch_vccnz .LBB15_1107
; %bb.1102:
	v_cmp_lt_i16_e32 vcc_lo, 3, v8
	s_cbranch_vccz .LBB15_1104
; %bb.1103:
	s_waitcnt vmcnt(0)
	v_trunc_f64_e32 v[2:3], v[0:1]
	s_mov_b32 s3, 0
	s_delay_alu instid0(VALU_DEP_1) | instskip(NEXT) | instid1(VALU_DEP_1)
	v_ldexp_f64 v[6:7], v[2:3], 0xffffffe0
	v_floor_f64_e32 v[6:7], v[6:7]
	s_delay_alu instid0(VALU_DEP_1) | instskip(SKIP_1) | instid1(VALU_DEP_2)
	v_fma_f64 v[2:3], 0xc1f00000, v[6:7], v[2:3]
	v_cvt_i32_f64_e32 v7, v[6:7]
	v_cvt_u32_f64_e32 v6, v[2:3]
	global_store_b64 v[4:5], v[6:7], off
.LBB15_1104:
	s_and_not1_b32 vcc_lo, exec_lo, s3
	s_cbranch_vccnz .LBB15_1106
; %bb.1105:
	v_cvt_i32_f64_e32 v2, v[0:1]
	s_waitcnt vmcnt(0)
	global_store_b32 v[4:5], v2, off
.LBB15_1106:
	s_mov_b32 s3, 0
.LBB15_1107:
	s_delay_alu instid0(SALU_CYCLE_1)
	s_and_not1_b32 vcc_lo, exec_lo, s3
	s_cbranch_vccnz .LBB15_1109
; %bb.1108:
	v_cvt_i32_f64_e32 v2, v[0:1]
	s_waitcnt vmcnt(0)
	global_store_b16 v[4:5], v2, off
.LBB15_1109:
	s_mov_b32 s3, 0
.LBB15_1110:
	s_delay_alu instid0(SALU_CYCLE_1)
	s_and_not1_b32 vcc_lo, exec_lo, s3
	s_cbranch_vccnz .LBB15_1115
; %bb.1111:
	v_cmp_lt_i16_e32 vcc_lo, 0, v8
	s_mov_b32 s3, -1
	s_cbranch_vccz .LBB15_1113
; %bb.1112:
	v_cvt_i32_f64_e32 v2, v[0:1]
	s_mov_b32 s3, 0
	s_waitcnt vmcnt(0)
	global_store_b8 v[4:5], v2, off
.LBB15_1113:
	s_and_not1_b32 vcc_lo, exec_lo, s3
	s_cbranch_vccnz .LBB15_1115
; %bb.1114:
	v_trunc_f64_e32 v[0:1], v[0:1]
	s_waitcnt vmcnt(0)
	s_delay_alu instid0(VALU_DEP_1) | instskip(NEXT) | instid1(VALU_DEP_1)
	v_ldexp_f64 v[2:3], v[0:1], 0xffffffe0
	v_floor_f64_e32 v[2:3], v[2:3]
	s_delay_alu instid0(VALU_DEP_1) | instskip(NEXT) | instid1(VALU_DEP_1)
	v_fma_f64 v[0:1], 0xc1f00000, v[2:3], v[0:1]
	v_cvt_u32_f64_e32 v0, v[0:1]
	global_store_b8 v[4:5], v0, off
.LBB15_1115:
	s_or_b32 exec_lo, exec_lo, s2
	s_delay_alu instid0(SALU_CYCLE_1)
	s_and_b32 s10, s6, exec_lo
                                        ; implicit-def: $vgpr5
                                        ; implicit-def: $vgpr10
.LBB15_1116:
	s_or_saveexec_b32 s11, s33
	s_mov_b32 s3, 0
                                        ; implicit-def: $vgpr0_vgpr1
                                        ; implicit-def: $sgpr2
                                        ; implicit-def: $vgpr8_vgpr9
	s_xor_b32 exec_lo, exec_lo, s11
	s_cbranch_execz .LBB15_1739
; %bb.1117:
	v_cndmask_b32_e64 v1, 0, 1, s31
	s_and_not1_b32 vcc_lo, exec_lo, s31
	s_cbranch_vccnz .LBB15_1123
; %bb.1118:
	v_mov_b32_e32 v2, 0
	v_mov_b32_e32 v0, 0
	s_cmp_lg_u32 s28, 0
	s_mov_b32 s6, 0
	s_cbranch_scc0 .LBB15_1127
; %bb.1119:
	s_min_u32 s7, s29, 15
	v_mov_b32_e32 v2, 0
	s_add_i32 s7, s7, 1
	s_cmp_eq_u32 s29, 2
	s_mov_b32 s8, 0
	s_cbranch_scc1 .LBB15_1124
; %bb.1120:
	s_waitcnt vmcnt(0)
	v_dual_mov_b32 v0, 0 :: v_dual_mov_b32 v3, v10
	v_mov_b32_e32 v2, 0
	s_add_u32 s2, s16, 0xc4
	s_addc_u32 s3, s17, 0
	s_and_b32 s8, s7, 28
	s_mov_b32 s9, 0
	s_mov_b64 s[4:5], s[16:17]
.LBB15_1121:                            ; =>This Inner Loop Header: Depth=1
	s_clause 0x1
	s_load_b256 s[20:27], s[4:5], 0x4
	s_load_b128 s[12:15], s[4:5], 0x24
	s_load_b256 s[36:43], s[2:3], 0x0
	s_add_u32 s4, s4, 48
	s_addc_u32 s5, s5, 0
	s_add_i32 s9, s9, 4
	s_add_u32 s2, s2, 32
	s_addc_u32 s3, s3, 0
	s_cmp_lg_u32 s8, s9
	s_waitcnt lgkmcnt(0)
	v_mul_hi_u32 v4, s21, v3
	s_delay_alu instid0(VALU_DEP_1) | instskip(NEXT) | instid1(VALU_DEP_1)
	v_add_nc_u32_e32 v4, v3, v4
	v_lshrrev_b32_e32 v4, s22, v4
	s_delay_alu instid0(VALU_DEP_1) | instskip(SKIP_1) | instid1(VALU_DEP_2)
	v_mul_hi_u32 v6, s24, v4
	v_mul_lo_u32 v8, v4, s20
	v_add_nc_u32_e32 v6, v4, v6
	s_delay_alu instid0(VALU_DEP_2) | instskip(NEXT) | instid1(VALU_DEP_2)
	v_sub_nc_u32_e32 v3, v3, v8
	v_lshrrev_b32_e32 v6, s25, v6
	s_delay_alu instid0(VALU_DEP_2) | instskip(SKIP_1) | instid1(VALU_DEP_3)
	v_mul_lo_u32 v8, v3, s36
	v_mul_lo_u32 v11, v3, s37
	v_mul_hi_u32 v7, s27, v6
	s_delay_alu instid0(VALU_DEP_1) | instskip(NEXT) | instid1(VALU_DEP_1)
	v_add_nc_u32_e32 v7, v6, v7
	v_lshrrev_b32_e32 v7, s12, v7
	s_delay_alu instid0(VALU_DEP_1) | instskip(SKIP_1) | instid1(VALU_DEP_2)
	v_mul_hi_u32 v9, s14, v7
	v_mul_lo_u32 v12, v7, s26
	v_add_nc_u32_e32 v3, v7, v9
	v_mul_lo_u32 v9, v6, s23
	s_delay_alu instid0(VALU_DEP_3) | instskip(NEXT) | instid1(VALU_DEP_3)
	v_sub_nc_u32_e32 v6, v6, v12
	v_lshrrev_b32_e32 v3, s15, v3
	s_delay_alu instid0(VALU_DEP_2) | instskip(SKIP_2) | instid1(VALU_DEP_4)
	v_mul_lo_u32 v12, v6, s40
	v_mul_lo_u32 v6, v6, s41
	v_sub_nc_u32_e32 v4, v4, v9
	v_mul_lo_u32 v13, v3, s13
	s_delay_alu instid0(VALU_DEP_2) | instskip(SKIP_1) | instid1(VALU_DEP_3)
	v_mul_lo_u32 v9, v4, s38
	v_mul_lo_u32 v4, v4, s39
	v_sub_nc_u32_e32 v7, v7, v13
	s_delay_alu instid0(VALU_DEP_3) | instskip(NEXT) | instid1(VALU_DEP_2)
	v_add3_u32 v2, v8, v2, v9
	v_mul_lo_u32 v13, v7, s42
	v_mul_lo_u32 v7, v7, s43
	v_add3_u32 v0, v11, v0, v4
	s_delay_alu instid0(VALU_DEP_3) | instskip(NEXT) | instid1(VALU_DEP_2)
	v_add3_u32 v2, v12, v2, v13
	v_add3_u32 v0, v6, v0, v7
	s_cbranch_scc1 .LBB15_1121
; %bb.1122:
	s_and_b32 s7, s7, 3
	s_delay_alu instid0(SALU_CYCLE_1)
	s_cmp_eq_u32 s7, 0
	s_cbranch_scc0 .LBB15_1125
	s_branch .LBB15_1127
.LBB15_1123:
	s_mov_b32 s6, -1
                                        ; implicit-def: $vgpr2
                                        ; implicit-def: $vgpr0
	s_branch .LBB15_1127
.LBB15_1124:
	s_waitcnt vmcnt(0)
	v_dual_mov_b32 v3, v10 :: v_dual_mov_b32 v0, 0
	s_and_b32 s7, s7, 3
	s_delay_alu instid0(SALU_CYCLE_1)
	s_cmp_eq_u32 s7, 0
	s_cbranch_scc1 .LBB15_1127
.LBB15_1125:
	s_lshl_b32 s2, s8, 3
	s_mul_i32 s4, s8, 12
	s_add_u32 s2, s2, s16
	s_addc_u32 s3, 0, s17
	s_add_u32 s2, s2, 0xc4
	s_addc_u32 s3, s3, 0
	;; [unrolled: 2-line block ×3, first 2 shown]
	.p2align	6
.LBB15_1126:                            ; =>This Inner Loop Header: Depth=1
	s_clause 0x1
	s_load_b64 s[8:9], s[4:5], 0x4
	s_load_b32 s14, s[4:5], 0xc
	s_load_b64 s[12:13], s[2:3], 0x0
	s_add_u32 s4, s4, 12
	s_addc_u32 s5, s5, 0
	s_add_u32 s2, s2, 8
	s_addc_u32 s3, s3, 0
	s_add_i32 s7, s7, -1
	s_delay_alu instid0(SALU_CYCLE_1) | instskip(SKIP_2) | instid1(VALU_DEP_1)
	s_cmp_lg_u32 s7, 0
	s_waitcnt lgkmcnt(0)
	v_mul_hi_u32 v4, s9, v3
	v_add_nc_u32_e32 v4, v3, v4
	s_delay_alu instid0(VALU_DEP_1) | instskip(NEXT) | instid1(VALU_DEP_1)
	v_lshrrev_b32_e32 v4, s14, v4
	v_mul_lo_u32 v6, v4, s8
	s_delay_alu instid0(VALU_DEP_1) | instskip(NEXT) | instid1(VALU_DEP_1)
	v_sub_nc_u32_e32 v3, v3, v6
	v_mad_u64_u32 v[6:7], null, v3, s12, v[2:3]
	v_mad_u64_u32 v[7:8], null, v3, s13, v[0:1]
	s_delay_alu instid0(VALU_DEP_2) | instskip(NEXT) | instid1(VALU_DEP_2)
	v_dual_mov_b32 v3, v4 :: v_dual_mov_b32 v2, v6
	v_mov_b32_e32 v0, v7
	s_cbranch_scc1 .LBB15_1126
.LBB15_1127:
	s_and_not1_b32 vcc_lo, exec_lo, s6
	s_cbranch_vccnz .LBB15_1130
; %bb.1128:
	s_clause 0x1
	s_load_b128 s[4:7], s[16:17], 0x4
	s_load_b64 s[2:3], s[16:17], 0xc4
	s_cmp_lt_u32 s28, 2
	s_waitcnt lgkmcnt(0)
	v_mul_hi_u32 v0, s5, v10
	s_delay_alu instid0(VALU_DEP_1) | instskip(SKIP_1) | instid1(VALU_DEP_1)
	v_add_nc_u32_e32 v0, v10, v0
	s_waitcnt vmcnt(0)
	v_lshrrev_b32_e32 v3, s6, v0
	s_delay_alu instid0(VALU_DEP_1) | instskip(NEXT) | instid1(VALU_DEP_1)
	v_mul_lo_u32 v0, v3, s4
	v_sub_nc_u32_e32 v0, v10, v0
	s_delay_alu instid0(VALU_DEP_1)
	v_mul_lo_u32 v2, v0, s2
	v_mul_lo_u32 v0, v0, s3
	s_cbranch_scc1 .LBB15_1130
; %bb.1129:
	s_clause 0x1
	s_load_b128 s[4:7], s[16:17], 0x10
	s_load_b64 s[2:3], s[16:17], 0xcc
	s_waitcnt lgkmcnt(0)
	v_mul_hi_u32 v4, s5, v3
	s_delay_alu instid0(VALU_DEP_1) | instskip(NEXT) | instid1(VALU_DEP_1)
	v_add_nc_u32_e32 v4, v3, v4
	v_lshrrev_b32_e32 v4, s6, v4
	s_delay_alu instid0(VALU_DEP_1) | instskip(NEXT) | instid1(VALU_DEP_1)
	v_mul_lo_u32 v4, v4, s4
	v_sub_nc_u32_e32 v8, v3, v4
	s_delay_alu instid0(VALU_DEP_1) | instskip(SKIP_1) | instid1(VALU_DEP_2)
	v_mad_u64_u32 v[3:4], null, v8, s2, v[2:3]
	v_mad_u64_u32 v[6:7], null, v8, s3, v[0:1]
	v_mov_b32_e32 v2, v3
	s_delay_alu instid0(VALU_DEP_2)
	v_mov_b32_e32 v0, v6
.LBB15_1130:
	v_cmp_ne_u32_e32 vcc_lo, 1, v1
	s_waitcnt vmcnt(0)
	v_add_nc_u32_e32 v3, 0x80, v10
	s_cbranch_vccnz .LBB15_1136
; %bb.1131:
	v_mov_b32_e32 v6, 0
	v_mov_b32_e32 v4, 0
	s_cmp_lg_u32 s28, 0
	s_mov_b32 s6, 0
	s_cbranch_scc0 .LBB15_1140
; %bb.1132:
	s_min_u32 s7, s29, 15
	v_mov_b32_e32 v6, 0
	s_add_i32 s7, s7, 1
	s_cmp_eq_u32 s29, 2
	s_mov_b32 s8, 0
	s_cbranch_scc1 .LBB15_1137
; %bb.1133:
	v_dual_mov_b32 v4, 0 :: v_dual_mov_b32 v7, v3
	v_mov_b32_e32 v6, 0
	s_add_u32 s2, s16, 0xc4
	s_addc_u32 s3, s17, 0
	s_and_b32 s8, s7, 28
	s_mov_b32 s9, 0
	s_mov_b64 s[4:5], s[16:17]
.LBB15_1134:                            ; =>This Inner Loop Header: Depth=1
	s_clause 0x1
	s_load_b256 s[20:27], s[4:5], 0x4
	s_load_b128 s[12:15], s[4:5], 0x24
	s_load_b256 s[36:43], s[2:3], 0x0
	s_add_u32 s4, s4, 48
	s_addc_u32 s5, s5, 0
	s_add_i32 s9, s9, 4
	s_add_u32 s2, s2, 32
	s_addc_u32 s3, s3, 0
	s_cmp_lg_u32 s8, s9
	s_waitcnt lgkmcnt(0)
	v_mul_hi_u32 v8, s21, v7
	s_delay_alu instid0(VALU_DEP_1) | instskip(NEXT) | instid1(VALU_DEP_1)
	v_add_nc_u32_e32 v8, v7, v8
	v_lshrrev_b32_e32 v8, s22, v8
	s_delay_alu instid0(VALU_DEP_1) | instskip(SKIP_1) | instid1(VALU_DEP_2)
	v_mul_hi_u32 v9, s24, v8
	v_mul_lo_u32 v12, v8, s20
	v_add_nc_u32_e32 v9, v8, v9
	s_delay_alu instid0(VALU_DEP_2) | instskip(NEXT) | instid1(VALU_DEP_2)
	v_sub_nc_u32_e32 v7, v7, v12
	v_lshrrev_b32_e32 v9, s25, v9
	s_delay_alu instid0(VALU_DEP_2) | instskip(SKIP_1) | instid1(VALU_DEP_3)
	v_mul_lo_u32 v12, v7, s36
	v_mul_lo_u32 v14, v7, s37
	v_mul_hi_u32 v11, s27, v9
	s_delay_alu instid0(VALU_DEP_1) | instskip(NEXT) | instid1(VALU_DEP_1)
	v_add_nc_u32_e32 v11, v9, v11
	v_lshrrev_b32_e32 v11, s12, v11
	s_delay_alu instid0(VALU_DEP_1) | instskip(SKIP_1) | instid1(VALU_DEP_2)
	v_mul_hi_u32 v13, s14, v11
	v_mul_lo_u32 v15, v11, s26
	v_add_nc_u32_e32 v7, v11, v13
	v_mul_lo_u32 v13, v9, s23
	s_delay_alu instid0(VALU_DEP_3) | instskip(NEXT) | instid1(VALU_DEP_3)
	v_sub_nc_u32_e32 v9, v9, v15
	v_lshrrev_b32_e32 v7, s15, v7
	s_delay_alu instid0(VALU_DEP_2) | instskip(SKIP_2) | instid1(VALU_DEP_4)
	v_mul_lo_u32 v15, v9, s40
	v_mul_lo_u32 v9, v9, s41
	v_sub_nc_u32_e32 v8, v8, v13
	v_mul_lo_u32 v16, v7, s13
	s_delay_alu instid0(VALU_DEP_2) | instskip(SKIP_1) | instid1(VALU_DEP_3)
	v_mul_lo_u32 v13, v8, s38
	v_mul_lo_u32 v8, v8, s39
	v_sub_nc_u32_e32 v11, v11, v16
	s_delay_alu instid0(VALU_DEP_3) | instskip(NEXT) | instid1(VALU_DEP_2)
	v_add3_u32 v6, v12, v6, v13
	v_mul_lo_u32 v16, v11, s42
	v_mul_lo_u32 v11, v11, s43
	v_add3_u32 v4, v14, v4, v8
	s_delay_alu instid0(VALU_DEP_3) | instskip(NEXT) | instid1(VALU_DEP_2)
	v_add3_u32 v6, v15, v6, v16
	v_add3_u32 v4, v9, v4, v11
	s_cbranch_scc1 .LBB15_1134
; %bb.1135:
	s_and_b32 s7, s7, 3
	s_delay_alu instid0(SALU_CYCLE_1)
	s_cmp_eq_u32 s7, 0
	s_cbranch_scc0 .LBB15_1138
	s_branch .LBB15_1140
.LBB15_1136:
	s_mov_b32 s6, -1
                                        ; implicit-def: $vgpr6
                                        ; implicit-def: $vgpr4
	s_branch .LBB15_1140
.LBB15_1137:
	v_dual_mov_b32 v7, v3 :: v_dual_mov_b32 v4, 0
	s_and_b32 s7, s7, 3
	s_delay_alu instid0(SALU_CYCLE_1)
	s_cmp_eq_u32 s7, 0
	s_cbranch_scc1 .LBB15_1140
.LBB15_1138:
	s_lshl_b32 s2, s8, 3
	s_mul_i32 s4, s8, 12
	s_add_u32 s2, s2, s16
	s_addc_u32 s3, 0, s17
	s_add_u32 s2, s2, 0xc4
	s_addc_u32 s3, s3, 0
	;; [unrolled: 2-line block ×3, first 2 shown]
	.p2align	6
.LBB15_1139:                            ; =>This Inner Loop Header: Depth=1
	s_clause 0x1
	s_load_b64 s[8:9], s[4:5], 0x4
	s_load_b32 s14, s[4:5], 0xc
	s_load_b64 s[12:13], s[2:3], 0x0
	s_add_u32 s4, s4, 12
	s_addc_u32 s5, s5, 0
	s_add_u32 s2, s2, 8
	s_addc_u32 s3, s3, 0
	s_add_i32 s7, s7, -1
	s_delay_alu instid0(SALU_CYCLE_1) | instskip(SKIP_2) | instid1(VALU_DEP_1)
	s_cmp_lg_u32 s7, 0
	s_waitcnt lgkmcnt(0)
	v_mul_hi_u32 v8, s9, v7
	v_add_nc_u32_e32 v8, v7, v8
	s_delay_alu instid0(VALU_DEP_1) | instskip(NEXT) | instid1(VALU_DEP_1)
	v_lshrrev_b32_e32 v13, s14, v8
	v_mul_lo_u32 v8, v13, s8
	s_delay_alu instid0(VALU_DEP_1) | instskip(NEXT) | instid1(VALU_DEP_1)
	v_sub_nc_u32_e32 v7, v7, v8
	v_mad_u64_u32 v[8:9], null, v7, s12, v[6:7]
	v_mad_u64_u32 v[11:12], null, v7, s13, v[4:5]
	s_delay_alu instid0(VALU_DEP_2) | instskip(NEXT) | instid1(VALU_DEP_2)
	v_dual_mov_b32 v7, v13 :: v_dual_mov_b32 v6, v8
	v_mov_b32_e32 v4, v11
	s_cbranch_scc1 .LBB15_1139
.LBB15_1140:
	s_and_not1_b32 vcc_lo, exec_lo, s6
	s_cbranch_vccnz .LBB15_1143
; %bb.1141:
	s_clause 0x1
	s_load_b128 s[4:7], s[16:17], 0x4
	s_load_b64 s[2:3], s[16:17], 0xc4
	s_cmp_lt_u32 s28, 2
	s_waitcnt lgkmcnt(0)
	v_mul_hi_u32 v4, s5, v3
	s_delay_alu instid0(VALU_DEP_1) | instskip(NEXT) | instid1(VALU_DEP_1)
	v_add_nc_u32_e32 v4, v3, v4
	v_lshrrev_b32_e32 v7, s6, v4
	s_delay_alu instid0(VALU_DEP_1) | instskip(NEXT) | instid1(VALU_DEP_1)
	v_mul_lo_u32 v4, v7, s4
	v_sub_nc_u32_e32 v3, v3, v4
	s_delay_alu instid0(VALU_DEP_1)
	v_mul_lo_u32 v6, v3, s2
	v_mul_lo_u32 v4, v3, s3
	s_cbranch_scc1 .LBB15_1143
; %bb.1142:
	s_clause 0x1
	s_load_b128 s[4:7], s[16:17], 0x10
	s_load_b64 s[2:3], s[16:17], 0xcc
	s_waitcnt lgkmcnt(0)
	v_mul_hi_u32 v3, s5, v7
	s_delay_alu instid0(VALU_DEP_1) | instskip(NEXT) | instid1(VALU_DEP_1)
	v_add_nc_u32_e32 v3, v7, v3
	v_lshrrev_b32_e32 v3, s6, v3
	s_delay_alu instid0(VALU_DEP_1) | instskip(NEXT) | instid1(VALU_DEP_1)
	v_mul_lo_u32 v3, v3, s4
	v_sub_nc_u32_e32 v3, v7, v3
	s_delay_alu instid0(VALU_DEP_1) | instskip(SKIP_1) | instid1(VALU_DEP_2)
	v_mad_u64_u32 v[7:8], null, v3, s2, v[6:7]
	v_mad_u64_u32 v[8:9], null, v3, s3, v[4:5]
	v_mov_b32_e32 v6, v7
	s_delay_alu instid0(VALU_DEP_2)
	v_mov_b32_e32 v4, v8
.LBB15_1143:
	v_cmp_ne_u32_e32 vcc_lo, 1, v1
	v_add_nc_u32_e32 v3, 0x100, v10
	s_cbranch_vccnz .LBB15_1149
; %bb.1144:
	v_dual_mov_b32 v12, 0 :: v_dual_mov_b32 v7, 0
	s_cmp_lg_u32 s28, 0
	s_mov_b32 s6, 0
	s_cbranch_scc0 .LBB15_1153
; %bb.1145:
	s_min_u32 s7, s29, 15
	v_mov_b32_e32 v12, 0
	s_add_i32 s7, s7, 1
	s_cmp_eq_u32 s29, 2
	s_mov_b32 s8, 0
	s_cbranch_scc1 .LBB15_1150
; %bb.1146:
	v_dual_mov_b32 v7, 0 :: v_dual_mov_b32 v12, 0
	v_mov_b32_e32 v8, v3
	s_add_u32 s2, s16, 0xc4
	s_addc_u32 s3, s17, 0
	s_and_b32 s8, s7, 28
	s_mov_b32 s9, 0
	s_mov_b64 s[4:5], s[16:17]
.LBB15_1147:                            ; =>This Inner Loop Header: Depth=1
	s_clause 0x1
	s_load_b256 s[20:27], s[4:5], 0x4
	s_load_b128 s[12:15], s[4:5], 0x24
	s_load_b256 s[36:43], s[2:3], 0x0
	s_add_u32 s4, s4, 48
	s_addc_u32 s5, s5, 0
	s_add_i32 s9, s9, 4
	s_add_u32 s2, s2, 32
	s_addc_u32 s3, s3, 0
	s_cmp_lg_u32 s8, s9
	s_waitcnt lgkmcnt(0)
	v_mul_hi_u32 v9, s21, v8
	s_delay_alu instid0(VALU_DEP_1) | instskip(NEXT) | instid1(VALU_DEP_1)
	v_add_nc_u32_e32 v9, v8, v9
	v_lshrrev_b32_e32 v9, s22, v9
	s_delay_alu instid0(VALU_DEP_1) | instskip(SKIP_1) | instid1(VALU_DEP_2)
	v_mul_hi_u32 v10, s24, v9
	v_mul_lo_u32 v13, v9, s20
	v_add_nc_u32_e32 v10, v9, v10
	s_delay_alu instid0(VALU_DEP_2) | instskip(NEXT) | instid1(VALU_DEP_2)
	v_sub_nc_u32_e32 v8, v8, v13
	v_lshrrev_b32_e32 v10, s25, v10
	s_delay_alu instid0(VALU_DEP_2) | instskip(SKIP_1) | instid1(VALU_DEP_3)
	v_mul_lo_u32 v13, v8, s36
	v_mul_lo_u32 v15, v8, s37
	v_mul_hi_u32 v11, s27, v10
	s_delay_alu instid0(VALU_DEP_1) | instskip(NEXT) | instid1(VALU_DEP_1)
	v_add_nc_u32_e32 v11, v10, v11
	v_lshrrev_b32_e32 v11, s12, v11
	s_delay_alu instid0(VALU_DEP_1) | instskip(SKIP_1) | instid1(VALU_DEP_2)
	v_mul_hi_u32 v14, s14, v11
	v_mul_lo_u32 v16, v11, s26
	v_add_nc_u32_e32 v8, v11, v14
	v_mul_lo_u32 v14, v10, s23
	s_delay_alu instid0(VALU_DEP_3) | instskip(NEXT) | instid1(VALU_DEP_3)
	v_sub_nc_u32_e32 v10, v10, v16
	v_lshrrev_b32_e32 v8, s15, v8
	s_delay_alu instid0(VALU_DEP_2) | instskip(SKIP_2) | instid1(VALU_DEP_4)
	v_mul_lo_u32 v16, v10, s40
	v_mul_lo_u32 v10, v10, s41
	v_sub_nc_u32_e32 v9, v9, v14
	v_mul_lo_u32 v17, v8, s13
	s_delay_alu instid0(VALU_DEP_2) | instskip(SKIP_1) | instid1(VALU_DEP_3)
	v_mul_lo_u32 v14, v9, s38
	v_mul_lo_u32 v9, v9, s39
	v_sub_nc_u32_e32 v11, v11, v17
	s_delay_alu instid0(VALU_DEP_3) | instskip(NEXT) | instid1(VALU_DEP_2)
	v_add3_u32 v12, v13, v12, v14
	v_mul_lo_u32 v17, v11, s42
	v_mul_lo_u32 v11, v11, s43
	v_add3_u32 v7, v15, v7, v9
	s_delay_alu instid0(VALU_DEP_3) | instskip(NEXT) | instid1(VALU_DEP_2)
	v_add3_u32 v12, v16, v12, v17
	v_add3_u32 v7, v10, v7, v11
	s_cbranch_scc1 .LBB15_1147
; %bb.1148:
	s_and_b32 s7, s7, 3
	s_delay_alu instid0(SALU_CYCLE_1)
	s_cmp_eq_u32 s7, 0
	s_cbranch_scc0 .LBB15_1151
	s_branch .LBB15_1153
.LBB15_1149:
	s_mov_b32 s6, -1
                                        ; implicit-def: $vgpr12
                                        ; implicit-def: $vgpr7
	s_branch .LBB15_1153
.LBB15_1150:
	v_dual_mov_b32 v8, v3 :: v_dual_mov_b32 v7, 0
	s_and_b32 s7, s7, 3
	s_delay_alu instid0(SALU_CYCLE_1)
	s_cmp_eq_u32 s7, 0
	s_cbranch_scc1 .LBB15_1153
.LBB15_1151:
	s_lshl_b32 s2, s8, 3
	s_mul_i32 s4, s8, 12
	s_add_u32 s2, s2, s16
	s_addc_u32 s3, 0, s17
	s_add_u32 s2, s2, 0xc4
	s_addc_u32 s3, s3, 0
	s_add_u32 s4, s16, s4
	s_addc_u32 s5, 0, s17
	.p2align	6
.LBB15_1152:                            ; =>This Inner Loop Header: Depth=1
	s_clause 0x1
	s_load_b64 s[8:9], s[4:5], 0x4
	s_load_b32 s14, s[4:5], 0xc
	s_load_b64 s[12:13], s[2:3], 0x0
	s_add_u32 s4, s4, 12
	s_addc_u32 s5, s5, 0
	s_add_u32 s2, s2, 8
	s_addc_u32 s3, s3, 0
	s_add_i32 s7, s7, -1
	s_delay_alu instid0(SALU_CYCLE_1) | instskip(SKIP_2) | instid1(VALU_DEP_1)
	s_cmp_lg_u32 s7, 0
	s_waitcnt lgkmcnt(0)
	v_mul_hi_u32 v9, s9, v8
	v_add_nc_u32_e32 v9, v8, v9
	s_delay_alu instid0(VALU_DEP_1) | instskip(NEXT) | instid1(VALU_DEP_1)
	v_lshrrev_b32_e32 v13, s14, v9
	v_mul_lo_u32 v9, v13, s8
	s_delay_alu instid0(VALU_DEP_1) | instskip(NEXT) | instid1(VALU_DEP_1)
	v_sub_nc_u32_e32 v8, v8, v9
	v_mad_u64_u32 v[9:10], null, v8, s12, v[12:13]
	v_mad_u64_u32 v[10:11], null, v8, s13, v[7:8]
	v_mov_b32_e32 v8, v13
	s_delay_alu instid0(VALU_DEP_2)
	v_dual_mov_b32 v12, v9 :: v_dual_mov_b32 v7, v10
	s_cbranch_scc1 .LBB15_1152
.LBB15_1153:
	s_and_not1_b32 vcc_lo, exec_lo, s6
	s_cbranch_vccnz .LBB15_1156
; %bb.1154:
	s_clause 0x1
	s_load_b128 s[4:7], s[16:17], 0x4
	s_load_b64 s[2:3], s[16:17], 0xc4
	s_cmp_lt_u32 s28, 2
	s_waitcnt lgkmcnt(0)
	v_mul_hi_u32 v7, s5, v3
	s_delay_alu instid0(VALU_DEP_1) | instskip(NEXT) | instid1(VALU_DEP_1)
	v_add_nc_u32_e32 v7, v3, v7
	v_lshrrev_b32_e32 v8, s6, v7
	s_delay_alu instid0(VALU_DEP_1) | instskip(NEXT) | instid1(VALU_DEP_1)
	v_mul_lo_u32 v7, v8, s4
	v_sub_nc_u32_e32 v3, v3, v7
	s_delay_alu instid0(VALU_DEP_1)
	v_mul_lo_u32 v12, v3, s2
	v_mul_lo_u32 v7, v3, s3
	s_cbranch_scc1 .LBB15_1156
; %bb.1155:
	s_clause 0x1
	s_load_b128 s[4:7], s[16:17], 0x10
	s_load_b64 s[2:3], s[16:17], 0xcc
	s_waitcnt lgkmcnt(0)
	v_mul_hi_u32 v3, s5, v8
	s_delay_alu instid0(VALU_DEP_1) | instskip(NEXT) | instid1(VALU_DEP_1)
	v_add_nc_u32_e32 v3, v8, v3
	v_lshrrev_b32_e32 v3, s6, v3
	s_delay_alu instid0(VALU_DEP_1) | instskip(NEXT) | instid1(VALU_DEP_1)
	v_mul_lo_u32 v3, v3, s4
	v_sub_nc_u32_e32 v3, v8, v3
	s_delay_alu instid0(VALU_DEP_1) | instskip(NEXT) | instid1(VALU_DEP_1)
	v_mad_u64_u32 v[8:9], null, v3, s2, v[12:13]
	v_mad_u64_u32 v[9:10], null, v3, s3, v[7:8]
	s_delay_alu instid0(VALU_DEP_1)
	v_dual_mov_b32 v12, v8 :: v_dual_mov_b32 v7, v9
.LBB15_1156:
	v_cmp_ne_u32_e32 vcc_lo, 1, v1
	s_cbranch_vccnz .LBB15_1162
; %bb.1157:
	v_dual_mov_b32 v14, 0 :: v_dual_mov_b32 v3, 0
	s_cmp_lg_u32 s28, 0
	s_mov_b32 s6, 0
	s_cbranch_scc0 .LBB15_1166
; %bb.1158:
	s_min_u32 s7, s29, 15
	v_mov_b32_e32 v14, 0
	s_add_i32 s7, s7, 1
	s_cmp_eq_u32 s29, 2
	s_mov_b32 s8, 0
	s_cbranch_scc1 .LBB15_1163
; %bb.1159:
	v_dual_mov_b32 v3, 0 :: v_dual_mov_b32 v14, 0
	v_mov_b32_e32 v1, v5
	s_add_u32 s2, s16, 0xc4
	s_addc_u32 s3, s17, 0
	s_and_b32 s8, s7, 28
	s_mov_b32 s9, 0
	s_mov_b64 s[4:5], s[16:17]
.LBB15_1160:                            ; =>This Inner Loop Header: Depth=1
	s_clause 0x1
	s_load_b256 s[20:27], s[4:5], 0x4
	s_load_b128 s[12:15], s[4:5], 0x24
	s_load_b256 s[36:43], s[2:3], 0x0
	s_add_u32 s4, s4, 48
	s_addc_u32 s5, s5, 0
	s_add_i32 s9, s9, 4
	s_add_u32 s2, s2, 32
	s_addc_u32 s3, s3, 0
	s_cmp_lg_u32 s8, s9
	s_waitcnt lgkmcnt(0)
	v_mul_hi_u32 v8, s21, v1
	s_delay_alu instid0(VALU_DEP_1) | instskip(NEXT) | instid1(VALU_DEP_1)
	v_add_nc_u32_e32 v8, v1, v8
	v_lshrrev_b32_e32 v8, s22, v8
	s_delay_alu instid0(VALU_DEP_1) | instskip(SKIP_1) | instid1(VALU_DEP_2)
	v_mul_hi_u32 v9, s24, v8
	v_mul_lo_u32 v11, v8, s20
	v_add_nc_u32_e32 v9, v8, v9
	s_delay_alu instid0(VALU_DEP_2) | instskip(NEXT) | instid1(VALU_DEP_2)
	v_sub_nc_u32_e32 v1, v1, v11
	v_lshrrev_b32_e32 v9, s25, v9
	s_delay_alu instid0(VALU_DEP_2) | instskip(SKIP_1) | instid1(VALU_DEP_3)
	v_mul_lo_u32 v11, v1, s36
	v_mul_lo_u32 v15, v1, s37
	v_mul_hi_u32 v10, s27, v9
	s_delay_alu instid0(VALU_DEP_1) | instskip(NEXT) | instid1(VALU_DEP_1)
	v_add_nc_u32_e32 v10, v9, v10
	v_lshrrev_b32_e32 v10, s12, v10
	s_delay_alu instid0(VALU_DEP_1) | instskip(SKIP_1) | instid1(VALU_DEP_2)
	v_mul_hi_u32 v13, s14, v10
	v_mul_lo_u32 v16, v10, s26
	v_add_nc_u32_e32 v1, v10, v13
	v_mul_lo_u32 v13, v9, s23
	s_delay_alu instid0(VALU_DEP_3) | instskip(NEXT) | instid1(VALU_DEP_3)
	v_sub_nc_u32_e32 v9, v9, v16
	v_lshrrev_b32_e32 v1, s15, v1
	s_delay_alu instid0(VALU_DEP_2) | instskip(SKIP_2) | instid1(VALU_DEP_4)
	v_mul_lo_u32 v16, v9, s40
	v_mul_lo_u32 v9, v9, s41
	v_sub_nc_u32_e32 v8, v8, v13
	v_mul_lo_u32 v17, v1, s13
	s_delay_alu instid0(VALU_DEP_2) | instskip(SKIP_1) | instid1(VALU_DEP_3)
	v_mul_lo_u32 v13, v8, s38
	v_mul_lo_u32 v8, v8, s39
	v_sub_nc_u32_e32 v10, v10, v17
	s_delay_alu instid0(VALU_DEP_3) | instskip(NEXT) | instid1(VALU_DEP_2)
	v_add3_u32 v11, v11, v14, v13
	v_mul_lo_u32 v17, v10, s42
	v_mul_lo_u32 v10, v10, s43
	v_add3_u32 v3, v15, v3, v8
	s_delay_alu instid0(VALU_DEP_3) | instskip(NEXT) | instid1(VALU_DEP_2)
	v_add3_u32 v14, v16, v11, v17
	v_add3_u32 v3, v9, v3, v10
	s_cbranch_scc1 .LBB15_1160
; %bb.1161:
	s_and_b32 s7, s7, 3
	s_delay_alu instid0(SALU_CYCLE_1)
	s_cmp_eq_u32 s7, 0
	s_cbranch_scc0 .LBB15_1164
	s_branch .LBB15_1166
.LBB15_1162:
	s_mov_b32 s6, -1
                                        ; implicit-def: $vgpr14
                                        ; implicit-def: $vgpr3
	s_branch .LBB15_1166
.LBB15_1163:
	v_mov_b32_e32 v1, v5
	v_mov_b32_e32 v3, 0
	s_and_b32 s7, s7, 3
	s_delay_alu instid0(SALU_CYCLE_1)
	s_cmp_eq_u32 s7, 0
	s_cbranch_scc1 .LBB15_1166
.LBB15_1164:
	s_lshl_b32 s2, s8, 3
	s_mul_i32 s4, s8, 12
	s_add_u32 s2, s2, s16
	s_addc_u32 s3, 0, s17
	s_add_u32 s2, s2, 0xc4
	s_addc_u32 s3, s3, 0
	;; [unrolled: 2-line block ×3, first 2 shown]
	.p2align	6
.LBB15_1165:                            ; =>This Inner Loop Header: Depth=1
	s_clause 0x1
	s_load_b64 s[8:9], s[4:5], 0x4
	s_load_b32 s14, s[4:5], 0xc
	s_load_b64 s[12:13], s[2:3], 0x0
	s_add_u32 s4, s4, 12
	s_addc_u32 s5, s5, 0
	s_add_u32 s2, s2, 8
	s_addc_u32 s3, s3, 0
	s_add_i32 s7, s7, -1
	s_delay_alu instid0(SALU_CYCLE_1) | instskip(SKIP_2) | instid1(VALU_DEP_1)
	s_cmp_lg_u32 s7, 0
	s_waitcnt lgkmcnt(0)
	v_mul_hi_u32 v8, s9, v1
	v_add_nc_u32_e32 v8, v1, v8
	s_delay_alu instid0(VALU_DEP_1) | instskip(NEXT) | instid1(VALU_DEP_1)
	v_lshrrev_b32_e32 v11, s14, v8
	v_mul_lo_u32 v8, v11, s8
	s_delay_alu instid0(VALU_DEP_1) | instskip(NEXT) | instid1(VALU_DEP_1)
	v_sub_nc_u32_e32 v1, v1, v8
	v_mad_u64_u32 v[8:9], null, v1, s12, v[14:15]
	v_mad_u64_u32 v[9:10], null, v1, s13, v[3:4]
	s_delay_alu instid0(VALU_DEP_2) | instskip(NEXT) | instid1(VALU_DEP_2)
	v_dual_mov_b32 v1, v11 :: v_dual_mov_b32 v14, v8
	v_mov_b32_e32 v3, v9
	s_cbranch_scc1 .LBB15_1165
.LBB15_1166:
	s_and_not1_b32 vcc_lo, exec_lo, s6
	s_cbranch_vccnz .LBB15_1169
; %bb.1167:
	s_clause 0x1
	s_load_b128 s[4:7], s[16:17], 0x4
	s_load_b64 s[2:3], s[16:17], 0xc4
	s_cmp_lt_u32 s28, 2
	s_waitcnt lgkmcnt(0)
	v_mul_hi_u32 v1, s5, v5
	s_delay_alu instid0(VALU_DEP_1) | instskip(NEXT) | instid1(VALU_DEP_1)
	v_add_nc_u32_e32 v1, v5, v1
	v_lshrrev_b32_e32 v1, s6, v1
	s_delay_alu instid0(VALU_DEP_1) | instskip(NEXT) | instid1(VALU_DEP_1)
	v_mul_lo_u32 v3, v1, s4
	v_sub_nc_u32_e32 v3, v5, v3
	s_delay_alu instid0(VALU_DEP_1)
	v_mul_lo_u32 v14, v3, s2
	v_mul_lo_u32 v3, v3, s3
	s_cbranch_scc1 .LBB15_1169
; %bb.1168:
	s_clause 0x1
	s_load_b128 s[4:7], s[16:17], 0x10
	s_load_b64 s[2:3], s[16:17], 0xcc
	s_waitcnt lgkmcnt(0)
	v_mul_hi_u32 v5, s5, v1
	s_delay_alu instid0(VALU_DEP_1) | instskip(NEXT) | instid1(VALU_DEP_1)
	v_add_nc_u32_e32 v5, v1, v5
	v_lshrrev_b32_e32 v5, s6, v5
	s_delay_alu instid0(VALU_DEP_1) | instskip(NEXT) | instid1(VALU_DEP_1)
	v_mul_lo_u32 v5, v5, s4
	v_sub_nc_u32_e32 v1, v1, v5
	s_delay_alu instid0(VALU_DEP_1) | instskip(SKIP_1) | instid1(VALU_DEP_1)
	v_mad_u64_u32 v[8:9], null, v1, s2, v[14:15]
	v_mad_u64_u32 v[9:10], null, v1, s3, v[3:4]
	v_dual_mov_b32 v14, v8 :: v_dual_mov_b32 v3, v9
.LBB15_1169:
	s_clause 0x1
	s_load_b32 s0, s[0:1], 0x170
	s_load_b128 s[4:7], s[16:17], 0x148
	s_waitcnt lgkmcnt(0)
	s_lshr_b32 s0, s0, 8
	s_delay_alu instid0(SALU_CYCLE_1) | instskip(SKIP_1) | instid1(VALU_DEP_1)
	v_and_b32_e64 v13, 0xff, s0
	v_add_co_u32 v0, s0, s6, v0
	v_add_co_ci_u32_e64 v1, null, s7, 0, s0
	s_delay_alu instid0(VALU_DEP_3)
	v_cmp_gt_i16_e32 vcc_lo, 11, v13
	s_mov_b32 s0, 0
	s_cbranch_vccnz .LBB15_1176
; %bb.1170:
	v_cmp_lt_i16_e32 vcc_lo, 25, v13
	s_mov_b32 s3, 0
	s_cbranch_vccz .LBB15_1182
; %bb.1171:
	v_cmp_lt_i16_e32 vcc_lo, 28, v13
	s_cbranch_vccz .LBB15_1184
; %bb.1172:
	v_cmp_lt_i16_e32 vcc_lo, 43, v13
	;; [unrolled: 3-line block ×3, first 2 shown]
	s_cbranch_vccz .LBB15_1190
; %bb.1174:
	v_cmp_eq_u16_e32 vcc_lo, 46, v13
	s_mov_b32 s1, 0
	s_cbranch_vccz .LBB15_1232
; %bb.1175:
	global_load_b32 v5, v[0:1], off
	s_mov_b32 s2, 0
	s_mov_b32 s0, -1
	s_waitcnt vmcnt(0)
	v_lshlrev_b32_e32 v5, 16, v5
	s_delay_alu instid0(VALU_DEP_1)
	v_cvt_f64_f32_e32 v[8:9], v5
	s_branch .LBB15_1234
.LBB15_1176:
	s_mov_b32 s12, s10
                                        ; implicit-def: $vgpr8_vgpr9
	s_cbranch_execz .LBB15_1297
; %bb.1177:
	v_cmp_gt_i16_e32 vcc_lo, 5, v13
	s_cbranch_vccnz .LBB15_1183
; %bb.1178:
	v_cmp_gt_i16_e32 vcc_lo, 8, v13
	s_cbranch_vccnz .LBB15_1185
	;; [unrolled: 3-line block ×3, first 2 shown]
; %bb.1180:
	v_cmp_lt_i16_e32 vcc_lo, 9, v13
	s_cbranch_vccz .LBB15_1191
; %bb.1181:
	global_load_b64 v[8:9], v[0:1], off
	s_mov_b32 s0, 0
	s_branch .LBB15_1192
.LBB15_1182:
	s_mov_b32 s2, 0
                                        ; implicit-def: $vgpr8_vgpr9
	s_cbranch_execnz .LBB15_1264
	s_branch .LBB15_1293
.LBB15_1183:
                                        ; implicit-def: $vgpr8_vgpr9
	s_branch .LBB15_1209
.LBB15_1184:
	s_mov_b32 s1, -1
	s_mov_b32 s2, 0
                                        ; implicit-def: $vgpr8_vgpr9
	s_branch .LBB15_1243
.LBB15_1185:
                                        ; implicit-def: $vgpr8_vgpr9
	s_branch .LBB15_1198
.LBB15_1186:
	s_mov_b32 s2, 0
                                        ; implicit-def: $vgpr8_vgpr9
	s_cbranch_execnz .LBB15_1239
	s_branch .LBB15_1242
.LBB15_1187:
	s_mov_b32 s0, -1
                                        ; implicit-def: $vgpr8_vgpr9
	s_branch .LBB15_1195
.LBB15_1188:
	s_cbranch_execnz .LBB15_1230
; %bb.1189:
	s_or_b32 s6, s6, exec_lo
	s_and_not1_b32 s8, s8, exec_lo
	s_or_b32 exec_lo, exec_lo, s2
	s_and_saveexec_b32 s2, s8
	s_delay_alu instid0(SALU_CYCLE_1)
	s_xor_b32 s2, exec_lo, s2
	s_cbranch_execnz .LBB15_1076
	s_branch .LBB15_1077
.LBB15_1190:
	s_mov_b32 s1, -1
	s_mov_b32 s2, 0
	s_branch .LBB15_1233
.LBB15_1191:
	s_mov_b32 s0, -1
                                        ; implicit-def: $vgpr8_vgpr9
.LBB15_1192:
	s_delay_alu instid0(SALU_CYCLE_1)
	s_and_not1_b32 vcc_lo, exec_lo, s0
	s_cbranch_vccnz .LBB15_1194
; %bb.1193:
	global_load_b32 v5, v[0:1], off
	s_waitcnt vmcnt(0)
	v_cvt_f64_f32_e32 v[8:9], v5
.LBB15_1194:
	s_mov_b32 s0, 0
.LBB15_1195:
	s_delay_alu instid0(SALU_CYCLE_1)
	s_and_not1_b32 vcc_lo, exec_lo, s0
	s_cbranch_vccnz .LBB15_1197
; %bb.1196:
	global_load_b32 v5, v[0:1], off
	s_waitcnt vmcnt(0)
	v_cvt_f32_f16_e32 v5, v5
	s_delay_alu instid0(VALU_DEP_1)
	v_cvt_f64_f32_e32 v[8:9], v5
.LBB15_1197:
	s_cbranch_execnz .LBB15_1208
.LBB15_1198:
	v_cmp_gt_i16_e32 vcc_lo, 6, v13
	s_cbranch_vccnz .LBB15_1201
; %bb.1199:
	v_cmp_lt_i16_e32 vcc_lo, 6, v13
	s_cbranch_vccz .LBB15_1202
; %bb.1200:
	global_load_b64 v[8:9], v[0:1], off
	s_mov_b32 s0, 0
	s_branch .LBB15_1203
.LBB15_1201:
	s_mov_b32 s0, -1
                                        ; implicit-def: $vgpr8_vgpr9
	s_branch .LBB15_1206
.LBB15_1202:
	s_mov_b32 s0, -1
                                        ; implicit-def: $vgpr8_vgpr9
.LBB15_1203:
	s_delay_alu instid0(SALU_CYCLE_1)
	s_and_not1_b32 vcc_lo, exec_lo, s0
	s_cbranch_vccnz .LBB15_1205
; %bb.1204:
	global_load_b32 v5, v[0:1], off
	s_waitcnt vmcnt(0)
	v_cvt_f64_f32_e32 v[8:9], v5
.LBB15_1205:
	s_mov_b32 s0, 0
.LBB15_1206:
	s_delay_alu instid0(SALU_CYCLE_1)
	s_and_not1_b32 vcc_lo, exec_lo, s0
	s_cbranch_vccnz .LBB15_1208
; %bb.1207:
	global_load_u16 v5, v[0:1], off
	s_waitcnt vmcnt(0)
	v_cvt_f32_f16_e32 v5, v5
	s_delay_alu instid0(VALU_DEP_1)
	v_cvt_f64_f32_e32 v[8:9], v5
.LBB15_1208:
	s_cbranch_execnz .LBB15_1227
.LBB15_1209:
	v_cmp_gt_i16_e32 vcc_lo, 2, v13
	s_cbranch_vccnz .LBB15_1213
; %bb.1210:
	v_cmp_gt_i16_e32 vcc_lo, 3, v13
	s_cbranch_vccnz .LBB15_1214
; %bb.1211:
	v_cmp_lt_i16_e32 vcc_lo, 3, v13
	s_cbranch_vccz .LBB15_1215
; %bb.1212:
	global_load_b64 v[8:9], v[0:1], off
	s_mov_b32 s0, 0
	s_waitcnt vmcnt(0)
	v_cvt_f64_i32_e32 v[9:10], v9
	v_cvt_f64_u32_e32 v[15:16], v8
	s_delay_alu instid0(VALU_DEP_2) | instskip(NEXT) | instid1(VALU_DEP_1)
	v_ldexp_f64 v[9:10], v[9:10], 32
	v_add_f64 v[8:9], v[9:10], v[15:16]
	s_branch .LBB15_1216
.LBB15_1213:
                                        ; implicit-def: $vgpr8_vgpr9
	s_branch .LBB15_1222
.LBB15_1214:
	s_mov_b32 s0, -1
                                        ; implicit-def: $vgpr8_vgpr9
	s_branch .LBB15_1219
.LBB15_1215:
	s_mov_b32 s0, -1
                                        ; implicit-def: $vgpr8_vgpr9
.LBB15_1216:
	s_delay_alu instid0(SALU_CYCLE_1)
	s_and_not1_b32 vcc_lo, exec_lo, s0
	s_cbranch_vccnz .LBB15_1218
; %bb.1217:
	global_load_b32 v5, v[0:1], off
	s_waitcnt vmcnt(0)
	v_cvt_f64_i32_e32 v[8:9], v5
.LBB15_1218:
	s_mov_b32 s0, 0
.LBB15_1219:
	s_delay_alu instid0(SALU_CYCLE_1)
	s_and_not1_b32 vcc_lo, exec_lo, s0
	s_cbranch_vccnz .LBB15_1221
; %bb.1220:
	global_load_i16 v5, v[0:1], off
	s_waitcnt vmcnt(0)
	v_cvt_f64_i32_e32 v[8:9], v5
.LBB15_1221:
	s_cbranch_execnz .LBB15_1227
.LBB15_1222:
	v_cmp_lt_i16_e32 vcc_lo, 0, v13
	s_mov_b32 s0, 0
	s_cbranch_vccz .LBB15_1224
; %bb.1223:
	global_load_i8 v5, v[0:1], off
	s_waitcnt vmcnt(0)
	v_cvt_f64_i32_e32 v[8:9], v5
	s_branch .LBB15_1225
.LBB15_1224:
	s_mov_b32 s0, -1
                                        ; implicit-def: $vgpr8_vgpr9
.LBB15_1225:
	s_delay_alu instid0(SALU_CYCLE_1)
	s_and_not1_b32 vcc_lo, exec_lo, s0
	s_cbranch_vccnz .LBB15_1227
; %bb.1226:
	global_load_u8 v0, v[0:1], off
	s_waitcnt vmcnt(0)
	v_cvt_f64_u32_e32 v[8:9], v0
.LBB15_1227:
                                        ; implicit-def: $vgpr10_vgpr11
	s_branch .LBB15_1298
.LBB15_1228:
	s_trap 2
	s_sendmsg_rtn_b32 s0, sendmsg(MSG_RTN_GET_DOORBELL)
	s_mov_b32 ttmp2, m0
	s_waitcnt lgkmcnt(0)
	s_and_b32 s0, s0, 0x3ff
	s_delay_alu instid0(SALU_CYCLE_1) | instskip(NEXT) | instid1(SALU_CYCLE_1)
	s_bitset1_b32 s0, 10
	s_mov_b32 m0, s0
	s_sendmsg sendmsg(MSG_INTERRUPT)
	s_mov_b32 m0, ttmp2
.LBB15_1229:                            ; =>This Inner Loop Header: Depth=1
	s_sethalt 5
	s_branch .LBB15_1229
.LBB15_1230:
	s_trap 2
	s_sendmsg_rtn_b32 s0, sendmsg(MSG_RTN_GET_DOORBELL)
	s_mov_b32 ttmp2, m0
	s_waitcnt lgkmcnt(0)
	s_and_b32 s0, s0, 0x3ff
	s_delay_alu instid0(SALU_CYCLE_1) | instskip(NEXT) | instid1(SALU_CYCLE_1)
	s_bitset1_b32 s0, 10
	s_mov_b32 m0, s0
	s_sendmsg sendmsg(MSG_INTERRUPT)
	s_mov_b32 m0, ttmp2
.LBB15_1231:                            ; =>This Inner Loop Header: Depth=1
	s_sethalt 5
	s_branch .LBB15_1231
.LBB15_1232:
	s_mov_b32 s2, -1
.LBB15_1233:
                                        ; implicit-def: $vgpr8_vgpr9
.LBB15_1234:
	s_and_b32 vcc_lo, exec_lo, s1
	s_cbranch_vccz .LBB15_1237
; %bb.1235:
	v_cmp_eq_u16_e32 vcc_lo, 44, v13
	s_cbranch_vccz .LBB15_1238
; %bb.1236:
	global_load_u8 v5, v[0:1], off
	s_mov_b32 s2, 0
	s_mov_b32 s0, -1
	s_waitcnt vmcnt(0)
	v_lshlrev_b32_e32 v8, 23, v5
	v_cmp_ne_u32_e32 vcc_lo, 0xff, v5
	s_delay_alu instid0(VALU_DEP_2) | instskip(NEXT) | instid1(VALU_DEP_1)
	v_cvt_f64_f32_e32 v[8:9], v8
	v_cndmask_b32_e32 v8, 0x20000000, v8, vcc_lo
	s_delay_alu instid0(VALU_DEP_2) | instskip(SKIP_1) | instid1(VALU_DEP_2)
	v_cndmask_b32_e32 v9, 0x7ff80000, v9, vcc_lo
	v_cmp_ne_u32_e32 vcc_lo, 0, v5
	v_cndmask_b32_e32 v9, 0x38000000, v9, vcc_lo
	s_delay_alu instid0(VALU_DEP_4)
	v_cndmask_b32_e32 v8, 0, v8, vcc_lo
.LBB15_1237:
	s_branch .LBB15_1242
.LBB15_1238:
	s_mov_b32 s2, -1
                                        ; implicit-def: $vgpr8_vgpr9
	s_branch .LBB15_1242
.LBB15_1239:
	v_cmp_eq_u16_e32 vcc_lo, 29, v13
	s_cbranch_vccz .LBB15_1241
; %bb.1240:
	global_load_b64 v[8:9], v[0:1], off
	s_mov_b32 s2, 0
	s_mov_b32 s0, -1
	s_mov_b32 s1, 0
	s_waitcnt vmcnt(0)
	v_cvt_f64_u32_e32 v[9:10], v9
	v_cvt_f64_u32_e32 v[15:16], v8
	s_delay_alu instid0(VALU_DEP_2) | instskip(NEXT) | instid1(VALU_DEP_1)
	v_ldexp_f64 v[9:10], v[9:10], 32
	v_add_f64 v[8:9], v[9:10], v[15:16]
	s_branch .LBB15_1243
.LBB15_1241:
	s_mov_b32 s2, -1
                                        ; implicit-def: $vgpr8_vgpr9
.LBB15_1242:
	s_mov_b32 s1, 0
.LBB15_1243:
	s_delay_alu instid0(SALU_CYCLE_1)
	s_and_b32 vcc_lo, exec_lo, s1
	s_cbranch_vccz .LBB15_1263
; %bb.1244:
	v_cmp_gt_i16_e32 vcc_lo, 27, v13
	s_cbranch_vccnz .LBB15_1247
; %bb.1245:
	v_cmp_lt_i16_e32 vcc_lo, 27, v13
	s_cbranch_vccz .LBB15_1248
; %bb.1246:
	global_load_b32 v5, v[0:1], off
	s_mov_b32 s0, 0
	s_waitcnt vmcnt(0)
	v_cvt_f64_u32_e32 v[8:9], v5
	s_branch .LBB15_1249
.LBB15_1247:
	s_mov_b32 s0, -1
                                        ; implicit-def: $vgpr8_vgpr9
	s_branch .LBB15_1252
.LBB15_1248:
	s_mov_b32 s0, -1
                                        ; implicit-def: $vgpr8_vgpr9
.LBB15_1249:
	s_delay_alu instid0(SALU_CYCLE_1)
	s_and_not1_b32 vcc_lo, exec_lo, s0
	s_cbranch_vccnz .LBB15_1251
; %bb.1250:
	global_load_u16 v5, v[0:1], off
	s_waitcnt vmcnt(0)
	v_cvt_f64_u32_e32 v[8:9], v5
.LBB15_1251:
	s_mov_b32 s0, 0
.LBB15_1252:
	s_delay_alu instid0(SALU_CYCLE_1)
	s_and_not1_b32 vcc_lo, exec_lo, s0
	s_cbranch_vccnz .LBB15_1262
; %bb.1253:
	global_load_u8 v5, v[0:1], off
	s_mov_b32 s8, 0
	s_mov_b32 s9, exec_lo
                                        ; implicit-def: $sgpr0_sgpr1
	s_waitcnt vmcnt(0)
	v_cmpx_lt_i16_e32 0x7f, v5
	s_xor_b32 s9, exec_lo, s9
	s_cbranch_execz .LBB15_1257
; %bb.1254:
	s_mov_b32 s12, -1
	s_mov_b32 s8, exec_lo
                                        ; implicit-def: $sgpr0_sgpr1
	v_cmpx_eq_u16_e32 0x80, v5
; %bb.1255:
	s_mov_b32 s1, 0x7ff80000
	s_brev_b32 s0, 4
	s_xor_b32 s12, exec_lo, -1
; %bb.1256:
	s_or_b32 exec_lo, exec_lo, s8
	s_delay_alu instid0(SALU_CYCLE_1)
	s_and_b32 s8, s12, exec_lo
.LBB15_1257:
	s_or_saveexec_b32 s9, s9
	v_dual_mov_b32 v9, s1 :: v_dual_mov_b32 v8, s0
	s_xor_b32 exec_lo, exec_lo, s9
; %bb.1258:
	v_cmp_ne_u16_e32 vcc_lo, 0, v5
	v_mov_b32_e32 v8, 0
	v_mov_b32_e32 v9, 0
	s_and_not1_b32 s0, s8, exec_lo
	s_and_b32 s1, vcc_lo, exec_lo
	s_delay_alu instid0(SALU_CYCLE_1)
	s_or_b32 s8, s0, s1
; %bb.1259:
	s_or_b32 exec_lo, exec_lo, s9
	s_and_saveexec_b32 s0, s8
	s_cbranch_execz .LBB15_1261
; %bb.1260:
	v_and_b32_e32 v8, 0xffff, v5
	v_lshlrev_b32_e32 v5, 24, v5
	s_delay_alu instid0(VALU_DEP_2) | instskip(NEXT) | instid1(VALU_DEP_2)
	v_and_b32_e32 v9, 7, v8
	v_and_b32_e32 v5, 0x80000000, v5
	s_delay_alu instid0(VALU_DEP_2) | instskip(NEXT) | instid1(VALU_DEP_1)
	v_clz_i32_u32_e32 v10, v9
	v_min_u32_e32 v10, 32, v10
	s_delay_alu instid0(VALU_DEP_1) | instskip(SKIP_1) | instid1(VALU_DEP_2)
	v_subrev_nc_u32_e32 v11, 28, v10
	v_sub_nc_u32_e32 v10, 29, v10
	v_lshlrev_b32_e32 v11, v11, v8
	v_bfe_u32 v8, v8, 3, 4
	s_delay_alu instid0(VALU_DEP_2) | instskip(NEXT) | instid1(VALU_DEP_2)
	v_and_b32_e32 v11, 7, v11
	v_cmp_eq_u32_e32 vcc_lo, 0, v8
	s_delay_alu instid0(VALU_DEP_2) | instskip(NEXT) | instid1(VALU_DEP_1)
	v_dual_cndmask_b32 v8, v8, v10 :: v_dual_cndmask_b32 v9, v9, v11
	v_lshl_add_u32 v8, v8, 23, 0x3b800000
	s_delay_alu instid0(VALU_DEP_2) | instskip(NEXT) | instid1(VALU_DEP_1)
	v_lshlrev_b32_e32 v9, 20, v9
	v_or3_b32 v5, v5, v8, v9
	s_delay_alu instid0(VALU_DEP_1)
	v_cvt_f64_f32_e32 v[8:9], v5
.LBB15_1261:
	s_or_b32 exec_lo, exec_lo, s0
.LBB15_1262:
	s_mov_b32 s0, -1
.LBB15_1263:
	s_branch .LBB15_1293
.LBB15_1264:
	v_cmp_lt_i16_e32 vcc_lo, 22, v13
	s_cbranch_vccz .LBB15_1276
; %bb.1265:
	v_cmp_gt_i16_e32 vcc_lo, 24, v13
	s_cbranch_vccnz .LBB15_1277
; %bb.1266:
	v_cmp_lt_i16_e32 vcc_lo, 24, v13
	s_cbranch_vccz .LBB15_1278
; %bb.1267:
	global_load_u8 v5, v[0:1], off
	s_mov_b32 s8, exec_lo
                                        ; implicit-def: $sgpr0_sgpr1
	s_waitcnt vmcnt(0)
	v_cmpx_lt_i16_e32 0x7f, v5
	s_xor_b32 s8, exec_lo, s8
	s_cbranch_execz .LBB15_1271
; %bb.1268:
	s_mov_b32 s9, -1
	s_mov_b32 s3, exec_lo
                                        ; implicit-def: $sgpr0_sgpr1
	v_cmpx_eq_u16_e32 0x80, v5
; %bb.1269:
	s_mov_b32 s1, 0x7ff80000
	s_brev_b32 s0, 4
	s_xor_b32 s9, exec_lo, -1
; %bb.1270:
	s_or_b32 exec_lo, exec_lo, s3
	s_delay_alu instid0(SALU_CYCLE_1)
	s_and_b32 s3, s9, exec_lo
.LBB15_1271:
	s_or_saveexec_b32 s8, s8
	v_dual_mov_b32 v9, s1 :: v_dual_mov_b32 v8, s0
	s_xor_b32 exec_lo, exec_lo, s8
; %bb.1272:
	v_cmp_ne_u16_e32 vcc_lo, 0, v5
	v_mov_b32_e32 v8, 0
	v_mov_b32_e32 v9, 0
	s_and_not1_b32 s0, s3, exec_lo
	s_and_b32 s1, vcc_lo, exec_lo
	s_delay_alu instid0(SALU_CYCLE_1)
	s_or_b32 s3, s0, s1
; %bb.1273:
	s_or_b32 exec_lo, exec_lo, s8
	s_and_saveexec_b32 s0, s3
	s_cbranch_execz .LBB15_1275
; %bb.1274:
	v_and_b32_e32 v8, 0xffff, v5
	v_lshlrev_b32_e32 v5, 24, v5
	s_delay_alu instid0(VALU_DEP_2) | instskip(NEXT) | instid1(VALU_DEP_2)
	v_and_b32_e32 v9, 3, v8
	v_and_b32_e32 v5, 0x80000000, v5
	s_delay_alu instid0(VALU_DEP_2) | instskip(NEXT) | instid1(VALU_DEP_1)
	v_clz_i32_u32_e32 v10, v9
	v_min_u32_e32 v10, 32, v10
	s_delay_alu instid0(VALU_DEP_1) | instskip(SKIP_1) | instid1(VALU_DEP_2)
	v_subrev_nc_u32_e32 v11, 29, v10
	v_sub_nc_u32_e32 v10, 30, v10
	v_lshlrev_b32_e32 v11, v11, v8
	v_bfe_u32 v8, v8, 2, 5
	s_delay_alu instid0(VALU_DEP_2) | instskip(NEXT) | instid1(VALU_DEP_2)
	v_and_b32_e32 v11, 3, v11
	v_cmp_eq_u32_e32 vcc_lo, 0, v8
	s_delay_alu instid0(VALU_DEP_2) | instskip(NEXT) | instid1(VALU_DEP_1)
	v_dual_cndmask_b32 v8, v8, v10 :: v_dual_cndmask_b32 v9, v9, v11
	v_lshl_add_u32 v8, v8, 23, 0x37800000
	s_delay_alu instid0(VALU_DEP_2) | instskip(NEXT) | instid1(VALU_DEP_1)
	v_lshlrev_b32_e32 v9, 21, v9
	v_or3_b32 v5, v5, v8, v9
	s_delay_alu instid0(VALU_DEP_1)
	v_cvt_f64_f32_e32 v[8:9], v5
.LBB15_1275:
	s_or_b32 exec_lo, exec_lo, s0
	s_mov_b32 s0, 0
	s_branch .LBB15_1279
.LBB15_1276:
                                        ; implicit-def: $vgpr8_vgpr9
	s_mov_b32 s3, 0
	s_branch .LBB15_1285
.LBB15_1277:
	s_mov_b32 s0, -1
                                        ; implicit-def: $vgpr8_vgpr9
	s_branch .LBB15_1282
.LBB15_1278:
	s_mov_b32 s0, -1
                                        ; implicit-def: $vgpr8_vgpr9
.LBB15_1279:
	s_delay_alu instid0(SALU_CYCLE_1)
	s_and_b32 vcc_lo, exec_lo, s0
	s_cbranch_vccz .LBB15_1281
; %bb.1280:
	global_load_u8 v5, v[0:1], off
	s_waitcnt vmcnt(0)
	v_lshlrev_b32_e32 v5, 24, v5
	s_delay_alu instid0(VALU_DEP_1) | instskip(NEXT) | instid1(VALU_DEP_1)
	v_and_b32_e32 v8, 0x7f000000, v5
	v_clz_i32_u32_e32 v9, v8
	v_cmp_ne_u32_e32 vcc_lo, 0, v8
	v_add_nc_u32_e32 v11, 0x1000000, v8
	s_delay_alu instid0(VALU_DEP_3) | instskip(NEXT) | instid1(VALU_DEP_1)
	v_min_u32_e32 v9, 32, v9
	v_sub_nc_u32_e64 v9, v9, 4 clamp
	s_delay_alu instid0(VALU_DEP_1) | instskip(SKIP_1) | instid1(VALU_DEP_2)
	v_lshlrev_b32_e32 v10, v9, v8
	v_lshlrev_b32_e32 v9, 23, v9
	v_lshrrev_b32_e32 v10, 4, v10
	s_delay_alu instid0(VALU_DEP_1) | instskip(SKIP_1) | instid1(VALU_DEP_2)
	v_sub_nc_u32_e32 v9, v10, v9
	v_ashrrev_i32_e32 v10, 8, v11
	v_add_nc_u32_e32 v9, 0x3c000000, v9
	s_delay_alu instid0(VALU_DEP_1) | instskip(NEXT) | instid1(VALU_DEP_1)
	v_and_or_b32 v9, 0x7f800000, v10, v9
	v_cndmask_b32_e32 v8, 0, v9, vcc_lo
	s_delay_alu instid0(VALU_DEP_1) | instskip(NEXT) | instid1(VALU_DEP_1)
	v_and_or_b32 v5, 0x80000000, v5, v8
	v_cvt_f64_f32_e32 v[8:9], v5
.LBB15_1281:
	s_mov_b32 s0, 0
.LBB15_1282:
	s_delay_alu instid0(SALU_CYCLE_1)
	s_and_not1_b32 vcc_lo, exec_lo, s0
	s_cbranch_vccnz .LBB15_1284
; %bb.1283:
	global_load_u8 v5, v[0:1], off
	s_waitcnt vmcnt(0)
	v_lshlrev_b32_e32 v8, 25, v5
	v_lshlrev_b16 v5, 8, v5
	s_delay_alu instid0(VALU_DEP_2) | instskip(NEXT) | instid1(VALU_DEP_2)
	v_lshrrev_b32_e32 v9, 4, v8
	v_and_or_b32 v10, 0x7f00, v5, 0.5
	v_cmp_gt_u32_e32 vcc_lo, 0x8000000, v8
	v_bfe_i32 v5, v5, 0, 16
	s_delay_alu instid0(VALU_DEP_4) | instskip(NEXT) | instid1(VALU_DEP_1)
	v_or_b32_e32 v9, 0x70000000, v9
	v_dual_add_f32 v10, -0.5, v10 :: v_dual_mul_f32 v9, 0x7800000, v9
	s_delay_alu instid0(VALU_DEP_1) | instskip(NEXT) | instid1(VALU_DEP_1)
	v_cndmask_b32_e32 v8, v9, v10, vcc_lo
	v_and_or_b32 v5, 0x80000000, v5, v8
	s_delay_alu instid0(VALU_DEP_1)
	v_cvt_f64_f32_e32 v[8:9], v5
.LBB15_1284:
	s_mov_b32 s0, -1
	s_mov_b32 s3, 0
	s_cbranch_execnz .LBB15_1293
.LBB15_1285:
	v_cmp_lt_i16_e32 vcc_lo, 14, v13
	s_cbranch_vccz .LBB15_1288
; %bb.1286:
	v_cmp_eq_u16_e32 vcc_lo, 15, v13
	s_cbranch_vccz .LBB15_1289
; %bb.1287:
	global_load_u16 v5, v[0:1], off
	s_mov_b32 s2, 0
	s_mov_b32 s0, -1
	s_waitcnt vmcnt(0)
	v_lshlrev_b32_e32 v5, 16, v5
	s_delay_alu instid0(VALU_DEP_1)
	v_cvt_f64_f32_e32 v[8:9], v5
	s_branch .LBB15_1290
.LBB15_1288:
	s_mov_b32 s1, -1
                                        ; implicit-def: $vgpr8_vgpr9
	s_branch .LBB15_1291
.LBB15_1289:
	s_mov_b32 s2, -1
                                        ; implicit-def: $vgpr8_vgpr9
.LBB15_1290:
	s_mov_b32 s1, 0
.LBB15_1291:
	s_delay_alu instid0(SALU_CYCLE_1)
	s_and_b32 vcc_lo, exec_lo, s1
	s_cbranch_vccz .LBB15_1293
; %bb.1292:
	v_cmp_ne_u16_e64 s2, 11, v13
	s_mov_b32 s3, -1
                                        ; implicit-def: $vgpr8_vgpr9
.LBB15_1293:
	s_delay_alu instid0(VALU_DEP_1)
	s_and_b32 vcc_lo, exec_lo, s2
	s_mov_b32 s12, s10
	s_cbranch_vccnz .LBB15_1327
; %bb.1294:
	s_and_not1_b32 vcc_lo, exec_lo, s3
	s_cbranch_vccnz .LBB15_1296
.LBB15_1295:
	global_load_u8 v5, v[0:1], off
	v_mov_b32_e32 v8, 0
	s_mov_b32 s0, -1
	s_waitcnt vmcnt(0)
	v_cmp_ne_u16_e32 vcc_lo, 0, v5
	v_cndmask_b32_e64 v9, 0, 0x3ff00000, vcc_lo
.LBB15_1296:
.LBB15_1297:
	s_and_not1_b32 vcc_lo, exec_lo, s0
                                        ; implicit-def: $vgpr10_vgpr11
	s_cbranch_vccnz .LBB15_1737
.LBB15_1298:
	s_load_b64 s[0:1], s[16:17], 0x160
	s_waitcnt lgkmcnt(0)
	v_trunc_f64_e32 v[0:1], s[0:1]
	v_cmp_class_f64_e64 s0, s[0:1], 0x1f8
	s_delay_alu instid0(VALU_DEP_2) | instskip(NEXT) | instid1(VALU_DEP_2)
	v_ldexp_f64 v[10:11], v[0:1], 0xffffffe0
	s_and_b32 s0, s0, exec_lo
	s_delay_alu instid0(VALU_DEP_1) | instskip(NEXT) | instid1(VALU_DEP_1)
	v_floor_f64_e32 v[10:11], v[10:11]
	v_fma_f64 v[0:1], 0xc1f00000, v[10:11], v[0:1]
	v_cvt_i32_f64_e32 v5, v[10:11]
	s_delay_alu instid0(VALU_DEP_2) | instskip(NEXT) | instid1(VALU_DEP_2)
	v_cvt_u32_f64_e32 v0, v[0:1]
	v_readfirstlane_b32 s1, v5
	s_delay_alu instid0(VALU_DEP_1) | instskip(NEXT) | instid1(VALU_DEP_2)
	s_cselect_b32 s1, s1, -1
	v_readfirstlane_b32 s2, v0
	v_mov_b32_e32 v0, 0
	v_mov_b32_e32 v1, 0
	s_delay_alu instid0(VALU_DEP_3) | instskip(NEXT) | instid1(SALU_CYCLE_1)
	s_cselect_b32 s0, s2, -1
	v_cmp_lt_i64_e64 s2, s[0:1], 0
	v_cmp_gt_i64_e64 s13, s[0:1], -1
	s_delay_alu instid0(VALU_DEP_2)
	s_and_b32 vcc_lo, exec_lo, s2
	s_cbranch_vccnz .LBB15_1308
; %bb.1299:
	v_cmp_lt_i64_e64 s2, s[0:1], 1
	v_mov_b32_e32 v0, 0
	v_mov_b32_e32 v1, 0x3ff00000
	s_delay_alu instid0(VALU_DEP_3)
	s_and_b32 vcc_lo, exec_lo, s2
	s_cbranch_vccnz .LBB15_1308
; %bb.1300:
	s_cmp_lg_u64 s[0:1], 1
	s_cbranch_scc0 .LBB15_1305
; %bb.1301:
	v_cmp_lt_u64_e64 s2, 0x200, s[0:1]
	v_mov_b32_e32 v0, 0
	v_mov_b32_e32 v1, 0x7ff80000
	s_delay_alu instid0(VALU_DEP_3)
	s_and_b32 vcc_lo, exec_lo, s2
	s_cbranch_vccnz .LBB15_1304
; %bb.1302:
	s_waitcnt vmcnt(0)
	v_add_f64 v[10:11], v[8:9], v[8:9]
	v_mov_b32_e32 v15, 0
	v_mov_b32_e32 v16, 0x3ff00000
	s_lshl_b64 s[2:3], s[0:1], 1
	s_mov_b64 s[8:9], 2
	s_delay_alu instid0(VALU_DEP_3)
	v_dual_mov_b32 v0, v10 :: v_dual_mov_b32 v1, v11
	.p2align	6
.LBB15_1303:                            ; =>This Inner Loop Header: Depth=1
	v_cvt_f64_u32_e32 v[17:18], s9
	v_cvt_f64_u32_e32 v[19:20], s8
	s_add_u32 s8, s8, 2
	s_addc_u32 s9, s9, 0
	s_delay_alu instid0(SALU_CYCLE_1) | instskip(NEXT) | instid1(VALU_DEP_1)
	v_cmp_lt_u64_e64 s14, s[8:9], s[2:3]
	s_and_b32 vcc_lo, exec_lo, s14
	s_delay_alu instid0(VALU_DEP_3) | instskip(NEXT) | instid1(VALU_DEP_1)
	v_ldexp_f64 v[17:18], v[17:18], 32
	v_add_f64 v[17:18], v[17:18], v[19:20]
	s_delay_alu instid0(VALU_DEP_1) | instskip(SKIP_1) | instid1(VALU_DEP_1)
	v_mul_f64 v[15:16], v[15:16], v[17:18]
	v_dual_mov_b32 v18, v1 :: v_dual_mov_b32 v17, v0
	v_fma_f64 v[0:1], v[10:11], v[17:18], -v[15:16]
	v_dual_mov_b32 v15, v17 :: v_dual_mov_b32 v16, v18
	s_cbranch_vccnz .LBB15_1303
.LBB15_1304:
	s_mov_b32 s2, 0
	s_branch .LBB15_1306
.LBB15_1305:
	s_mov_b32 s2, -1
                                        ; implicit-def: $vgpr0_vgpr1
.LBB15_1306:
	s_delay_alu instid0(SALU_CYCLE_1)
	s_and_not1_b32 vcc_lo, exec_lo, s2
	s_cbranch_vccnz .LBB15_1308
; %bb.1307:
	s_waitcnt vmcnt(0)
	v_add_f64 v[0:1], v[8:9], v[8:9]
.LBB15_1308:
	v_cmp_gt_i16_e32 vcc_lo, 11, v13
	v_add_co_u32 v4, s2, s6, v4
	s_delay_alu instid0(VALU_DEP_1)
	v_add_co_ci_u32_e64 v5, null, s7, 0, s2
	s_mov_b32 s2, 0
	s_cbranch_vccnz .LBB15_1315
; %bb.1309:
	v_cmp_lt_i16_e32 vcc_lo, 25, v13
	s_mov_b32 s9, 0
	s_cbranch_vccz .LBB15_1321
; %bb.1310:
	v_cmp_lt_i16_e32 vcc_lo, 28, v13
	s_cbranch_vccz .LBB15_1323
; %bb.1311:
	v_cmp_lt_i16_e32 vcc_lo, 43, v13
	;; [unrolled: 3-line block ×3, first 2 shown]
	s_cbranch_vccz .LBB15_1331
; %bb.1313:
	v_cmp_eq_u16_e32 vcc_lo, 46, v13
	s_mov_b32 s3, 0
	s_cbranch_vccz .LBB15_1375
; %bb.1314:
	global_load_b32 v8, v[4:5], off
	s_mov_b32 s8, 0
	s_mov_b32 s2, -1
	s_waitcnt vmcnt(0)
	v_lshlrev_b32_e32 v8, 16, v8
	s_delay_alu instid0(VALU_DEP_1)
	v_cvt_f64_f32_e32 v[8:9], v8
	s_branch .LBB15_1377
.LBB15_1315:
                                        ; implicit-def: $vgpr8_vgpr9
	s_cbranch_execz .LBB15_1442
; %bb.1316:
	v_cmp_gt_i16_e32 vcc_lo, 5, v13
	s_cbranch_vccnz .LBB15_1322
; %bb.1317:
	v_cmp_gt_i16_e32 vcc_lo, 8, v13
	s_cbranch_vccnz .LBB15_1324
; %bb.1318:
	v_cmp_gt_i16_e32 vcc_lo, 9, v13
	s_cbranch_vccnz .LBB15_1326
; %bb.1319:
	v_cmp_lt_i16_e32 vcc_lo, 9, v13
	s_cbranch_vccz .LBB15_1332
; %bb.1320:
	global_load_b64 v[8:9], v[4:5], off
	s_mov_b32 s2, 0
	s_branch .LBB15_1333
.LBB15_1321:
	s_mov_b32 s8, 0
                                        ; implicit-def: $vgpr8_vgpr9
	s_cbranch_execnz .LBB15_1408
	s_branch .LBB15_1438
.LBB15_1322:
                                        ; implicit-def: $vgpr8_vgpr9
	s_branch .LBB15_1351
.LBB15_1323:
	s_mov_b32 s3, -1
	s_mov_b32 s8, 0
                                        ; implicit-def: $vgpr8_vgpr9
	s_branch .LBB15_1387
.LBB15_1324:
	s_mov_b32 s2, -1
                                        ; implicit-def: $vgpr8_vgpr9
	s_branch .LBB15_1339
.LBB15_1325:
	s_mov_b32 s3, -1
	s_mov_b32 s8, 0
                                        ; implicit-def: $vgpr8_vgpr9
	s_branch .LBB15_1382
.LBB15_1326:
	s_mov_b32 s2, -1
                                        ; implicit-def: $vgpr8_vgpr9
	s_branch .LBB15_1336
.LBB15_1327:
	s_cbranch_execnz .LBB15_1371
; %bb.1328:
	s_or_b32 s12, s10, exec_lo
                                        ; implicit-def: $vgpr8_vgpr9
	s_cbranch_execz .LBB15_1295
	s_branch .LBB15_1296
.LBB15_1329:
	s_or_saveexec_b32 s5, s5
                                        ; implicit-def: $sgpr8
	s_delay_alu instid0(SALU_CYCLE_1)
	s_xor_b32 exec_lo, exec_lo, s5
	s_cbranch_execz .LBB15_1027
.LBB15_1330:
	v_add_f32_e64 v3, 0x46000000, |v2|
	s_and_not1_b32 s4, s4, exec_lo
	s_mov_b32 s8, 0
	s_delay_alu instid0(VALU_DEP_1) | instskip(NEXT) | instid1(VALU_DEP_1)
	v_and_b32_e32 v3, 0xff, v3
	v_cmp_ne_u32_e32 vcc_lo, 0, v3
	s_and_b32 s9, vcc_lo, exec_lo
	s_delay_alu instid0(SALU_CYCLE_1)
	s_or_b32 s4, s4, s9
	s_or_b32 exec_lo, exec_lo, s5
	v_mov_b32_e32 v6, s8
	s_and_saveexec_b32 s5, s4
	s_cbranch_execnz .LBB15_1028
	s_branch .LBB15_1029
.LBB15_1331:
	s_mov_b32 s3, -1
	s_mov_b32 s8, 0
	s_branch .LBB15_1376
.LBB15_1332:
	s_mov_b32 s2, -1
                                        ; implicit-def: $vgpr8_vgpr9
.LBB15_1333:
	s_delay_alu instid0(SALU_CYCLE_1)
	s_and_not1_b32 vcc_lo, exec_lo, s2
	s_cbranch_vccnz .LBB15_1335
; %bb.1334:
	global_load_b32 v8, v[4:5], off
	s_waitcnt vmcnt(0)
	v_cvt_f64_f32_e32 v[8:9], v8
.LBB15_1335:
	s_mov_b32 s2, 0
.LBB15_1336:
	s_delay_alu instid0(SALU_CYCLE_1)
	s_and_not1_b32 vcc_lo, exec_lo, s2
	s_cbranch_vccnz .LBB15_1338
; %bb.1337:
	global_load_b32 v8, v[4:5], off
	s_waitcnt vmcnt(0)
	v_cvt_f32_f16_e32 v8, v8
	s_delay_alu instid0(VALU_DEP_1)
	v_cvt_f64_f32_e32 v[8:9], v8
.LBB15_1338:
	s_mov_b32 s2, 0
.LBB15_1339:
	s_delay_alu instid0(SALU_CYCLE_1)
	s_and_not1_b32 vcc_lo, exec_lo, s2
	s_cbranch_vccnz .LBB15_1350
; %bb.1340:
	v_cmp_gt_i16_e32 vcc_lo, 6, v13
	s_cbranch_vccnz .LBB15_1343
; %bb.1341:
	v_cmp_lt_i16_e32 vcc_lo, 6, v13
	s_cbranch_vccz .LBB15_1344
; %bb.1342:
	global_load_b64 v[8:9], v[4:5], off
	s_mov_b32 s2, 0
	s_branch .LBB15_1345
.LBB15_1343:
	s_mov_b32 s2, -1
                                        ; implicit-def: $vgpr8_vgpr9
	s_branch .LBB15_1348
.LBB15_1344:
	s_mov_b32 s2, -1
                                        ; implicit-def: $vgpr8_vgpr9
.LBB15_1345:
	s_delay_alu instid0(SALU_CYCLE_1)
	s_and_not1_b32 vcc_lo, exec_lo, s2
	s_cbranch_vccnz .LBB15_1347
; %bb.1346:
	global_load_b32 v8, v[4:5], off
	s_waitcnt vmcnt(0)
	v_cvt_f64_f32_e32 v[8:9], v8
.LBB15_1347:
	s_mov_b32 s2, 0
.LBB15_1348:
	s_delay_alu instid0(SALU_CYCLE_1)
	s_and_not1_b32 vcc_lo, exec_lo, s2
	s_cbranch_vccnz .LBB15_1350
; %bb.1349:
	global_load_u16 v8, v[4:5], off
	s_waitcnt vmcnt(0)
	v_cvt_f32_f16_e32 v8, v8
	s_delay_alu instid0(VALU_DEP_1)
	v_cvt_f64_f32_e32 v[8:9], v8
.LBB15_1350:
	s_cbranch_execnz .LBB15_1370
.LBB15_1351:
	v_cmp_gt_i16_e32 vcc_lo, 2, v13
	s_cbranch_vccnz .LBB15_1355
; %bb.1352:
	v_cmp_gt_i16_e32 vcc_lo, 3, v13
	s_cbranch_vccnz .LBB15_1356
; %bb.1353:
	v_cmp_lt_i16_e32 vcc_lo, 3, v13
	s_cbranch_vccz .LBB15_1357
; %bb.1354:
	global_load_b64 v[8:9], v[4:5], off
	s_mov_b32 s2, 0
	s_waitcnt vmcnt(0)
	v_cvt_f64_i32_e32 v[9:10], v9
	v_cvt_f64_u32_e32 v[15:16], v8
	s_delay_alu instid0(VALU_DEP_2) | instskip(NEXT) | instid1(VALU_DEP_1)
	v_ldexp_f64 v[9:10], v[9:10], 32
	v_add_f64 v[8:9], v[9:10], v[15:16]
	s_branch .LBB15_1358
.LBB15_1355:
	s_mov_b32 s2, -1
                                        ; implicit-def: $vgpr8_vgpr9
	s_branch .LBB15_1364
.LBB15_1356:
	s_mov_b32 s2, -1
                                        ; implicit-def: $vgpr8_vgpr9
	s_branch .LBB15_1361
.LBB15_1357:
	s_mov_b32 s2, -1
                                        ; implicit-def: $vgpr8_vgpr9
.LBB15_1358:
	s_delay_alu instid0(SALU_CYCLE_1)
	s_and_not1_b32 vcc_lo, exec_lo, s2
	s_cbranch_vccnz .LBB15_1360
; %bb.1359:
	global_load_b32 v8, v[4:5], off
	s_waitcnt vmcnt(0)
	v_cvt_f64_i32_e32 v[8:9], v8
.LBB15_1360:
	s_mov_b32 s2, 0
.LBB15_1361:
	s_delay_alu instid0(SALU_CYCLE_1)
	s_and_not1_b32 vcc_lo, exec_lo, s2
	s_cbranch_vccnz .LBB15_1363
; %bb.1362:
	global_load_i16 v8, v[4:5], off
	s_waitcnt vmcnt(0)
	v_cvt_f64_i32_e32 v[8:9], v8
.LBB15_1363:
	s_mov_b32 s2, 0
.LBB15_1364:
	s_delay_alu instid0(SALU_CYCLE_1)
	s_and_not1_b32 vcc_lo, exec_lo, s2
	s_cbranch_vccnz .LBB15_1370
; %bb.1365:
	v_cmp_lt_i16_e32 vcc_lo, 0, v13
	s_mov_b32 s2, 0
	s_cbranch_vccz .LBB15_1367
; %bb.1366:
	global_load_i8 v8, v[4:5], off
	s_waitcnt vmcnt(0)
	v_cvt_f64_i32_e32 v[8:9], v8
	s_branch .LBB15_1368
.LBB15_1367:
	s_mov_b32 s2, -1
                                        ; implicit-def: $vgpr8_vgpr9
.LBB15_1368:
	s_delay_alu instid0(SALU_CYCLE_1)
	s_and_not1_b32 vcc_lo, exec_lo, s2
	s_cbranch_vccnz .LBB15_1370
; %bb.1369:
	global_load_u8 v4, v[4:5], off
	s_waitcnt vmcnt(0)
	v_cvt_f64_u32_e32 v[8:9], v4
.LBB15_1370:
	s_branch .LBB15_1443
.LBB15_1371:
	s_trap 2
	s_sendmsg_rtn_b32 s0, sendmsg(MSG_RTN_GET_DOORBELL)
	s_mov_b32 ttmp2, m0
	s_waitcnt lgkmcnt(0)
	s_and_b32 s0, s0, 0x3ff
	s_delay_alu instid0(SALU_CYCLE_1) | instskip(NEXT) | instid1(SALU_CYCLE_1)
	s_bitset1_b32 s0, 10
	s_mov_b32 m0, s0
	s_sendmsg sendmsg(MSG_INTERRUPT)
	s_mov_b32 m0, ttmp2
.LBB15_1372:                            ; =>This Inner Loop Header: Depth=1
	s_sethalt 5
	s_branch .LBB15_1372
.LBB15_1373:
	s_or_saveexec_b32 s8, s8
                                        ; implicit-def: $sgpr9
	s_delay_alu instid0(SALU_CYCLE_1)
	s_xor_b32 exec_lo, exec_lo, s8
	s_cbranch_execz .LBB15_1039
.LBB15_1374:
	v_add_f32_e64 v3, 0x42800000, |v2|
	s_and_not1_b32 s5, s5, exec_lo
	s_mov_b32 s9, 0
	s_delay_alu instid0(VALU_DEP_1) | instskip(NEXT) | instid1(VALU_DEP_1)
	v_and_b32_e32 v3, 0xff, v3
	v_cmp_ne_u32_e32 vcc_lo, 0, v3
	s_and_b32 s10, vcc_lo, exec_lo
	s_delay_alu instid0(SALU_CYCLE_1)
	s_or_b32 s5, s5, s10
	s_or_b32 exec_lo, exec_lo, s8
	v_mov_b32_e32 v6, s9
	s_and_saveexec_b32 s8, s5
	s_cbranch_execnz .LBB15_1040
	s_branch .LBB15_1041
.LBB15_1375:
	s_mov_b32 s8, -1
.LBB15_1376:
                                        ; implicit-def: $vgpr8_vgpr9
.LBB15_1377:
	s_and_b32 vcc_lo, exec_lo, s3
	s_cbranch_vccz .LBB15_1381
; %bb.1378:
	v_cmp_eq_u16_e32 vcc_lo, 44, v13
	s_cbranch_vccz .LBB15_1380
; %bb.1379:
	global_load_u8 v10, v[4:5], off
	s_mov_b32 s8, 0
	s_mov_b32 s2, -1
	s_waitcnt vmcnt(0)
	v_cmp_ne_u32_e32 vcc_lo, 0xff, v10
	v_lshlrev_b32_e32 v8, 23, v10
	s_delay_alu instid0(VALU_DEP_1) | instskip(NEXT) | instid1(VALU_DEP_1)
	v_cvt_f64_f32_e32 v[8:9], v8
	v_cndmask_b32_e32 v9, 0x7ff80000, v9, vcc_lo
	s_delay_alu instid0(VALU_DEP_2) | instskip(SKIP_1) | instid1(VALU_DEP_3)
	v_cndmask_b32_e32 v8, 0x20000000, v8, vcc_lo
	v_cmp_ne_u32_e32 vcc_lo, 0, v10
	v_cndmask_b32_e32 v9, 0x38000000, v9, vcc_lo
	s_delay_alu instid0(VALU_DEP_3)
	v_cndmask_b32_e32 v8, 0, v8, vcc_lo
	s_branch .LBB15_1381
.LBB15_1380:
	s_mov_b32 s8, -1
                                        ; implicit-def: $vgpr8_vgpr9
.LBB15_1381:
	s_mov_b32 s3, 0
.LBB15_1382:
	s_delay_alu instid0(SALU_CYCLE_1)
	s_and_b32 vcc_lo, exec_lo, s3
	s_cbranch_vccz .LBB15_1386
; %bb.1383:
	v_cmp_eq_u16_e32 vcc_lo, 29, v13
	s_cbranch_vccz .LBB15_1385
; %bb.1384:
	global_load_b64 v[8:9], v[4:5], off
	s_mov_b32 s8, 0
	s_mov_b32 s2, -1
	s_mov_b32 s3, 0
	s_waitcnt vmcnt(0)
	v_cvt_f64_u32_e32 v[9:10], v9
	v_cvt_f64_u32_e32 v[15:16], v8
	s_delay_alu instid0(VALU_DEP_2) | instskip(NEXT) | instid1(VALU_DEP_1)
	v_ldexp_f64 v[9:10], v[9:10], 32
	v_add_f64 v[8:9], v[9:10], v[15:16]
	s_branch .LBB15_1387
.LBB15_1385:
	s_mov_b32 s8, -1
                                        ; implicit-def: $vgpr8_vgpr9
.LBB15_1386:
	s_mov_b32 s3, 0
.LBB15_1387:
	s_delay_alu instid0(SALU_CYCLE_1)
	s_and_b32 vcc_lo, exec_lo, s3
	s_cbranch_vccz .LBB15_1407
; %bb.1388:
	v_cmp_gt_i16_e32 vcc_lo, 27, v13
	s_cbranch_vccnz .LBB15_1391
; %bb.1389:
	v_cmp_lt_i16_e32 vcc_lo, 27, v13
	s_cbranch_vccz .LBB15_1392
; %bb.1390:
	global_load_b32 v8, v[4:5], off
	s_mov_b32 s2, 0
	s_waitcnt vmcnt(0)
	v_cvt_f64_u32_e32 v[8:9], v8
	s_branch .LBB15_1393
.LBB15_1391:
	s_mov_b32 s2, -1
                                        ; implicit-def: $vgpr8_vgpr9
	s_branch .LBB15_1396
.LBB15_1392:
	s_mov_b32 s2, -1
                                        ; implicit-def: $vgpr8_vgpr9
.LBB15_1393:
	s_delay_alu instid0(SALU_CYCLE_1)
	s_and_not1_b32 vcc_lo, exec_lo, s2
	s_cbranch_vccnz .LBB15_1395
; %bb.1394:
	global_load_u16 v8, v[4:5], off
	s_waitcnt vmcnt(0)
	v_cvt_f64_u32_e32 v[8:9], v8
.LBB15_1395:
	s_mov_b32 s2, 0
.LBB15_1396:
	s_delay_alu instid0(SALU_CYCLE_1)
	s_and_not1_b32 vcc_lo, exec_lo, s2
	s_cbranch_vccnz .LBB15_1406
; %bb.1397:
	global_load_u8 v10, v[4:5], off
	s_mov_b32 s14, 0
	s_mov_b32 s15, exec_lo
                                        ; implicit-def: $sgpr2_sgpr3
	s_waitcnt vmcnt(0)
	v_cmpx_lt_i16_e32 0x7f, v10
	s_xor_b32 s15, exec_lo, s15
	s_cbranch_execz .LBB15_1401
; %bb.1398:
	s_mov_b32 s18, -1
	s_mov_b32 s14, exec_lo
                                        ; implicit-def: $sgpr2_sgpr3
	v_cmpx_eq_u16_e32 0x80, v10
; %bb.1399:
	s_mov_b32 s3, 0x7ff80000
	s_brev_b32 s2, 4
	s_xor_b32 s18, exec_lo, -1
; %bb.1400:
	s_or_b32 exec_lo, exec_lo, s14
	s_delay_alu instid0(SALU_CYCLE_1)
	s_and_b32 s14, s18, exec_lo
.LBB15_1401:
	s_or_saveexec_b32 s15, s15
	v_dual_mov_b32 v9, s3 :: v_dual_mov_b32 v8, s2
	s_xor_b32 exec_lo, exec_lo, s15
; %bb.1402:
	v_cmp_ne_u16_e32 vcc_lo, 0, v10
	v_mov_b32_e32 v8, 0
	v_mov_b32_e32 v9, 0
	s_and_not1_b32 s2, s14, exec_lo
	s_and_b32 s3, vcc_lo, exec_lo
	s_delay_alu instid0(SALU_CYCLE_1)
	s_or_b32 s14, s2, s3
; %bb.1403:
	s_or_b32 exec_lo, exec_lo, s15
	s_and_saveexec_b32 s2, s14
	s_cbranch_execz .LBB15_1405
; %bb.1404:
	v_and_b32_e32 v8, 0xffff, v10
	v_lshlrev_b32_e32 v10, 24, v10
	s_delay_alu instid0(VALU_DEP_2) | instskip(NEXT) | instid1(VALU_DEP_2)
	v_and_b32_e32 v9, 7, v8
	v_and_b32_e32 v10, 0x80000000, v10
	s_delay_alu instid0(VALU_DEP_2) | instskip(NEXT) | instid1(VALU_DEP_1)
	v_clz_i32_u32_e32 v11, v9
	v_min_u32_e32 v11, 32, v11
	s_delay_alu instid0(VALU_DEP_1) | instskip(SKIP_1) | instid1(VALU_DEP_2)
	v_subrev_nc_u32_e32 v15, 28, v11
	v_sub_nc_u32_e32 v11, 29, v11
	v_lshlrev_b32_e32 v15, v15, v8
	v_bfe_u32 v8, v8, 3, 4
	s_delay_alu instid0(VALU_DEP_2) | instskip(NEXT) | instid1(VALU_DEP_2)
	v_and_b32_e32 v15, 7, v15
	v_cmp_eq_u32_e32 vcc_lo, 0, v8
	v_cndmask_b32_e32 v8, v8, v11, vcc_lo
	s_delay_alu instid0(VALU_DEP_3) | instskip(NEXT) | instid1(VALU_DEP_2)
	v_cndmask_b32_e32 v9, v9, v15, vcc_lo
	v_lshl_add_u32 v8, v8, 23, 0x3b800000
	s_delay_alu instid0(VALU_DEP_2) | instskip(NEXT) | instid1(VALU_DEP_1)
	v_lshlrev_b32_e32 v9, 20, v9
	v_or3_b32 v8, v10, v8, v9
	s_delay_alu instid0(VALU_DEP_1)
	v_cvt_f64_f32_e32 v[8:9], v8
.LBB15_1405:
	s_or_b32 exec_lo, exec_lo, s2
.LBB15_1406:
	s_mov_b32 s2, -1
.LBB15_1407:
	s_branch .LBB15_1438
.LBB15_1408:
	v_cmp_lt_i16_e32 vcc_lo, 22, v13
	s_cbranch_vccz .LBB15_1420
; %bb.1409:
	v_cmp_gt_i16_e32 vcc_lo, 24, v13
	s_cbranch_vccnz .LBB15_1421
; %bb.1410:
	v_cmp_lt_i16_e32 vcc_lo, 24, v13
	s_cbranch_vccz .LBB15_1422
; %bb.1411:
	global_load_u8 v10, v[4:5], off
	s_mov_b32 s14, exec_lo
                                        ; implicit-def: $sgpr2_sgpr3
	s_waitcnt vmcnt(0)
	v_cmpx_lt_i16_e32 0x7f, v10
	s_xor_b32 s14, exec_lo, s14
	s_cbranch_execz .LBB15_1415
; %bb.1412:
	s_mov_b32 s15, -1
	s_mov_b32 s9, exec_lo
                                        ; implicit-def: $sgpr2_sgpr3
	v_cmpx_eq_u16_e32 0x80, v10
; %bb.1413:
	s_mov_b32 s3, 0x7ff80000
	s_brev_b32 s2, 4
	s_xor_b32 s15, exec_lo, -1
; %bb.1414:
	s_or_b32 exec_lo, exec_lo, s9
	s_delay_alu instid0(SALU_CYCLE_1)
	s_and_b32 s9, s15, exec_lo
.LBB15_1415:
	s_or_saveexec_b32 s14, s14
	v_dual_mov_b32 v9, s3 :: v_dual_mov_b32 v8, s2
	s_xor_b32 exec_lo, exec_lo, s14
; %bb.1416:
	v_cmp_ne_u16_e32 vcc_lo, 0, v10
	v_mov_b32_e32 v8, 0
	v_mov_b32_e32 v9, 0
	s_and_not1_b32 s2, s9, exec_lo
	s_and_b32 s3, vcc_lo, exec_lo
	s_delay_alu instid0(SALU_CYCLE_1)
	s_or_b32 s9, s2, s3
; %bb.1417:
	s_or_b32 exec_lo, exec_lo, s14
	s_and_saveexec_b32 s2, s9
	s_cbranch_execz .LBB15_1419
; %bb.1418:
	v_and_b32_e32 v8, 0xffff, v10
	v_lshlrev_b32_e32 v10, 24, v10
	s_delay_alu instid0(VALU_DEP_2) | instskip(NEXT) | instid1(VALU_DEP_2)
	v_and_b32_e32 v9, 3, v8
	v_and_b32_e32 v10, 0x80000000, v10
	s_delay_alu instid0(VALU_DEP_2) | instskip(NEXT) | instid1(VALU_DEP_1)
	v_clz_i32_u32_e32 v11, v9
	v_min_u32_e32 v11, 32, v11
	s_delay_alu instid0(VALU_DEP_1) | instskip(SKIP_1) | instid1(VALU_DEP_2)
	v_subrev_nc_u32_e32 v15, 29, v11
	v_sub_nc_u32_e32 v11, 30, v11
	v_lshlrev_b32_e32 v15, v15, v8
	v_bfe_u32 v8, v8, 2, 5
	s_delay_alu instid0(VALU_DEP_2) | instskip(NEXT) | instid1(VALU_DEP_2)
	v_and_b32_e32 v15, 3, v15
	v_cmp_eq_u32_e32 vcc_lo, 0, v8
	v_cndmask_b32_e32 v8, v8, v11, vcc_lo
	s_delay_alu instid0(VALU_DEP_3) | instskip(NEXT) | instid1(VALU_DEP_2)
	v_cndmask_b32_e32 v9, v9, v15, vcc_lo
	v_lshl_add_u32 v8, v8, 23, 0x37800000
	s_delay_alu instid0(VALU_DEP_2) | instskip(NEXT) | instid1(VALU_DEP_1)
	v_lshlrev_b32_e32 v9, 21, v9
	v_or3_b32 v8, v10, v8, v9
	s_delay_alu instid0(VALU_DEP_1)
	v_cvt_f64_f32_e32 v[8:9], v8
.LBB15_1419:
	s_or_b32 exec_lo, exec_lo, s2
	s_mov_b32 s2, 0
	s_branch .LBB15_1423
.LBB15_1420:
	s_mov_b32 s3, -1
                                        ; implicit-def: $vgpr8_vgpr9
	s_branch .LBB15_1429
.LBB15_1421:
	s_mov_b32 s2, -1
                                        ; implicit-def: $vgpr8_vgpr9
	s_branch .LBB15_1426
.LBB15_1422:
	s_mov_b32 s2, -1
                                        ; implicit-def: $vgpr8_vgpr9
.LBB15_1423:
	s_delay_alu instid0(SALU_CYCLE_1)
	s_and_b32 vcc_lo, exec_lo, s2
	s_cbranch_vccz .LBB15_1425
; %bb.1424:
	global_load_u8 v8, v[4:5], off
	s_waitcnt vmcnt(0)
	v_lshlrev_b32_e32 v8, 24, v8
	s_delay_alu instid0(VALU_DEP_1) | instskip(NEXT) | instid1(VALU_DEP_1)
	v_and_b32_e32 v9, 0x7f000000, v8
	v_clz_i32_u32_e32 v10, v9
	v_add_nc_u32_e32 v15, 0x1000000, v9
	v_cmp_ne_u32_e32 vcc_lo, 0, v9
	s_delay_alu instid0(VALU_DEP_3) | instskip(NEXT) | instid1(VALU_DEP_1)
	v_min_u32_e32 v10, 32, v10
	v_sub_nc_u32_e64 v10, v10, 4 clamp
	s_delay_alu instid0(VALU_DEP_1) | instskip(SKIP_1) | instid1(VALU_DEP_2)
	v_lshlrev_b32_e32 v11, v10, v9
	v_lshlrev_b32_e32 v10, 23, v10
	v_lshrrev_b32_e32 v11, 4, v11
	s_delay_alu instid0(VALU_DEP_1) | instskip(SKIP_1) | instid1(VALU_DEP_2)
	v_sub_nc_u32_e32 v10, v11, v10
	v_ashrrev_i32_e32 v11, 8, v15
	v_add_nc_u32_e32 v10, 0x3c000000, v10
	s_delay_alu instid0(VALU_DEP_1) | instskip(NEXT) | instid1(VALU_DEP_1)
	v_and_or_b32 v10, 0x7f800000, v11, v10
	v_cndmask_b32_e32 v9, 0, v10, vcc_lo
	s_delay_alu instid0(VALU_DEP_1) | instskip(NEXT) | instid1(VALU_DEP_1)
	v_and_or_b32 v8, 0x80000000, v8, v9
	v_cvt_f64_f32_e32 v[8:9], v8
.LBB15_1425:
	s_mov_b32 s2, 0
.LBB15_1426:
	s_delay_alu instid0(SALU_CYCLE_1)
	s_and_not1_b32 vcc_lo, exec_lo, s2
	s_cbranch_vccnz .LBB15_1428
; %bb.1427:
	global_load_u8 v8, v[4:5], off
	s_waitcnt vmcnt(0)
	v_lshlrev_b32_e32 v9, 25, v8
	v_lshlrev_b16 v8, 8, v8
	s_delay_alu instid0(VALU_DEP_2) | instskip(NEXT) | instid1(VALU_DEP_2)
	v_lshrrev_b32_e32 v10, 4, v9
	v_and_or_b32 v11, 0x7f00, v8, 0.5
	v_bfe_i32 v8, v8, 0, 16
	s_delay_alu instid0(VALU_DEP_3) | instskip(NEXT) | instid1(VALU_DEP_1)
	v_or_b32_e32 v10, 0x70000000, v10
	v_dual_add_f32 v11, -0.5, v11 :: v_dual_mul_f32 v10, 0x7800000, v10
	v_cmp_gt_u32_e32 vcc_lo, 0x8000000, v9
	s_delay_alu instid0(VALU_DEP_2) | instskip(NEXT) | instid1(VALU_DEP_1)
	v_cndmask_b32_e32 v9, v10, v11, vcc_lo
	v_and_or_b32 v8, 0x80000000, v8, v9
	s_delay_alu instid0(VALU_DEP_1)
	v_cvt_f64_f32_e32 v[8:9], v8
.LBB15_1428:
	s_mov_b32 s3, 0
	s_mov_b32 s2, -1
.LBB15_1429:
	s_and_not1_b32 vcc_lo, exec_lo, s3
	s_mov_b32 s9, 0
	s_cbranch_vccnz .LBB15_1438
; %bb.1430:
	v_cmp_lt_i16_e32 vcc_lo, 14, v13
	s_cbranch_vccz .LBB15_1433
; %bb.1431:
	v_cmp_eq_u16_e32 vcc_lo, 15, v13
	s_cbranch_vccz .LBB15_1434
; %bb.1432:
	global_load_u16 v8, v[4:5], off
	s_mov_b32 s8, 0
	s_mov_b32 s2, -1
	s_waitcnt vmcnt(0)
	v_lshlrev_b32_e32 v8, 16, v8
	s_delay_alu instid0(VALU_DEP_1)
	v_cvt_f64_f32_e32 v[8:9], v8
	s_branch .LBB15_1435
.LBB15_1433:
	s_mov_b32 s3, -1
                                        ; implicit-def: $vgpr8_vgpr9
	s_branch .LBB15_1436
.LBB15_1434:
	s_mov_b32 s8, -1
                                        ; implicit-def: $vgpr8_vgpr9
.LBB15_1435:
	s_mov_b32 s3, 0
.LBB15_1436:
	s_delay_alu instid0(SALU_CYCLE_1)
	s_and_b32 vcc_lo, exec_lo, s3
	s_cbranch_vccz .LBB15_1438
; %bb.1437:
	v_cmp_ne_u16_e64 s8, 11, v13
	s_mov_b32 s9, -1
                                        ; implicit-def: $vgpr8_vgpr9
.LBB15_1438:
	s_delay_alu instid0(VALU_DEP_1)
	s_and_b32 vcc_lo, exec_lo, s8
	s_cbranch_vccnz .LBB15_1472
; %bb.1439:
	s_and_not1_b32 vcc_lo, exec_lo, s9
	s_cbranch_vccnz .LBB15_1441
.LBB15_1440:
	global_load_u8 v8, v[4:5], off
	s_mov_b32 s2, -1
	s_waitcnt vmcnt(0)
	v_cmp_ne_u16_e32 vcc_lo, 0, v8
	v_mov_b32_e32 v8, 0
	v_cndmask_b32_e64 v9, 0, 0x3ff00000, vcc_lo
.LBB15_1441:
.LBB15_1442:
	s_and_not1_b32 vcc_lo, exec_lo, s2
	s_cbranch_vccnz .LBB15_1737
.LBB15_1443:
	v_mov_b32_e32 v4, 0
	v_cndmask_b32_e64 v19, 0, 1, s13
	v_mov_b32_e32 v5, 0
	s_and_not1_b32 vcc_lo, exec_lo, s13
	s_cbranch_vccnz .LBB15_1453
; %bb.1444:
	v_cmp_lt_i64_e64 s2, s[0:1], 1
	v_mov_b32_e32 v4, 0
	v_mov_b32_e32 v5, 0x3ff00000
	s_delay_alu instid0(VALU_DEP_3)
	s_and_b32 vcc_lo, exec_lo, s2
	s_cbranch_vccnz .LBB15_1453
; %bb.1445:
	s_cmp_lg_u64 s[0:1], 1
	s_cbranch_scc0 .LBB15_1450
; %bb.1446:
	v_cmp_lt_u64_e64 s2, 0x200, s[0:1]
	v_mov_b32_e32 v4, 0
	v_mov_b32_e32 v5, 0x7ff80000
	s_delay_alu instid0(VALU_DEP_3)
	s_and_b32 vcc_lo, exec_lo, s2
	s_cbranch_vccnz .LBB15_1449
; %bb.1447:
	s_waitcnt vmcnt(0)
	v_add_f64 v[10:11], v[8:9], v[8:9]
	v_mov_b32_e32 v15, 0
	v_mov_b32_e32 v16, 0x3ff00000
	s_lshl_b64 s[2:3], s[0:1], 1
	s_mov_b64 s[8:9], 2
	s_delay_alu instid0(VALU_DEP_3)
	v_dual_mov_b32 v4, v10 :: v_dual_mov_b32 v5, v11
	.p2align	6
.LBB15_1448:                            ; =>This Inner Loop Header: Depth=1
	v_cvt_f64_u32_e32 v[17:18], s9
	v_cvt_f64_u32_e32 v[20:21], s8
	s_add_u32 s8, s8, 2
	s_addc_u32 s9, s9, 0
	s_delay_alu instid0(SALU_CYCLE_1) | instskip(NEXT) | instid1(VALU_DEP_1)
	v_cmp_lt_u64_e64 s13, s[8:9], s[2:3]
	s_and_b32 vcc_lo, exec_lo, s13
	s_delay_alu instid0(VALU_DEP_3) | instskip(NEXT) | instid1(VALU_DEP_1)
	v_ldexp_f64 v[17:18], v[17:18], 32
	v_add_f64 v[17:18], v[17:18], v[20:21]
	s_delay_alu instid0(VALU_DEP_1) | instskip(SKIP_1) | instid1(VALU_DEP_1)
	v_mul_f64 v[15:16], v[15:16], v[17:18]
	v_dual_mov_b32 v18, v5 :: v_dual_mov_b32 v17, v4
	v_fma_f64 v[4:5], v[10:11], v[17:18], -v[15:16]
	v_dual_mov_b32 v15, v17 :: v_dual_mov_b32 v16, v18
	s_cbranch_vccnz .LBB15_1448
.LBB15_1449:
	s_mov_b32 s2, 0
	s_branch .LBB15_1451
.LBB15_1450:
	s_mov_b32 s2, -1
                                        ; implicit-def: $vgpr4_vgpr5
.LBB15_1451:
	s_delay_alu instid0(SALU_CYCLE_1)
	s_and_not1_b32 vcc_lo, exec_lo, s2
	s_cbranch_vccnz .LBB15_1453
; %bb.1452:
	s_waitcnt vmcnt(0)
	v_add_f64 v[4:5], v[8:9], v[8:9]
.LBB15_1453:
	v_cmp_gt_i16_e32 vcc_lo, 11, v13
	v_add_co_u32 v7, s2, s6, v7
	s_waitcnt vmcnt(0)
	v_add_co_ci_u32_e64 v8, null, s7, 0, s2
	s_mov_b32 s2, 0
	s_cbranch_vccnz .LBB15_1460
; %bb.1454:
	v_cmp_lt_i16_e32 vcc_lo, 25, v13
	s_mov_b32 s9, 0
	s_cbranch_vccz .LBB15_1466
; %bb.1455:
	v_cmp_lt_i16_e32 vcc_lo, 28, v13
	s_cbranch_vccz .LBB15_1468
; %bb.1456:
	v_cmp_lt_i16_e32 vcc_lo, 43, v13
	;; [unrolled: 3-line block ×3, first 2 shown]
	s_cbranch_vccz .LBB15_1474
; %bb.1458:
	v_cmp_eq_u16_e32 vcc_lo, 46, v13
	s_mov_b32 s3, 0
	s_cbranch_vccz .LBB15_1517
; %bb.1459:
	global_load_b32 v9, v[7:8], off
	s_mov_b32 s8, 0
	s_mov_b32 s2, -1
	s_waitcnt vmcnt(0)
	v_lshlrev_b32_e32 v9, 16, v9
	s_delay_alu instid0(VALU_DEP_1)
	v_cvt_f64_f32_e32 v[15:16], v9
	s_branch .LBB15_1519
.LBB15_1460:
                                        ; implicit-def: $vgpr15_vgpr16
	s_cbranch_execz .LBB15_1585
; %bb.1461:
	v_cmp_gt_i16_e32 vcc_lo, 5, v13
	s_cbranch_vccnz .LBB15_1467
; %bb.1462:
	v_cmp_gt_i16_e32 vcc_lo, 8, v13
	s_cbranch_vccnz .LBB15_1469
	;; [unrolled: 3-line block ×3, first 2 shown]
; %bb.1464:
	v_cmp_lt_i16_e32 vcc_lo, 9, v13
	s_cbranch_vccz .LBB15_1475
; %bb.1465:
	global_load_b64 v[15:16], v[7:8], off
	s_mov_b32 s2, 0
	s_branch .LBB15_1476
.LBB15_1466:
	s_mov_b32 s3, -1
	s_mov_b32 s8, 0
                                        ; implicit-def: $vgpr15_vgpr16
	s_branch .LBB15_1550
.LBB15_1467:
	s_mov_b32 s2, -1
                                        ; implicit-def: $vgpr15_vgpr16
	s_branch .LBB15_1494
.LBB15_1468:
	s_mov_b32 s3, -1
	s_mov_b32 s8, 0
                                        ; implicit-def: $vgpr15_vgpr16
	s_branch .LBB15_1529
.LBB15_1469:
	s_mov_b32 s2, -1
                                        ; implicit-def: $vgpr15_vgpr16
	s_branch .LBB15_1482
.LBB15_1470:
	s_mov_b32 s3, -1
	s_mov_b32 s8, 0
                                        ; implicit-def: $vgpr15_vgpr16
	s_branch .LBB15_1524
.LBB15_1471:
	s_mov_b32 s2, -1
                                        ; implicit-def: $vgpr15_vgpr16
	s_branch .LBB15_1479
.LBB15_1472:
	s_cbranch_execnz .LBB15_1515
; %bb.1473:
	s_or_b32 s12, s12, exec_lo
                                        ; implicit-def: $vgpr8_vgpr9
	s_cbranch_execz .LBB15_1440
	s_branch .LBB15_1441
.LBB15_1474:
	s_mov_b32 s3, -1
	s_mov_b32 s8, 0
	s_branch .LBB15_1518
.LBB15_1475:
	s_mov_b32 s2, -1
                                        ; implicit-def: $vgpr15_vgpr16
.LBB15_1476:
	s_delay_alu instid0(SALU_CYCLE_1)
	s_and_not1_b32 vcc_lo, exec_lo, s2
	s_cbranch_vccnz .LBB15_1478
; %bb.1477:
	global_load_b32 v9, v[7:8], off
	s_waitcnt vmcnt(0)
	v_cvt_f64_f32_e32 v[15:16], v9
.LBB15_1478:
	s_mov_b32 s2, 0
.LBB15_1479:
	s_delay_alu instid0(SALU_CYCLE_1)
	s_and_not1_b32 vcc_lo, exec_lo, s2
	s_cbranch_vccnz .LBB15_1481
; %bb.1480:
	global_load_b32 v9, v[7:8], off
	s_waitcnt vmcnt(0)
	v_cvt_f32_f16_e32 v9, v9
	s_delay_alu instid0(VALU_DEP_1)
	v_cvt_f64_f32_e32 v[15:16], v9
.LBB15_1481:
	s_mov_b32 s2, 0
.LBB15_1482:
	s_delay_alu instid0(SALU_CYCLE_1)
	s_and_not1_b32 vcc_lo, exec_lo, s2
	s_cbranch_vccnz .LBB15_1493
; %bb.1483:
	v_cmp_gt_i16_e32 vcc_lo, 6, v13
	s_cbranch_vccnz .LBB15_1486
; %bb.1484:
	v_cmp_lt_i16_e32 vcc_lo, 6, v13
	s_cbranch_vccz .LBB15_1487
; %bb.1485:
	global_load_b64 v[15:16], v[7:8], off
	s_mov_b32 s2, 0
	s_branch .LBB15_1488
.LBB15_1486:
	s_mov_b32 s2, -1
                                        ; implicit-def: $vgpr15_vgpr16
	s_branch .LBB15_1491
.LBB15_1487:
	s_mov_b32 s2, -1
                                        ; implicit-def: $vgpr15_vgpr16
.LBB15_1488:
	s_delay_alu instid0(SALU_CYCLE_1)
	s_and_not1_b32 vcc_lo, exec_lo, s2
	s_cbranch_vccnz .LBB15_1490
; %bb.1489:
	global_load_b32 v9, v[7:8], off
	s_waitcnt vmcnt(0)
	v_cvt_f64_f32_e32 v[15:16], v9
.LBB15_1490:
	s_mov_b32 s2, 0
.LBB15_1491:
	s_delay_alu instid0(SALU_CYCLE_1)
	s_and_not1_b32 vcc_lo, exec_lo, s2
	s_cbranch_vccnz .LBB15_1493
; %bb.1492:
	global_load_u16 v9, v[7:8], off
	s_waitcnt vmcnt(0)
	v_cvt_f32_f16_e32 v9, v9
	s_delay_alu instid0(VALU_DEP_1)
	v_cvt_f64_f32_e32 v[15:16], v9
.LBB15_1493:
	s_mov_b32 s2, 0
.LBB15_1494:
	s_delay_alu instid0(SALU_CYCLE_1)
	s_and_not1_b32 vcc_lo, exec_lo, s2
	s_cbranch_vccnz .LBB15_1514
; %bb.1495:
	v_cmp_gt_i16_e32 vcc_lo, 2, v13
	s_cbranch_vccnz .LBB15_1499
; %bb.1496:
	v_cmp_gt_i16_e32 vcc_lo, 3, v13
	s_cbranch_vccnz .LBB15_1500
; %bb.1497:
	v_cmp_lt_i16_e32 vcc_lo, 3, v13
	s_cbranch_vccz .LBB15_1501
; %bb.1498:
	global_load_b64 v[9:10], v[7:8], off
	s_mov_b32 s2, 0
	s_waitcnt vmcnt(0)
	v_cvt_f64_i32_e32 v[10:11], v10
	v_cvt_f64_u32_e32 v[15:16], v9
	s_delay_alu instid0(VALU_DEP_2) | instskip(NEXT) | instid1(VALU_DEP_1)
	v_ldexp_f64 v[10:11], v[10:11], 32
	v_add_f64 v[15:16], v[10:11], v[15:16]
	s_branch .LBB15_1502
.LBB15_1499:
	s_mov_b32 s2, -1
                                        ; implicit-def: $vgpr15_vgpr16
	s_branch .LBB15_1508
.LBB15_1500:
	s_mov_b32 s2, -1
                                        ; implicit-def: $vgpr15_vgpr16
	s_branch .LBB15_1505
.LBB15_1501:
	s_mov_b32 s2, -1
                                        ; implicit-def: $vgpr15_vgpr16
.LBB15_1502:
	s_delay_alu instid0(SALU_CYCLE_1)
	s_and_not1_b32 vcc_lo, exec_lo, s2
	s_cbranch_vccnz .LBB15_1504
; %bb.1503:
	global_load_b32 v9, v[7:8], off
	s_waitcnt vmcnt(0)
	v_cvt_f64_i32_e32 v[15:16], v9
.LBB15_1504:
	s_mov_b32 s2, 0
.LBB15_1505:
	s_delay_alu instid0(SALU_CYCLE_1)
	s_and_not1_b32 vcc_lo, exec_lo, s2
	s_cbranch_vccnz .LBB15_1507
; %bb.1506:
	global_load_i16 v9, v[7:8], off
	s_waitcnt vmcnt(0)
	v_cvt_f64_i32_e32 v[15:16], v9
.LBB15_1507:
	s_mov_b32 s2, 0
.LBB15_1508:
	s_delay_alu instid0(SALU_CYCLE_1)
	s_and_not1_b32 vcc_lo, exec_lo, s2
	s_cbranch_vccnz .LBB15_1514
; %bb.1509:
	v_cmp_lt_i16_e32 vcc_lo, 0, v13
	s_mov_b32 s2, 0
	s_cbranch_vccz .LBB15_1511
; %bb.1510:
	global_load_i8 v9, v[7:8], off
	s_waitcnt vmcnt(0)
	v_cvt_f64_i32_e32 v[15:16], v9
	s_branch .LBB15_1512
.LBB15_1511:
	s_mov_b32 s2, -1
                                        ; implicit-def: $vgpr15_vgpr16
.LBB15_1512:
	s_delay_alu instid0(SALU_CYCLE_1)
	s_and_not1_b32 vcc_lo, exec_lo, s2
	s_cbranch_vccnz .LBB15_1514
; %bb.1513:
	global_load_u8 v7, v[7:8], off
	s_waitcnt vmcnt(0)
	v_cvt_f64_u32_e32 v[15:16], v7
.LBB15_1514:
	s_branch .LBB15_1586
.LBB15_1515:
	s_trap 2
	s_sendmsg_rtn_b32 s0, sendmsg(MSG_RTN_GET_DOORBELL)
	s_mov_b32 ttmp2, m0
	s_waitcnt lgkmcnt(0)
	s_and_b32 s0, s0, 0x3ff
	s_delay_alu instid0(SALU_CYCLE_1) | instskip(NEXT) | instid1(SALU_CYCLE_1)
	s_bitset1_b32 s0, 10
	s_mov_b32 m0, s0
	s_sendmsg sendmsg(MSG_INTERRUPT)
	s_mov_b32 m0, ttmp2
.LBB15_1516:                            ; =>This Inner Loop Header: Depth=1
	s_sethalt 5
	s_branch .LBB15_1516
.LBB15_1517:
	s_mov_b32 s8, -1
.LBB15_1518:
                                        ; implicit-def: $vgpr15_vgpr16
.LBB15_1519:
	s_and_b32 vcc_lo, exec_lo, s3
	s_cbranch_vccz .LBB15_1523
; %bb.1520:
	v_cmp_eq_u16_e32 vcc_lo, 44, v13
	s_cbranch_vccz .LBB15_1522
; %bb.1521:
	global_load_u8 v11, v[7:8], off
	s_mov_b32 s8, 0
	s_mov_b32 s2, -1
	s_waitcnt vmcnt(0)
	v_cmp_ne_u32_e32 vcc_lo, 0xff, v11
	v_lshlrev_b32_e32 v9, 23, v11
	s_delay_alu instid0(VALU_DEP_1) | instskip(NEXT) | instid1(VALU_DEP_1)
	v_cvt_f64_f32_e32 v[9:10], v9
	v_cndmask_b32_e32 v10, 0x7ff80000, v10, vcc_lo
	s_delay_alu instid0(VALU_DEP_2) | instskip(SKIP_1) | instid1(VALU_DEP_3)
	v_cndmask_b32_e32 v9, 0x20000000, v9, vcc_lo
	v_cmp_ne_u32_e32 vcc_lo, 0, v11
	v_cndmask_b32_e32 v16, 0x38000000, v10, vcc_lo
	s_delay_alu instid0(VALU_DEP_3)
	v_cndmask_b32_e32 v15, 0, v9, vcc_lo
	s_branch .LBB15_1523
.LBB15_1522:
	s_mov_b32 s8, -1
                                        ; implicit-def: $vgpr15_vgpr16
.LBB15_1523:
	s_mov_b32 s3, 0
.LBB15_1524:
	s_delay_alu instid0(SALU_CYCLE_1)
	s_and_b32 vcc_lo, exec_lo, s3
	s_cbranch_vccz .LBB15_1528
; %bb.1525:
	v_cmp_eq_u16_e32 vcc_lo, 29, v13
	s_cbranch_vccz .LBB15_1527
; %bb.1526:
	global_load_b64 v[9:10], v[7:8], off
	s_mov_b32 s8, 0
	s_mov_b32 s2, -1
	s_mov_b32 s3, 0
	s_waitcnt vmcnt(0)
	v_cvt_f64_u32_e32 v[10:11], v10
	v_cvt_f64_u32_e32 v[15:16], v9
	s_delay_alu instid0(VALU_DEP_2) | instskip(NEXT) | instid1(VALU_DEP_1)
	v_ldexp_f64 v[10:11], v[10:11], 32
	v_add_f64 v[15:16], v[10:11], v[15:16]
	s_branch .LBB15_1529
.LBB15_1527:
	s_mov_b32 s8, -1
                                        ; implicit-def: $vgpr15_vgpr16
.LBB15_1528:
	s_mov_b32 s3, 0
.LBB15_1529:
	s_delay_alu instid0(SALU_CYCLE_1)
	s_and_b32 vcc_lo, exec_lo, s3
	s_cbranch_vccz .LBB15_1549
; %bb.1530:
	v_cmp_gt_i16_e32 vcc_lo, 27, v13
	s_cbranch_vccnz .LBB15_1533
; %bb.1531:
	v_cmp_lt_i16_e32 vcc_lo, 27, v13
	s_cbranch_vccz .LBB15_1534
; %bb.1532:
	global_load_b32 v9, v[7:8], off
	s_mov_b32 s2, 0
	s_waitcnt vmcnt(0)
	v_cvt_f64_u32_e32 v[15:16], v9
	s_branch .LBB15_1535
.LBB15_1533:
	s_mov_b32 s2, -1
                                        ; implicit-def: $vgpr15_vgpr16
	s_branch .LBB15_1538
.LBB15_1534:
	s_mov_b32 s2, -1
                                        ; implicit-def: $vgpr15_vgpr16
.LBB15_1535:
	s_delay_alu instid0(SALU_CYCLE_1)
	s_and_not1_b32 vcc_lo, exec_lo, s2
	s_cbranch_vccnz .LBB15_1537
; %bb.1536:
	global_load_u16 v9, v[7:8], off
	s_waitcnt vmcnt(0)
	v_cvt_f64_u32_e32 v[15:16], v9
.LBB15_1537:
	s_mov_b32 s2, 0
.LBB15_1538:
	s_delay_alu instid0(SALU_CYCLE_1)
	s_and_not1_b32 vcc_lo, exec_lo, s2
	s_cbranch_vccnz .LBB15_1548
; %bb.1539:
	global_load_u8 v9, v[7:8], off
	s_mov_b32 s13, 0
	s_mov_b32 s14, exec_lo
                                        ; implicit-def: $sgpr2_sgpr3
	s_waitcnt vmcnt(0)
	v_cmpx_lt_i16_e32 0x7f, v9
	s_xor_b32 s14, exec_lo, s14
	s_cbranch_execz .LBB15_1543
; %bb.1540:
	s_mov_b32 s15, -1
	s_mov_b32 s13, exec_lo
                                        ; implicit-def: $sgpr2_sgpr3
	v_cmpx_eq_u16_e32 0x80, v9
; %bb.1541:
	s_mov_b32 s3, 0x7ff80000
	s_brev_b32 s2, 4
	s_xor_b32 s15, exec_lo, -1
; %bb.1542:
	s_or_b32 exec_lo, exec_lo, s13
	s_delay_alu instid0(SALU_CYCLE_1)
	s_and_b32 s13, s15, exec_lo
.LBB15_1543:
	s_or_saveexec_b32 s14, s14
	v_dual_mov_b32 v16, s3 :: v_dual_mov_b32 v15, s2
	s_xor_b32 exec_lo, exec_lo, s14
; %bb.1544:
	v_cmp_ne_u16_e32 vcc_lo, 0, v9
	v_mov_b32_e32 v15, 0
	v_mov_b32_e32 v16, 0
	s_and_not1_b32 s2, s13, exec_lo
	s_and_b32 s3, vcc_lo, exec_lo
	s_delay_alu instid0(SALU_CYCLE_1)
	s_or_b32 s13, s2, s3
; %bb.1545:
	s_or_b32 exec_lo, exec_lo, s14
	s_and_saveexec_b32 s2, s13
	s_cbranch_execz .LBB15_1547
; %bb.1546:
	v_and_b32_e32 v10, 0xffff, v9
	v_lshlrev_b32_e32 v9, 24, v9
	s_delay_alu instid0(VALU_DEP_2) | instskip(NEXT) | instid1(VALU_DEP_2)
	v_and_b32_e32 v11, 7, v10
	v_and_b32_e32 v9, 0x80000000, v9
	s_delay_alu instid0(VALU_DEP_2) | instskip(NEXT) | instid1(VALU_DEP_1)
	v_clz_i32_u32_e32 v15, v11
	v_min_u32_e32 v15, 32, v15
	s_delay_alu instid0(VALU_DEP_1) | instskip(SKIP_1) | instid1(VALU_DEP_2)
	v_subrev_nc_u32_e32 v16, 28, v15
	v_sub_nc_u32_e32 v15, 29, v15
	v_lshlrev_b32_e32 v16, v16, v10
	v_bfe_u32 v10, v10, 3, 4
	s_delay_alu instid0(VALU_DEP_2) | instskip(NEXT) | instid1(VALU_DEP_2)
	v_and_b32_e32 v16, 7, v16
	v_cmp_eq_u32_e32 vcc_lo, 0, v10
	s_delay_alu instid0(VALU_DEP_2) | instskip(NEXT) | instid1(VALU_DEP_1)
	v_dual_cndmask_b32 v10, v10, v15 :: v_dual_cndmask_b32 v11, v11, v16
	v_lshl_add_u32 v10, v10, 23, 0x3b800000
	s_delay_alu instid0(VALU_DEP_2) | instskip(NEXT) | instid1(VALU_DEP_1)
	v_lshlrev_b32_e32 v11, 20, v11
	v_or3_b32 v9, v9, v10, v11
	s_delay_alu instid0(VALU_DEP_1)
	v_cvt_f64_f32_e32 v[15:16], v9
.LBB15_1547:
	s_or_b32 exec_lo, exec_lo, s2
.LBB15_1548:
	s_mov_b32 s2, -1
.LBB15_1549:
	s_mov_b32 s3, 0
.LBB15_1550:
	s_delay_alu instid0(SALU_CYCLE_1)
	s_and_b32 vcc_lo, exec_lo, s3
	s_cbranch_vccz .LBB15_1581
; %bb.1551:
	v_cmp_lt_i16_e32 vcc_lo, 22, v13
	s_cbranch_vccz .LBB15_1563
; %bb.1552:
	v_cmp_gt_i16_e32 vcc_lo, 24, v13
	s_cbranch_vccnz .LBB15_1564
; %bb.1553:
	v_cmp_lt_i16_e32 vcc_lo, 24, v13
	s_cbranch_vccz .LBB15_1565
; %bb.1554:
	global_load_u8 v9, v[7:8], off
	s_mov_b32 s13, exec_lo
                                        ; implicit-def: $sgpr2_sgpr3
	s_waitcnt vmcnt(0)
	v_cmpx_lt_i16_e32 0x7f, v9
	s_xor_b32 s13, exec_lo, s13
	s_cbranch_execz .LBB15_1558
; %bb.1555:
	s_mov_b32 s14, -1
	s_mov_b32 s9, exec_lo
                                        ; implicit-def: $sgpr2_sgpr3
	v_cmpx_eq_u16_e32 0x80, v9
; %bb.1556:
	s_mov_b32 s3, 0x7ff80000
	s_brev_b32 s2, 4
	s_xor_b32 s14, exec_lo, -1
; %bb.1557:
	s_or_b32 exec_lo, exec_lo, s9
	s_delay_alu instid0(SALU_CYCLE_1)
	s_and_b32 s9, s14, exec_lo
.LBB15_1558:
	s_or_saveexec_b32 s13, s13
	v_dual_mov_b32 v16, s3 :: v_dual_mov_b32 v15, s2
	s_xor_b32 exec_lo, exec_lo, s13
; %bb.1559:
	v_cmp_ne_u16_e32 vcc_lo, 0, v9
	v_mov_b32_e32 v15, 0
	v_mov_b32_e32 v16, 0
	s_and_not1_b32 s2, s9, exec_lo
	s_and_b32 s3, vcc_lo, exec_lo
	s_delay_alu instid0(SALU_CYCLE_1)
	s_or_b32 s9, s2, s3
; %bb.1560:
	s_or_b32 exec_lo, exec_lo, s13
	s_and_saveexec_b32 s2, s9
	s_cbranch_execz .LBB15_1562
; %bb.1561:
	v_and_b32_e32 v10, 0xffff, v9
	v_lshlrev_b32_e32 v9, 24, v9
	s_delay_alu instid0(VALU_DEP_2) | instskip(NEXT) | instid1(VALU_DEP_2)
	v_and_b32_e32 v11, 3, v10
	v_and_b32_e32 v9, 0x80000000, v9
	s_delay_alu instid0(VALU_DEP_2) | instskip(NEXT) | instid1(VALU_DEP_1)
	v_clz_i32_u32_e32 v15, v11
	v_min_u32_e32 v15, 32, v15
	s_delay_alu instid0(VALU_DEP_1) | instskip(SKIP_1) | instid1(VALU_DEP_2)
	v_subrev_nc_u32_e32 v16, 29, v15
	v_sub_nc_u32_e32 v15, 30, v15
	v_lshlrev_b32_e32 v16, v16, v10
	v_bfe_u32 v10, v10, 2, 5
	s_delay_alu instid0(VALU_DEP_2) | instskip(NEXT) | instid1(VALU_DEP_2)
	v_and_b32_e32 v16, 3, v16
	v_cmp_eq_u32_e32 vcc_lo, 0, v10
	s_delay_alu instid0(VALU_DEP_2) | instskip(NEXT) | instid1(VALU_DEP_1)
	v_dual_cndmask_b32 v10, v10, v15 :: v_dual_cndmask_b32 v11, v11, v16
	v_lshl_add_u32 v10, v10, 23, 0x37800000
	s_delay_alu instid0(VALU_DEP_2) | instskip(NEXT) | instid1(VALU_DEP_1)
	v_lshlrev_b32_e32 v11, 21, v11
	v_or3_b32 v9, v9, v10, v11
	s_delay_alu instid0(VALU_DEP_1)
	v_cvt_f64_f32_e32 v[15:16], v9
.LBB15_1562:
	s_or_b32 exec_lo, exec_lo, s2
	s_mov_b32 s2, 0
	s_branch .LBB15_1566
.LBB15_1563:
	s_mov_b32 s3, -1
                                        ; implicit-def: $vgpr15_vgpr16
	s_branch .LBB15_1572
.LBB15_1564:
	s_mov_b32 s2, -1
                                        ; implicit-def: $vgpr15_vgpr16
	s_branch .LBB15_1569
.LBB15_1565:
	s_mov_b32 s2, -1
                                        ; implicit-def: $vgpr15_vgpr16
.LBB15_1566:
	s_delay_alu instid0(SALU_CYCLE_1)
	s_and_b32 vcc_lo, exec_lo, s2
	s_cbranch_vccz .LBB15_1568
; %bb.1567:
	global_load_u8 v9, v[7:8], off
	s_waitcnt vmcnt(0)
	v_lshlrev_b32_e32 v9, 24, v9
	s_delay_alu instid0(VALU_DEP_1) | instskip(NEXT) | instid1(VALU_DEP_1)
	v_and_b32_e32 v10, 0x7f000000, v9
	v_clz_i32_u32_e32 v11, v10
	v_add_nc_u32_e32 v16, 0x1000000, v10
	v_cmp_ne_u32_e32 vcc_lo, 0, v10
	s_delay_alu instid0(VALU_DEP_3) | instskip(NEXT) | instid1(VALU_DEP_1)
	v_min_u32_e32 v11, 32, v11
	v_sub_nc_u32_e64 v11, v11, 4 clamp
	s_delay_alu instid0(VALU_DEP_1) | instskip(SKIP_1) | instid1(VALU_DEP_2)
	v_lshlrev_b32_e32 v15, v11, v10
	v_lshlrev_b32_e32 v11, 23, v11
	v_lshrrev_b32_e32 v15, 4, v15
	s_delay_alu instid0(VALU_DEP_1) | instskip(SKIP_1) | instid1(VALU_DEP_2)
	v_sub_nc_u32_e32 v11, v15, v11
	v_ashrrev_i32_e32 v15, 8, v16
	v_add_nc_u32_e32 v11, 0x3c000000, v11
	s_delay_alu instid0(VALU_DEP_1) | instskip(NEXT) | instid1(VALU_DEP_1)
	v_and_or_b32 v11, 0x7f800000, v15, v11
	v_cndmask_b32_e32 v10, 0, v11, vcc_lo
	s_delay_alu instid0(VALU_DEP_1) | instskip(NEXT) | instid1(VALU_DEP_1)
	v_and_or_b32 v9, 0x80000000, v9, v10
	v_cvt_f64_f32_e32 v[15:16], v9
.LBB15_1568:
	s_mov_b32 s2, 0
.LBB15_1569:
	s_delay_alu instid0(SALU_CYCLE_1)
	s_and_not1_b32 vcc_lo, exec_lo, s2
	s_cbranch_vccnz .LBB15_1571
; %bb.1570:
	global_load_u8 v9, v[7:8], off
	s_waitcnt vmcnt(0)
	v_lshlrev_b32_e32 v10, 25, v9
	v_lshlrev_b16 v9, 8, v9
	s_delay_alu instid0(VALU_DEP_1) | instskip(SKIP_1) | instid1(VALU_DEP_2)
	v_and_or_b32 v15, 0x7f00, v9, 0.5
	v_bfe_i32 v9, v9, 0, 16
	v_add_f32_e32 v15, -0.5, v15
	v_lshrrev_b32_e32 v11, 4, v10
	v_cmp_gt_u32_e32 vcc_lo, 0x8000000, v10
	s_delay_alu instid0(VALU_DEP_2) | instskip(NEXT) | instid1(VALU_DEP_1)
	v_or_b32_e32 v11, 0x70000000, v11
	v_mul_f32_e32 v11, 0x7800000, v11
	s_delay_alu instid0(VALU_DEP_1) | instskip(NEXT) | instid1(VALU_DEP_1)
	v_cndmask_b32_e32 v10, v11, v15, vcc_lo
	v_and_or_b32 v9, 0x80000000, v9, v10
	s_delay_alu instid0(VALU_DEP_1)
	v_cvt_f64_f32_e32 v[15:16], v9
.LBB15_1571:
	s_mov_b32 s3, 0
	s_mov_b32 s2, -1
.LBB15_1572:
	s_and_not1_b32 vcc_lo, exec_lo, s3
	s_mov_b32 s9, 0
	s_cbranch_vccnz .LBB15_1581
; %bb.1573:
	v_cmp_lt_i16_e32 vcc_lo, 14, v13
	s_cbranch_vccz .LBB15_1576
; %bb.1574:
	v_cmp_eq_u16_e32 vcc_lo, 15, v13
	s_cbranch_vccz .LBB15_1577
; %bb.1575:
	global_load_u16 v9, v[7:8], off
	s_mov_b32 s8, 0
	s_mov_b32 s2, -1
	s_waitcnt vmcnt(0)
	v_lshlrev_b32_e32 v9, 16, v9
	s_delay_alu instid0(VALU_DEP_1)
	v_cvt_f64_f32_e32 v[15:16], v9
	s_branch .LBB15_1578
.LBB15_1576:
	s_mov_b32 s3, -1
                                        ; implicit-def: $vgpr15_vgpr16
	s_branch .LBB15_1579
.LBB15_1577:
	s_mov_b32 s8, -1
                                        ; implicit-def: $vgpr15_vgpr16
.LBB15_1578:
	s_mov_b32 s3, 0
.LBB15_1579:
	s_delay_alu instid0(SALU_CYCLE_1)
	s_and_b32 vcc_lo, exec_lo, s3
	s_cbranch_vccz .LBB15_1581
; %bb.1580:
	v_cmp_ne_u16_e64 s8, 11, v13
	s_mov_b32 s9, -1
                                        ; implicit-def: $vgpr15_vgpr16
.LBB15_1581:
	s_delay_alu instid0(VALU_DEP_1)
	s_and_b32 vcc_lo, exec_lo, s8
	s_cbranch_vccnz .LBB15_1607
; %bb.1582:
	s_and_not1_b32 vcc_lo, exec_lo, s9
	s_cbranch_vccnz .LBB15_1584
.LBB15_1583:
	global_load_u8 v9, v[7:8], off
	v_mov_b32_e32 v15, 0
	s_mov_b32 s2, -1
	s_waitcnt vmcnt(0)
	v_cmp_ne_u16_e32 vcc_lo, 0, v9
	v_cndmask_b32_e64 v16, 0, 0x3ff00000, vcc_lo
.LBB15_1584:
.LBB15_1585:
	s_and_not1_b32 vcc_lo, exec_lo, s2
	s_cbranch_vccnz .LBB15_1737
.LBB15_1586:
	v_cmp_ne_u32_e32 vcc_lo, 1, v19
	v_mov_b32_e32 v10, 0
	v_mov_b32_e32 v11, 0
	s_cbranch_vccnz .LBB15_1596
; %bb.1587:
	v_cmp_lt_i64_e64 s2, s[0:1], 1
	v_mov_b32_e32 v10, 0
	v_mov_b32_e32 v11, 0x3ff00000
	s_delay_alu instid0(VALU_DEP_3)
	s_and_b32 vcc_lo, exec_lo, s2
	s_cbranch_vccnz .LBB15_1596
; %bb.1588:
	s_cmp_lg_u64 s[0:1], 1
	s_cbranch_scc0 .LBB15_1593
; %bb.1589:
	v_cmp_lt_u64_e64 s2, 0x200, s[0:1]
	v_mov_b32_e32 v10, 0
	v_mov_b32_e32 v11, 0x7ff80000
	s_delay_alu instid0(VALU_DEP_3)
	s_and_b32 vcc_lo, exec_lo, s2
	s_cbranch_vccnz .LBB15_1592
; %bb.1590:
	s_waitcnt vmcnt(0)
	v_add_f64 v[7:8], v[15:16], v[15:16]
	v_mov_b32_e32 v17, 0
	v_mov_b32_e32 v18, 0x3ff00000
	s_lshl_b64 s[2:3], s[0:1], 1
	s_mov_b64 s[8:9], 2
	s_delay_alu instid0(VALU_DEP_3)
	v_dual_mov_b32 v11, v8 :: v_dual_mov_b32 v10, v7
.LBB15_1591:                            ; =>This Inner Loop Header: Depth=1
	v_cvt_f64_u32_e32 v[20:21], s9
	v_cvt_f64_u32_e32 v[22:23], s8
	s_add_u32 s8, s8, 2
	s_addc_u32 s9, s9, 0
	s_delay_alu instid0(SALU_CYCLE_1) | instskip(NEXT) | instid1(VALU_DEP_1)
	v_cmp_lt_u64_e64 s13, s[8:9], s[2:3]
	s_and_b32 vcc_lo, exec_lo, s13
	s_delay_alu instid0(VALU_DEP_3) | instskip(NEXT) | instid1(VALU_DEP_1)
	v_ldexp_f64 v[20:21], v[20:21], 32
	v_add_f64 v[20:21], v[20:21], v[22:23]
	s_delay_alu instid0(VALU_DEP_1) | instskip(SKIP_1) | instid1(VALU_DEP_1)
	v_mul_f64 v[17:18], v[17:18], v[20:21]
	v_dual_mov_b32 v21, v11 :: v_dual_mov_b32 v20, v10
	v_fma_f64 v[10:11], v[7:8], v[20:21], -v[17:18]
	v_dual_mov_b32 v17, v20 :: v_dual_mov_b32 v18, v21
	s_cbranch_vccnz .LBB15_1591
.LBB15_1592:
	s_mov_b32 s2, 0
	s_branch .LBB15_1594
.LBB15_1593:
	s_mov_b32 s2, -1
                                        ; implicit-def: $vgpr10_vgpr11
.LBB15_1594:
	s_delay_alu instid0(SALU_CYCLE_1)
	s_and_not1_b32 vcc_lo, exec_lo, s2
	s_cbranch_vccnz .LBB15_1596
; %bb.1595:
	s_waitcnt vmcnt(0)
	v_add_f64 v[10:11], v[15:16], v[15:16]
.LBB15_1596:
	v_cmp_gt_i16_e32 vcc_lo, 11, v13
	v_add_co_u32 v7, s2, s6, v3
	s_delay_alu instid0(VALU_DEP_1)
	v_add_co_ci_u32_e64 v8, null, s7, 0, s2
	s_mov_b32 s2, 0
	s_cbranch_vccnz .LBB15_1603
; %bb.1597:
	v_cmp_lt_i16_e32 vcc_lo, 25, v13
	s_mov_b32 s7, 0
	s_cbranch_vccz .LBB15_1604
; %bb.1598:
	v_cmp_lt_i16_e32 vcc_lo, 28, v13
	s_cbranch_vccz .LBB15_1605
; %bb.1599:
	v_cmp_lt_i16_e32 vcc_lo, 43, v13
	s_cbranch_vccz .LBB15_1606
; %bb.1600:
	v_cmp_lt_i16_e32 vcc_lo, 45, v13
	s_cbranch_vccz .LBB15_1609
; %bb.1601:
	v_cmp_eq_u16_e32 vcc_lo, 46, v13
	s_mov_b32 s3, 0
	s_cbranch_vccz .LBB15_1612
; %bb.1602:
	global_load_b32 v3, v[7:8], off
	s_mov_b32 s6, 0
	s_mov_b32 s2, -1
	s_waitcnt vmcnt(0)
	v_lshlrev_b32_e32 v3, 16, v3
	s_delay_alu instid0(VALU_DEP_1)
	v_cvt_f64_f32_e32 v[15:16], v3
	s_branch .LBB15_1614
.LBB15_1603:
	s_mov_b32 s3, -1
                                        ; implicit-def: $vgpr15_vgpr16
	s_branch .LBB15_1680
.LBB15_1604:
	s_mov_b32 s3, -1
	s_mov_b32 s6, 0
                                        ; implicit-def: $vgpr15_vgpr16
	s_branch .LBB15_1645
.LBB15_1605:
	s_mov_b32 s3, -1
	s_mov_b32 s6, 0
                                        ; implicit-def: $vgpr15_vgpr16
	s_branch .LBB15_1624
.LBB15_1606:
	s_mov_b32 s3, -1
	s_mov_b32 s6, 0
                                        ; implicit-def: $vgpr15_vgpr16
	s_branch .LBB15_1619
.LBB15_1607:
	s_cbranch_execnz .LBB15_1610
; %bb.1608:
	s_or_b32 s12, s12, exec_lo
                                        ; implicit-def: $vgpr15_vgpr16
	s_cbranch_execz .LBB15_1583
	s_branch .LBB15_1584
.LBB15_1609:
	s_mov_b32 s3, -1
	s_mov_b32 s6, 0
	s_branch .LBB15_1613
.LBB15_1610:
	s_trap 2
	s_sendmsg_rtn_b32 s0, sendmsg(MSG_RTN_GET_DOORBELL)
	s_mov_b32 ttmp2, m0
	s_waitcnt lgkmcnt(0)
	s_and_b32 s0, s0, 0x3ff
	s_delay_alu instid0(SALU_CYCLE_1) | instskip(NEXT) | instid1(SALU_CYCLE_1)
	s_bitset1_b32 s0, 10
	s_mov_b32 m0, s0
	s_sendmsg sendmsg(MSG_INTERRUPT)
	s_mov_b32 m0, ttmp2
.LBB15_1611:                            ; =>This Inner Loop Header: Depth=1
	s_sethalt 5
	s_branch .LBB15_1611
.LBB15_1612:
	s_mov_b32 s6, -1
.LBB15_1613:
                                        ; implicit-def: $vgpr15_vgpr16
.LBB15_1614:
	s_and_b32 vcc_lo, exec_lo, s3
	s_cbranch_vccz .LBB15_1618
; %bb.1615:
	v_cmp_eq_u16_e32 vcc_lo, 44, v13
	s_cbranch_vccz .LBB15_1617
; %bb.1616:
	global_load_u8 v3, v[7:8], off
	s_mov_b32 s6, 0
	s_mov_b32 s2, -1
	s_waitcnt vmcnt(0)
	v_lshlrev_b32_e32 v9, 23, v3
	v_cmp_ne_u32_e32 vcc_lo, 0xff, v3
	s_delay_alu instid0(VALU_DEP_2) | instskip(NEXT) | instid1(VALU_DEP_1)
	v_cvt_f64_f32_e32 v[15:16], v9
	v_cndmask_b32_e32 v9, 0x20000000, v15, vcc_lo
	s_delay_alu instid0(VALU_DEP_2) | instskip(SKIP_1) | instid1(VALU_DEP_2)
	v_cndmask_b32_e32 v15, 0x7ff80000, v16, vcc_lo
	v_cmp_ne_u32_e32 vcc_lo, 0, v3
	v_cndmask_b32_e32 v16, 0x38000000, v15, vcc_lo
	s_delay_alu instid0(VALU_DEP_4)
	v_cndmask_b32_e32 v15, 0, v9, vcc_lo
	s_branch .LBB15_1618
.LBB15_1617:
	s_mov_b32 s6, -1
                                        ; implicit-def: $vgpr15_vgpr16
.LBB15_1618:
	s_mov_b32 s3, 0
.LBB15_1619:
	s_delay_alu instid0(SALU_CYCLE_1)
	s_and_b32 vcc_lo, exec_lo, s3
	s_cbranch_vccz .LBB15_1623
; %bb.1620:
	v_cmp_eq_u16_e32 vcc_lo, 29, v13
	s_cbranch_vccz .LBB15_1622
; %bb.1621:
	global_load_b64 v[15:16], v[7:8], off
	s_mov_b32 s6, 0
	s_mov_b32 s2, -1
	s_mov_b32 s3, 0
	s_waitcnt vmcnt(0)
	v_cvt_f64_u32_e32 v[16:17], v16
	v_cvt_f64_u32_e32 v[20:21], v15
	s_delay_alu instid0(VALU_DEP_2) | instskip(NEXT) | instid1(VALU_DEP_1)
	v_ldexp_f64 v[16:17], v[16:17], 32
	v_add_f64 v[15:16], v[16:17], v[20:21]
	s_branch .LBB15_1624
.LBB15_1622:
	s_mov_b32 s6, -1
                                        ; implicit-def: $vgpr15_vgpr16
.LBB15_1623:
	s_mov_b32 s3, 0
.LBB15_1624:
	s_delay_alu instid0(SALU_CYCLE_1)
	s_and_b32 vcc_lo, exec_lo, s3
	s_cbranch_vccz .LBB15_1644
; %bb.1625:
	v_cmp_gt_i16_e32 vcc_lo, 27, v13
	s_cbranch_vccnz .LBB15_1628
; %bb.1626:
	v_cmp_lt_i16_e32 vcc_lo, 27, v13
	s_cbranch_vccz .LBB15_1629
; %bb.1627:
	global_load_b32 v3, v[7:8], off
	s_mov_b32 s2, 0
	s_waitcnt vmcnt(0)
	v_cvt_f64_u32_e32 v[15:16], v3
	s_branch .LBB15_1630
.LBB15_1628:
	s_mov_b32 s2, -1
                                        ; implicit-def: $vgpr15_vgpr16
	s_branch .LBB15_1633
.LBB15_1629:
	s_mov_b32 s2, -1
                                        ; implicit-def: $vgpr15_vgpr16
.LBB15_1630:
	s_delay_alu instid0(SALU_CYCLE_1)
	s_and_not1_b32 vcc_lo, exec_lo, s2
	s_cbranch_vccnz .LBB15_1632
; %bb.1631:
	global_load_u16 v3, v[7:8], off
	s_waitcnt vmcnt(0)
	v_cvt_f64_u32_e32 v[15:16], v3
.LBB15_1632:
	s_mov_b32 s2, 0
.LBB15_1633:
	s_delay_alu instid0(SALU_CYCLE_1)
	s_and_not1_b32 vcc_lo, exec_lo, s2
	s_cbranch_vccnz .LBB15_1643
; %bb.1634:
	global_load_u8 v3, v[7:8], off
	s_mov_b32 s8, 0
	s_mov_b32 s9, exec_lo
                                        ; implicit-def: $sgpr2_sgpr3
	s_waitcnt vmcnt(0)
	v_cmpx_lt_i16_e32 0x7f, v3
	s_xor_b32 s9, exec_lo, s9
	s_cbranch_execz .LBB15_1638
; %bb.1635:
	s_mov_b32 s13, -1
	s_mov_b32 s8, exec_lo
                                        ; implicit-def: $sgpr2_sgpr3
	v_cmpx_eq_u16_e32 0x80, v3
; %bb.1636:
	s_mov_b32 s3, 0x7ff80000
	s_brev_b32 s2, 4
	s_xor_b32 s13, exec_lo, -1
; %bb.1637:
	s_or_b32 exec_lo, exec_lo, s8
	s_delay_alu instid0(SALU_CYCLE_1)
	s_and_b32 s8, s13, exec_lo
.LBB15_1638:
	s_or_saveexec_b32 s9, s9
	v_dual_mov_b32 v16, s3 :: v_dual_mov_b32 v15, s2
	s_xor_b32 exec_lo, exec_lo, s9
; %bb.1639:
	v_cmp_ne_u16_e32 vcc_lo, 0, v3
	v_mov_b32_e32 v15, 0
	v_mov_b32_e32 v16, 0
	s_and_not1_b32 s2, s8, exec_lo
	s_and_b32 s3, vcc_lo, exec_lo
	s_delay_alu instid0(SALU_CYCLE_1)
	s_or_b32 s8, s2, s3
; %bb.1640:
	s_or_b32 exec_lo, exec_lo, s9
	s_and_saveexec_b32 s2, s8
	s_cbranch_execz .LBB15_1642
; %bb.1641:
	v_and_b32_e32 v9, 0xffff, v3
	v_lshlrev_b32_e32 v3, 24, v3
	s_delay_alu instid0(VALU_DEP_2) | instskip(NEXT) | instid1(VALU_DEP_2)
	v_and_b32_e32 v15, 7, v9
	v_and_b32_e32 v3, 0x80000000, v3
	s_delay_alu instid0(VALU_DEP_2) | instskip(NEXT) | instid1(VALU_DEP_1)
	v_clz_i32_u32_e32 v16, v15
	v_min_u32_e32 v16, 32, v16
	s_delay_alu instid0(VALU_DEP_1) | instskip(SKIP_1) | instid1(VALU_DEP_2)
	v_subrev_nc_u32_e32 v17, 28, v16
	v_sub_nc_u32_e32 v16, 29, v16
	v_lshlrev_b32_e32 v17, v17, v9
	v_bfe_u32 v9, v9, 3, 4
	s_delay_alu instid0(VALU_DEP_2) | instskip(NEXT) | instid1(VALU_DEP_2)
	v_and_b32_e32 v17, 7, v17
	v_cmp_eq_u32_e32 vcc_lo, 0, v9
	v_cndmask_b32_e32 v9, v9, v16, vcc_lo
	s_delay_alu instid0(VALU_DEP_3) | instskip(NEXT) | instid1(VALU_DEP_2)
	v_cndmask_b32_e32 v15, v15, v17, vcc_lo
	v_lshl_add_u32 v9, v9, 23, 0x3b800000
	s_delay_alu instid0(VALU_DEP_2) | instskip(NEXT) | instid1(VALU_DEP_1)
	v_lshlrev_b32_e32 v15, 20, v15
	v_or3_b32 v3, v3, v9, v15
	s_delay_alu instid0(VALU_DEP_1)
	v_cvt_f64_f32_e32 v[15:16], v3
.LBB15_1642:
	s_or_b32 exec_lo, exec_lo, s2
.LBB15_1643:
	s_mov_b32 s2, -1
.LBB15_1644:
	s_mov_b32 s3, 0
.LBB15_1645:
	s_delay_alu instid0(SALU_CYCLE_1)
	s_and_b32 vcc_lo, exec_lo, s3
	s_cbranch_vccz .LBB15_1676
; %bb.1646:
	v_cmp_lt_i16_e32 vcc_lo, 22, v13
	s_cbranch_vccz .LBB15_1658
; %bb.1647:
	v_cmp_gt_i16_e32 vcc_lo, 24, v13
	s_cbranch_vccnz .LBB15_1659
; %bb.1648:
	v_cmp_lt_i16_e32 vcc_lo, 24, v13
	s_cbranch_vccz .LBB15_1660
; %bb.1649:
	global_load_u8 v3, v[7:8], off
	s_mov_b32 s8, exec_lo
                                        ; implicit-def: $sgpr2_sgpr3
	s_waitcnt vmcnt(0)
	v_cmpx_lt_i16_e32 0x7f, v3
	s_xor_b32 s8, exec_lo, s8
	s_cbranch_execz .LBB15_1653
; %bb.1650:
	s_mov_b32 s9, -1
	s_mov_b32 s7, exec_lo
                                        ; implicit-def: $sgpr2_sgpr3
	v_cmpx_eq_u16_e32 0x80, v3
; %bb.1651:
	s_mov_b32 s3, 0x7ff80000
	s_brev_b32 s2, 4
	s_xor_b32 s9, exec_lo, -1
; %bb.1652:
	s_or_b32 exec_lo, exec_lo, s7
	s_delay_alu instid0(SALU_CYCLE_1)
	s_and_b32 s7, s9, exec_lo
.LBB15_1653:
	s_or_saveexec_b32 s8, s8
	v_dual_mov_b32 v16, s3 :: v_dual_mov_b32 v15, s2
	s_xor_b32 exec_lo, exec_lo, s8
; %bb.1654:
	v_cmp_ne_u16_e32 vcc_lo, 0, v3
	v_mov_b32_e32 v15, 0
	v_mov_b32_e32 v16, 0
	s_and_not1_b32 s2, s7, exec_lo
	s_and_b32 s3, vcc_lo, exec_lo
	s_delay_alu instid0(SALU_CYCLE_1)
	s_or_b32 s7, s2, s3
; %bb.1655:
	s_or_b32 exec_lo, exec_lo, s8
	s_and_saveexec_b32 s2, s7
	s_cbranch_execz .LBB15_1657
; %bb.1656:
	v_and_b32_e32 v9, 0xffff, v3
	v_lshlrev_b32_e32 v3, 24, v3
	s_delay_alu instid0(VALU_DEP_2) | instskip(NEXT) | instid1(VALU_DEP_2)
	v_and_b32_e32 v15, 3, v9
	v_and_b32_e32 v3, 0x80000000, v3
	s_delay_alu instid0(VALU_DEP_2) | instskip(NEXT) | instid1(VALU_DEP_1)
	v_clz_i32_u32_e32 v16, v15
	v_min_u32_e32 v16, 32, v16
	s_delay_alu instid0(VALU_DEP_1) | instskip(SKIP_1) | instid1(VALU_DEP_2)
	v_subrev_nc_u32_e32 v17, 29, v16
	v_sub_nc_u32_e32 v16, 30, v16
	v_lshlrev_b32_e32 v17, v17, v9
	v_bfe_u32 v9, v9, 2, 5
	s_delay_alu instid0(VALU_DEP_2) | instskip(NEXT) | instid1(VALU_DEP_2)
	v_and_b32_e32 v17, 3, v17
	v_cmp_eq_u32_e32 vcc_lo, 0, v9
	v_cndmask_b32_e32 v9, v9, v16, vcc_lo
	s_delay_alu instid0(VALU_DEP_3) | instskip(NEXT) | instid1(VALU_DEP_2)
	v_cndmask_b32_e32 v15, v15, v17, vcc_lo
	v_lshl_add_u32 v9, v9, 23, 0x37800000
	s_delay_alu instid0(VALU_DEP_2) | instskip(NEXT) | instid1(VALU_DEP_1)
	v_lshlrev_b32_e32 v15, 21, v15
	v_or3_b32 v3, v3, v9, v15
	s_delay_alu instid0(VALU_DEP_1)
	v_cvt_f64_f32_e32 v[15:16], v3
.LBB15_1657:
	s_or_b32 exec_lo, exec_lo, s2
	s_mov_b32 s2, 0
	s_branch .LBB15_1661
.LBB15_1658:
	s_mov_b32 s3, -1
                                        ; implicit-def: $vgpr15_vgpr16
	s_branch .LBB15_1667
.LBB15_1659:
	s_mov_b32 s2, -1
                                        ; implicit-def: $vgpr15_vgpr16
	s_branch .LBB15_1664
.LBB15_1660:
	s_mov_b32 s2, -1
                                        ; implicit-def: $vgpr15_vgpr16
.LBB15_1661:
	s_delay_alu instid0(SALU_CYCLE_1)
	s_and_b32 vcc_lo, exec_lo, s2
	s_cbranch_vccz .LBB15_1663
; %bb.1662:
	global_load_u8 v3, v[7:8], off
	s_waitcnt vmcnt(0)
	v_lshlrev_b32_e32 v3, 24, v3
	s_delay_alu instid0(VALU_DEP_1) | instskip(NEXT) | instid1(VALU_DEP_1)
	v_and_b32_e32 v9, 0x7f000000, v3
	v_clz_i32_u32_e32 v15, v9
	v_cmp_ne_u32_e32 vcc_lo, 0, v9
	v_add_nc_u32_e32 v17, 0x1000000, v9
	s_delay_alu instid0(VALU_DEP_3) | instskip(NEXT) | instid1(VALU_DEP_1)
	v_min_u32_e32 v15, 32, v15
	v_sub_nc_u32_e64 v15, v15, 4 clamp
	s_delay_alu instid0(VALU_DEP_1) | instskip(SKIP_1) | instid1(VALU_DEP_2)
	v_lshlrev_b32_e32 v16, v15, v9
	v_lshlrev_b32_e32 v15, 23, v15
	v_lshrrev_b32_e32 v16, 4, v16
	s_delay_alu instid0(VALU_DEP_1) | instskip(SKIP_1) | instid1(VALU_DEP_2)
	v_sub_nc_u32_e32 v15, v16, v15
	v_ashrrev_i32_e32 v16, 8, v17
	v_add_nc_u32_e32 v15, 0x3c000000, v15
	s_delay_alu instid0(VALU_DEP_1) | instskip(NEXT) | instid1(VALU_DEP_1)
	v_and_or_b32 v15, 0x7f800000, v16, v15
	v_cndmask_b32_e32 v9, 0, v15, vcc_lo
	s_delay_alu instid0(VALU_DEP_1) | instskip(NEXT) | instid1(VALU_DEP_1)
	v_and_or_b32 v3, 0x80000000, v3, v9
	v_cvt_f64_f32_e32 v[15:16], v3
.LBB15_1663:
	s_mov_b32 s2, 0
.LBB15_1664:
	s_delay_alu instid0(SALU_CYCLE_1)
	s_and_not1_b32 vcc_lo, exec_lo, s2
	s_cbranch_vccnz .LBB15_1666
; %bb.1665:
	global_load_u8 v3, v[7:8], off
	s_waitcnt vmcnt(0)
	v_lshlrev_b32_e32 v9, 25, v3
	v_lshlrev_b16 v3, 8, v3
	s_delay_alu instid0(VALU_DEP_1) | instskip(SKIP_1) | instid1(VALU_DEP_2)
	v_and_or_b32 v16, 0x7f00, v3, 0.5
	v_bfe_i32 v3, v3, 0, 16
	v_add_f32_e32 v16, -0.5, v16
	v_lshrrev_b32_e32 v15, 4, v9
	v_cmp_gt_u32_e32 vcc_lo, 0x8000000, v9
	s_delay_alu instid0(VALU_DEP_2) | instskip(NEXT) | instid1(VALU_DEP_1)
	v_or_b32_e32 v15, 0x70000000, v15
	v_mul_f32_e32 v15, 0x7800000, v15
	s_delay_alu instid0(VALU_DEP_1) | instskip(NEXT) | instid1(VALU_DEP_1)
	v_cndmask_b32_e32 v9, v15, v16, vcc_lo
	v_and_or_b32 v3, 0x80000000, v3, v9
	s_delay_alu instid0(VALU_DEP_1)
	v_cvt_f64_f32_e32 v[15:16], v3
.LBB15_1666:
	s_mov_b32 s3, 0
	s_mov_b32 s2, -1
.LBB15_1667:
	s_and_not1_b32 vcc_lo, exec_lo, s3
	s_mov_b32 s7, 0
	s_cbranch_vccnz .LBB15_1676
; %bb.1668:
	v_cmp_lt_i16_e32 vcc_lo, 14, v13
	s_cbranch_vccz .LBB15_1671
; %bb.1669:
	v_cmp_eq_u16_e32 vcc_lo, 15, v13
	s_cbranch_vccz .LBB15_1672
; %bb.1670:
	global_load_u16 v3, v[7:8], off
	s_mov_b32 s6, 0
	s_mov_b32 s2, -1
	s_waitcnt vmcnt(0)
	v_lshlrev_b32_e32 v3, 16, v3
	s_delay_alu instid0(VALU_DEP_1)
	v_cvt_f64_f32_e32 v[15:16], v3
	s_branch .LBB15_1673
.LBB15_1671:
	s_mov_b32 s3, -1
                                        ; implicit-def: $vgpr15_vgpr16
	s_branch .LBB15_1674
.LBB15_1672:
	s_mov_b32 s6, -1
                                        ; implicit-def: $vgpr15_vgpr16
.LBB15_1673:
	s_mov_b32 s3, 0
.LBB15_1674:
	s_delay_alu instid0(SALU_CYCLE_1)
	s_and_b32 vcc_lo, exec_lo, s3
	s_cbranch_vccz .LBB15_1676
; %bb.1675:
	v_cmp_ne_u16_e64 s6, 11, v13
	s_mov_b32 s7, -1
                                        ; implicit-def: $vgpr15_vgpr16
.LBB15_1676:
	s_delay_alu instid0(VALU_DEP_1)
	s_and_b32 vcc_lo, exec_lo, s6
	s_cbranch_vccnz .LBB15_1794
; %bb.1677:
	s_and_not1_b32 vcc_lo, exec_lo, s7
	s_cbranch_vccnz .LBB15_1679
.LBB15_1678:
	global_load_u8 v3, v[7:8], off
	s_waitcnt vmcnt(1)
	v_mov_b32_e32 v15, 0
	s_mov_b32 s2, -1
	s_waitcnt vmcnt(0)
	v_cmp_ne_u16_e32 vcc_lo, 0, v3
	v_cndmask_b32_e64 v16, 0, 0x3ff00000, vcc_lo
.LBB15_1679:
	s_mov_b32 s3, 0
.LBB15_1680:
	s_delay_alu instid0(SALU_CYCLE_1)
	s_and_b32 vcc_lo, exec_lo, s3
	s_cbranch_vccz .LBB15_1729
; %bb.1681:
	v_cmp_gt_i16_e32 vcc_lo, 5, v13
	s_cbranch_vccnz .LBB15_1686
; %bb.1682:
	v_cmp_gt_i16_e32 vcc_lo, 8, v13
	s_cbranch_vccnz .LBB15_1687
	;; [unrolled: 3-line block ×3, first 2 shown]
; %bb.1684:
	v_cmp_lt_i16_e32 vcc_lo, 9, v13
	s_cbranch_vccz .LBB15_1689
; %bb.1685:
	global_load_b64 v[15:16], v[7:8], off
	s_mov_b32 s2, 0
	s_branch .LBB15_1690
.LBB15_1686:
	s_mov_b32 s2, -1
                                        ; implicit-def: $vgpr15_vgpr16
	s_branch .LBB15_1708
.LBB15_1687:
	s_mov_b32 s2, -1
                                        ; implicit-def: $vgpr15_vgpr16
	s_branch .LBB15_1696
.LBB15_1688:
	s_mov_b32 s2, -1
                                        ; implicit-def: $vgpr15_vgpr16
	s_branch .LBB15_1693
.LBB15_1689:
	s_mov_b32 s2, -1
                                        ; implicit-def: $vgpr15_vgpr16
.LBB15_1690:
	s_delay_alu instid0(SALU_CYCLE_1)
	s_and_not1_b32 vcc_lo, exec_lo, s2
	s_cbranch_vccnz .LBB15_1692
; %bb.1691:
	global_load_b32 v3, v[7:8], off
	s_waitcnt vmcnt(0)
	v_cvt_f64_f32_e32 v[15:16], v3
.LBB15_1692:
	s_mov_b32 s2, 0
.LBB15_1693:
	s_delay_alu instid0(SALU_CYCLE_1)
	s_and_not1_b32 vcc_lo, exec_lo, s2
	s_cbranch_vccnz .LBB15_1695
; %bb.1694:
	global_load_b32 v3, v[7:8], off
	s_waitcnt vmcnt(0)
	v_cvt_f32_f16_e32 v3, v3
	s_delay_alu instid0(VALU_DEP_1)
	v_cvt_f64_f32_e32 v[15:16], v3
.LBB15_1695:
	s_mov_b32 s2, 0
.LBB15_1696:
	s_delay_alu instid0(SALU_CYCLE_1)
	s_and_not1_b32 vcc_lo, exec_lo, s2
	s_cbranch_vccnz .LBB15_1707
; %bb.1697:
	v_cmp_gt_i16_e32 vcc_lo, 6, v13
	s_cbranch_vccnz .LBB15_1700
; %bb.1698:
	v_cmp_lt_i16_e32 vcc_lo, 6, v13
	s_cbranch_vccz .LBB15_1701
; %bb.1699:
	global_load_b64 v[15:16], v[7:8], off
	s_mov_b32 s2, 0
	s_branch .LBB15_1702
.LBB15_1700:
	s_mov_b32 s2, -1
                                        ; implicit-def: $vgpr15_vgpr16
	s_branch .LBB15_1705
.LBB15_1701:
	s_mov_b32 s2, -1
                                        ; implicit-def: $vgpr15_vgpr16
.LBB15_1702:
	s_delay_alu instid0(SALU_CYCLE_1)
	s_and_not1_b32 vcc_lo, exec_lo, s2
	s_cbranch_vccnz .LBB15_1704
; %bb.1703:
	global_load_b32 v3, v[7:8], off
	s_waitcnt vmcnt(0)
	v_cvt_f64_f32_e32 v[15:16], v3
.LBB15_1704:
	s_mov_b32 s2, 0
.LBB15_1705:
	s_delay_alu instid0(SALU_CYCLE_1)
	s_and_not1_b32 vcc_lo, exec_lo, s2
	s_cbranch_vccnz .LBB15_1707
; %bb.1706:
	global_load_u16 v3, v[7:8], off
	s_waitcnt vmcnt(0)
	v_cvt_f32_f16_e32 v3, v3
	s_delay_alu instid0(VALU_DEP_1)
	v_cvt_f64_f32_e32 v[15:16], v3
.LBB15_1707:
	s_mov_b32 s2, 0
.LBB15_1708:
	s_delay_alu instid0(SALU_CYCLE_1)
	s_and_not1_b32 vcc_lo, exec_lo, s2
	s_cbranch_vccnz .LBB15_1728
; %bb.1709:
	v_cmp_gt_i16_e32 vcc_lo, 2, v13
	s_cbranch_vccnz .LBB15_1713
; %bb.1710:
	v_cmp_gt_i16_e32 vcc_lo, 3, v13
	s_cbranch_vccnz .LBB15_1714
; %bb.1711:
	v_cmp_lt_i16_e32 vcc_lo, 3, v13
	s_cbranch_vccz .LBB15_1715
; %bb.1712:
	global_load_b64 v[15:16], v[7:8], off
	s_mov_b32 s2, 0
	s_waitcnt vmcnt(0)
	v_cvt_f64_i32_e32 v[16:17], v16
	v_cvt_f64_u32_e32 v[20:21], v15
	s_delay_alu instid0(VALU_DEP_2) | instskip(NEXT) | instid1(VALU_DEP_1)
	v_ldexp_f64 v[16:17], v[16:17], 32
	v_add_f64 v[15:16], v[16:17], v[20:21]
	s_branch .LBB15_1716
.LBB15_1713:
	s_mov_b32 s2, -1
                                        ; implicit-def: $vgpr15_vgpr16
	s_branch .LBB15_1722
.LBB15_1714:
	s_mov_b32 s2, -1
                                        ; implicit-def: $vgpr15_vgpr16
	s_branch .LBB15_1719
.LBB15_1715:
	s_mov_b32 s2, -1
                                        ; implicit-def: $vgpr15_vgpr16
.LBB15_1716:
	s_delay_alu instid0(SALU_CYCLE_1)
	s_and_not1_b32 vcc_lo, exec_lo, s2
	s_cbranch_vccnz .LBB15_1718
; %bb.1717:
	global_load_b32 v3, v[7:8], off
	s_waitcnt vmcnt(0)
	v_cvt_f64_i32_e32 v[15:16], v3
.LBB15_1718:
	s_mov_b32 s2, 0
.LBB15_1719:
	s_delay_alu instid0(SALU_CYCLE_1)
	s_and_not1_b32 vcc_lo, exec_lo, s2
	s_cbranch_vccnz .LBB15_1721
; %bb.1720:
	global_load_i16 v3, v[7:8], off
	s_waitcnt vmcnt(0)
	v_cvt_f64_i32_e32 v[15:16], v3
.LBB15_1721:
	s_mov_b32 s2, 0
.LBB15_1722:
	s_delay_alu instid0(SALU_CYCLE_1)
	s_and_not1_b32 vcc_lo, exec_lo, s2
	s_cbranch_vccnz .LBB15_1728
; %bb.1723:
	v_cmp_lt_i16_e32 vcc_lo, 0, v13
	s_mov_b32 s2, 0
	s_cbranch_vccz .LBB15_1725
; %bb.1724:
	global_load_i8 v3, v[7:8], off
	s_waitcnt vmcnt(0)
	v_cvt_f64_i32_e32 v[15:16], v3
	s_branch .LBB15_1726
.LBB15_1725:
	s_mov_b32 s2, -1
                                        ; implicit-def: $vgpr15_vgpr16
.LBB15_1726:
	s_delay_alu instid0(SALU_CYCLE_1)
	s_and_not1_b32 vcc_lo, exec_lo, s2
	s_cbranch_vccnz .LBB15_1728
; %bb.1727:
	global_load_u8 v3, v[7:8], off
	s_waitcnt vmcnt(0)
	v_cvt_f64_u32_e32 v[15:16], v3
.LBB15_1728:
	s_mov_b32 s2, -1
.LBB15_1729:
	s_delay_alu instid0(SALU_CYCLE_1)
	s_and_not1_b32 vcc_lo, exec_lo, s2
	s_cbranch_vccnz .LBB15_1737
; %bb.1730:
	v_cmp_ne_u32_e32 vcc_lo, 1, v19
	v_mov_b32_e32 v8, 0
	v_mov_b32_e32 v9, 0
	s_cbranch_vccnz .LBB15_1785
; %bb.1731:
	v_cmp_lt_i64_e64 s2, s[0:1], 1
	v_mov_b32_e32 v8, 0
	v_mov_b32_e32 v9, 0x3ff00000
	s_delay_alu instid0(VALU_DEP_3)
	s_and_b32 vcc_lo, exec_lo, s2
	s_cbranch_vccnz .LBB15_1785
; %bb.1732:
	s_cmp_lg_u64 s[0:1], 1
	s_cbranch_scc0 .LBB15_1782
; %bb.1733:
	v_cmp_lt_u64_e64 s2, 0x200, s[0:1]
	v_mov_b32_e32 v8, 0
	v_mov_b32_e32 v9, 0x7ff80000
	s_delay_alu instid0(VALU_DEP_3)
	s_and_b32 vcc_lo, exec_lo, s2
	s_cbranch_vccnz .LBB15_1736
; %bb.1734:
	s_waitcnt vmcnt(0)
	v_add_f64 v[17:18], v[15:16], v[15:16]
	v_mov_b32_e32 v19, 0
	v_mov_b32_e32 v20, 0x3ff00000
	s_lshl_b64 s[0:1], s[0:1], 1
	s_mov_b64 s[2:3], 2
	s_delay_alu instid0(VALU_DEP_3)
	v_dual_mov_b32 v8, v17 :: v_dual_mov_b32 v9, v18
.LBB15_1735:                            ; =>This Inner Loop Header: Depth=1
	v_cvt_f64_u32_e32 v[21:22], s3
	v_cvt_f64_u32_e32 v[23:24], s2
	s_add_u32 s2, s2, 2
	s_addc_u32 s3, s3, 0
	s_delay_alu instid0(SALU_CYCLE_1) | instskip(NEXT) | instid1(VALU_DEP_1)
	v_cmp_lt_u64_e64 s6, s[2:3], s[0:1]
	s_and_b32 vcc_lo, exec_lo, s6
	s_delay_alu instid0(VALU_DEP_3) | instskip(NEXT) | instid1(VALU_DEP_1)
	v_ldexp_f64 v[21:22], v[21:22], 32
	v_add_f64 v[21:22], v[21:22], v[23:24]
	s_delay_alu instid0(VALU_DEP_1) | instskip(SKIP_1) | instid1(VALU_DEP_1)
	v_mul_f64 v[19:20], v[19:20], v[21:22]
	v_dual_mov_b32 v22, v9 :: v_dual_mov_b32 v21, v8
	v_fma_f64 v[8:9], v[17:18], v[21:22], -v[19:20]
	v_dual_mov_b32 v19, v21 :: v_dual_mov_b32 v20, v22
	s_cbranch_vccnz .LBB15_1735
.LBB15_1736:
	s_mov_b32 s0, 0
	s_branch .LBB15_1783
.LBB15_1737:
	s_mov_b32 s0, 0
	s_mov_b32 s1, 0
                                        ; implicit-def: $vgpr0_vgpr1
                                        ; implicit-def: $sgpr2
                                        ; implicit-def: $vgpr8_vgpr9
.LBB15_1738:
	s_and_b32 s3, s0, exec_lo
	s_and_not1_b32 s0, s10, exec_lo
	s_and_b32 s4, s12, exec_lo
	s_and_b32 s30, s1, exec_lo
	s_or_b32 s10, s0, s4
.LBB15_1739:
	s_or_b32 exec_lo, exec_lo, s11
	s_and_saveexec_b32 s0, s10
	s_cbranch_execz .LBB15_1742
; %bb.1740:
	; divergent unreachable
	s_or_b32 exec_lo, exec_lo, s0
	s_and_saveexec_b32 s0, s30
	s_delay_alu instid0(SALU_CYCLE_1)
	s_xor_b32 s0, exec_lo, s0
	s_cbranch_execnz .LBB15_1743
.LBB15_1741:
	s_or_b32 exec_lo, exec_lo, s0
	s_and_saveexec_b32 s0, s3
	s_cbranch_execnz .LBB15_1744
	s_branch .LBB15_1781
.LBB15_1742:
	s_or_b32 exec_lo, exec_lo, s0
	s_and_saveexec_b32 s0, s30
	s_delay_alu instid0(SALU_CYCLE_1)
	s_xor_b32 s0, exec_lo, s0
	s_cbranch_execz .LBB15_1741
.LBB15_1743:
	s_waitcnt vmcnt(0)
	s_delay_alu instid0(VALU_DEP_1)
	v_cmp_neq_f64_e32 vcc_lo, 0, v[8:9]
	v_cndmask_b32_e64 v2, 0, 1, vcc_lo
	global_store_b8 v[0:1], v2, off
	s_or_b32 exec_lo, exec_lo, s0
	s_and_saveexec_b32 s0, s3
	s_cbranch_execz .LBB15_1781
.LBB15_1744:
	v_cmp_lt_i16_e64 s0, s2, 5
	s_delay_alu instid0(VALU_DEP_1)
	s_and_b32 vcc_lo, exec_lo, s0
	s_mov_b32 s0, -1
	s_cbranch_vccnz .LBB15_1765
; %bb.1745:
	v_cmp_lt_i16_e64 s0, s2, 8
	s_delay_alu instid0(VALU_DEP_1)
	s_and_b32 vcc_lo, exec_lo, s0
	s_mov_b32 s0, -1
	s_cbranch_vccnz .LBB15_1755
; %bb.1746:
	;; [unrolled: 6-line block ×3, first 2 shown]
	v_cmp_gt_i16_e64 s0, s2, 9
	s_delay_alu instid0(VALU_DEP_1)
	s_and_b32 vcc_lo, exec_lo, s0
	s_mov_b32 s0, -1
	s_cbranch_vccz .LBB15_1749
; %bb.1748:
	v_mov_b32_e32 v10, 0
	s_mov_b32 s0, 0
	s_delay_alu instid0(VALU_DEP_1)
	v_mov_b32_e32 v11, v10
	s_waitcnt vmcnt(0)
	global_store_b128 v[0:1], v[8:11], off
.LBB15_1749:
	s_and_not1_b32 vcc_lo, exec_lo, s0
	s_cbranch_vccnz .LBB15_1751
; %bb.1750:
	s_waitcnt vmcnt(0)
	v_cvt_f32_f64_e32 v2, v[8:9]
	v_mov_b32_e32 v3, 0
	global_store_b64 v[0:1], v[2:3], off
.LBB15_1751:
	s_mov_b32 s0, 0
.LBB15_1752:
	s_delay_alu instid0(SALU_CYCLE_1)
	s_and_not1_b32 vcc_lo, exec_lo, s0
	s_cbranch_vccnz .LBB15_1754
; %bb.1753:
	s_waitcnt vmcnt(0)
	v_cvt_f32_f64_e32 v2, v[8:9]
	s_delay_alu instid0(VALU_DEP_1) | instskip(NEXT) | instid1(VALU_DEP_1)
	v_cvt_f16_f32_e32 v2, v2
	v_and_b32_e32 v2, 0xffff, v2
	global_store_b32 v[0:1], v2, off
.LBB15_1754:
	s_mov_b32 s0, 0
.LBB15_1755:
	s_delay_alu instid0(SALU_CYCLE_1)
	s_and_not1_b32 vcc_lo, exec_lo, s0
	s_cbranch_vccnz .LBB15_1764
; %bb.1756:
	v_cmp_lt_i16_e64 s0, s2, 6
	s_delay_alu instid0(VALU_DEP_1)
	s_and_b32 vcc_lo, exec_lo, s0
	s_mov_b32 s0, -1
	s_cbranch_vccnz .LBB15_1762
; %bb.1757:
	v_cmp_gt_i16_e64 s0, s2, 6
	s_delay_alu instid0(VALU_DEP_1)
	s_and_b32 vcc_lo, exec_lo, s0
	s_mov_b32 s0, -1
	s_cbranch_vccz .LBB15_1759
; %bb.1758:
	s_mov_b32 s0, 0
	s_waitcnt vmcnt(0)
	global_store_b64 v[0:1], v[8:9], off
.LBB15_1759:
	s_and_not1_b32 vcc_lo, exec_lo, s0
	s_cbranch_vccnz .LBB15_1761
; %bb.1760:
	s_waitcnt vmcnt(0)
	v_cvt_f32_f64_e32 v2, v[8:9]
	global_store_b32 v[0:1], v2, off
.LBB15_1761:
	s_mov_b32 s0, 0
.LBB15_1762:
	s_delay_alu instid0(SALU_CYCLE_1)
	s_and_not1_b32 vcc_lo, exec_lo, s0
	s_cbranch_vccnz .LBB15_1764
; %bb.1763:
	s_waitcnt vmcnt(0)
	v_cvt_f32_f64_e32 v2, v[8:9]
	s_delay_alu instid0(VALU_DEP_1)
	v_cvt_f16_f32_e32 v2, v2
	global_store_b16 v[0:1], v2, off
.LBB15_1764:
	s_mov_b32 s0, 0
.LBB15_1765:
	s_delay_alu instid0(SALU_CYCLE_1)
	s_and_not1_b32 vcc_lo, exec_lo, s0
	s_cbranch_vccnz .LBB15_1781
; %bb.1766:
	v_cmp_lt_i16_e64 s0, s2, 2
	s_delay_alu instid0(VALU_DEP_1)
	s_and_b32 vcc_lo, exec_lo, s0
	s_mov_b32 s0, -1
	s_cbranch_vccnz .LBB15_1776
; %bb.1767:
	v_cmp_lt_i16_e64 s0, s2, 3
	s_delay_alu instid0(VALU_DEP_1)
	s_and_b32 vcc_lo, exec_lo, s0
	s_mov_b32 s0, -1
	s_cbranch_vccnz .LBB15_1773
; %bb.1768:
	v_cmp_gt_i16_e64 s0, s2, 3
	s_delay_alu instid0(VALU_DEP_1)
	s_and_b32 vcc_lo, exec_lo, s0
	s_mov_b32 s0, -1
	s_cbranch_vccz .LBB15_1770
; %bb.1769:
	s_waitcnt vmcnt(0)
	v_trunc_f64_e32 v[2:3], v[8:9]
	s_mov_b32 s0, 0
	s_delay_alu instid0(VALU_DEP_1) | instskip(NEXT) | instid1(VALU_DEP_1)
	v_ldexp_f64 v[4:5], v[2:3], 0xffffffe0
	v_floor_f64_e32 v[4:5], v[4:5]
	s_delay_alu instid0(VALU_DEP_1) | instskip(SKIP_1) | instid1(VALU_DEP_2)
	v_fma_f64 v[2:3], 0xc1f00000, v[4:5], v[2:3]
	v_cvt_i32_f64_e32 v4, v[4:5]
	v_cvt_u32_f64_e32 v3, v[2:3]
	global_store_b64 v[0:1], v[3:4], off
.LBB15_1770:
	s_and_not1_b32 vcc_lo, exec_lo, s0
	s_cbranch_vccnz .LBB15_1772
; %bb.1771:
	s_waitcnt vmcnt(0)
	v_cvt_i32_f64_e32 v2, v[8:9]
	global_store_b32 v[0:1], v2, off
.LBB15_1772:
	s_mov_b32 s0, 0
.LBB15_1773:
	s_delay_alu instid0(SALU_CYCLE_1)
	s_and_not1_b32 vcc_lo, exec_lo, s0
	s_cbranch_vccnz .LBB15_1775
; %bb.1774:
	s_waitcnt vmcnt(0)
	v_cvt_i32_f64_e32 v2, v[8:9]
	global_store_b16 v[0:1], v2, off
.LBB15_1775:
	s_mov_b32 s0, 0
.LBB15_1776:
	s_delay_alu instid0(SALU_CYCLE_1)
	s_and_not1_b32 vcc_lo, exec_lo, s0
	s_cbranch_vccnz .LBB15_1781
; %bb.1777:
	v_cmp_gt_i16_e64 s0, s2, 0
	s_delay_alu instid0(VALU_DEP_1)
	s_and_b32 vcc_lo, exec_lo, s0
	s_mov_b32 s0, -1
	s_cbranch_vccz .LBB15_1779
; %bb.1778:
	s_waitcnt vmcnt(0)
	v_cvt_i32_f64_e32 v2, v[8:9]
	s_mov_b32 s0, 0
	global_store_b8 v[0:1], v2, off
.LBB15_1779:
	s_and_not1_b32 vcc_lo, exec_lo, s0
	s_cbranch_vccnz .LBB15_1781
; %bb.1780:
	s_waitcnt vmcnt(0)
	v_trunc_f64_e32 v[2:3], v[8:9]
	s_delay_alu instid0(VALU_DEP_1) | instskip(NEXT) | instid1(VALU_DEP_1)
	v_ldexp_f64 v[4:5], v[2:3], 0xffffffe0
	v_floor_f64_e32 v[4:5], v[4:5]
	s_delay_alu instid0(VALU_DEP_1) | instskip(NEXT) | instid1(VALU_DEP_1)
	v_fma_f64 v[2:3], 0xc1f00000, v[4:5], v[2:3]
	v_cvt_u32_f64_e32 v2, v[2:3]
	global_store_b8 v[0:1], v2, off
	s_nop 0
	s_sendmsg sendmsg(MSG_DEALLOC_VGPRS)
	s_endpgm
.LBB15_1781:
	s_nop 0
	s_sendmsg sendmsg(MSG_DEALLOC_VGPRS)
	s_endpgm
.LBB15_1782:
	s_mov_b32 s0, -1
                                        ; implicit-def: $vgpr8_vgpr9
.LBB15_1783:
	s_delay_alu instid0(SALU_CYCLE_1)
	s_and_not1_b32 vcc_lo, exec_lo, s0
	s_cbranch_vccnz .LBB15_1785
; %bb.1784:
	s_waitcnt vmcnt(0)
	v_add_f64 v[8:9], v[15:16], v[15:16]
.LBB15_1785:
	s_load_b32 s0, s[16:17], 0x168
	s_waitcnt vmcnt(0)
	v_add_co_u32 v15, s1, s4, v2
	s_delay_alu instid0(VALU_DEP_1) | instskip(SKIP_3) | instid1(SALU_CYCLE_1)
	v_add_co_ci_u32_e64 v16, null, s5, 0, s1
	s_mov_b32 s3, 0
	s_waitcnt lgkmcnt(0)
	s_and_b32 s2, s0, 0xff
	v_cmp_lt_i16_e64 s0, s2, 11
	s_delay_alu instid0(VALU_DEP_1)
	s_and_b32 vcc_lo, exec_lo, s0
	s_mov_b32 s0, -1
	s_cbranch_vccnz .LBB15_1868
; %bb.1786:
	v_cmp_gt_i16_e64 s0, s2, 25
	s_mov_b32 s6, -1
	s_mov_b32 s1, 0
	s_delay_alu instid0(VALU_DEP_1)
	s_and_b32 vcc_lo, exec_lo, s0
	s_mov_b32 s0, 0
	s_cbranch_vccz .LBB15_1824
; %bb.1787:
	v_cmp_gt_i16_e64 s0, s2, 28
	s_delay_alu instid0(VALU_DEP_1)
	s_and_b32 vcc_lo, exec_lo, s0
	s_cbranch_vccz .LBB15_1792
; %bb.1788:
	v_cmp_gt_i16_e64 s0, s2, 43
	s_delay_alu instid0(VALU_DEP_1)
	s_and_b32 vcc_lo, exec_lo, s0
	;; [unrolled: 5-line block ×3, first 2 shown]
	s_cbranch_vccz .LBB15_1796
; %bb.1790:
	v_cmp_eq_u16_e64 s3, s2, 46
	s_mov_b32 s0, -1
	s_mov_b32 s6, 0
	s_delay_alu instid0(VALU_DEP_1)
	s_and_b32 vcc_lo, exec_lo, s3
	s_mov_b32 s3, 0
	s_cbranch_vccz .LBB15_1797
; %bb.1791:
	v_cvt_f32_f64_e32 v2, v[0:1]
	s_mov_b32 s0, 0
	s_mov_b32 s3, -1
	s_delay_alu instid0(VALU_DEP_1) | instskip(SKIP_1) | instid1(VALU_DEP_2)
	v_bfe_u32 v3, v2, 16, 1
	v_cmp_o_f32_e32 vcc_lo, v2, v2
	v_add3_u32 v3, v2, v3, 0x7fff
	s_delay_alu instid0(VALU_DEP_1) | instskip(NEXT) | instid1(VALU_DEP_1)
	v_lshrrev_b32_e32 v3, 16, v3
	v_cndmask_b32_e32 v2, 0x7fc0, v3, vcc_lo
	global_store_b32 v[15:16], v2, off
	s_branch .LBB15_1797
.LBB15_1792:
	s_mov_b32 s0, 0
	s_branch .LBB15_1807
.LBB15_1793:
	s_mov_b32 s0, 0
	s_branch .LBB15_1803
.LBB15_1794:
	s_cbranch_execnz .LBB15_1919
; %bb.1795:
	s_or_b32 s12, s12, exec_lo
                                        ; implicit-def: $vgpr15_vgpr16
	s_cbranch_execz .LBB15_1678
	s_branch .LBB15_1679
.LBB15_1796:
	s_mov_b32 s0, 0
.LBB15_1797:
	s_and_b32 vcc_lo, exec_lo, s6
	s_cbranch_vccz .LBB15_1802
; %bb.1798:
	v_cmp_eq_u16_e64 s0, s2, 44
	s_delay_alu instid0(VALU_DEP_1)
	s_and_b32 vcc_lo, exec_lo, s0
	s_mov_b32 s0, -1
	s_cbranch_vccz .LBB15_1802
; %bb.1799:
	v_cvt_f32_f64_e32 v2, v[0:1]
	v_mov_b32_e32 v3, 0xff
	s_mov_b32 s3, exec_lo
	s_delay_alu instid0(VALU_DEP_2) | instskip(NEXT) | instid1(VALU_DEP_1)
	v_bfe_u32 v7, v2, 23, 8
	v_cmpx_ne_u32_e32 0xff, v7
; %bb.1800:
	v_and_b32_e32 v3, 0x400000, v2
	v_and_or_b32 v7, 0x3fffff, v2, v7
	v_lshrrev_b32_e32 v2, 23, v2
	s_delay_alu instid0(VALU_DEP_3) | instskip(NEXT) | instid1(VALU_DEP_3)
	v_cmp_ne_u32_e32 vcc_lo, 0, v3
	v_cmp_ne_u32_e64 s0, 0, v7
	s_delay_alu instid0(VALU_DEP_1) | instskip(NEXT) | instid1(SALU_CYCLE_1)
	s_and_b32 s0, vcc_lo, s0
	v_cndmask_b32_e64 v3, 0, 1, s0
	s_delay_alu instid0(VALU_DEP_1)
	v_add_nc_u32_e32 v3, v2, v3
; %bb.1801:
	s_or_b32 exec_lo, exec_lo, s3
	s_mov_b32 s0, 0
	s_mov_b32 s3, -1
	global_store_b8 v[15:16], v3, off
.LBB15_1802:
	s_mov_b32 s6, 0
.LBB15_1803:
	s_delay_alu instid0(SALU_CYCLE_1)
	s_and_b32 vcc_lo, exec_lo, s6
	s_cbranch_vccz .LBB15_1806
; %bb.1804:
	v_cmp_eq_u16_e64 s0, s2, 29
	s_delay_alu instid0(VALU_DEP_1)
	s_and_b32 vcc_lo, exec_lo, s0
	s_mov_b32 s0, -1
	s_cbranch_vccz .LBB15_1806
; %bb.1805:
	v_trunc_f64_e32 v[2:3], v[0:1]
	s_mov_b32 s0, 0
	s_mov_b32 s3, -1
	s_mov_b32 s6, 0
	s_delay_alu instid0(VALU_DEP_1) | instskip(NEXT) | instid1(VALU_DEP_1)
	v_ldexp_f64 v[17:18], v[2:3], 0xffffffe0
	v_floor_f64_e32 v[17:18], v[17:18]
	s_delay_alu instid0(VALU_DEP_1) | instskip(SKIP_1) | instid1(VALU_DEP_2)
	v_fma_f64 v[2:3], 0xc1f00000, v[17:18], v[2:3]
	v_cvt_u32_f64_e32 v18, v[17:18]
	v_cvt_u32_f64_e32 v17, v[2:3]
	global_store_b64 v[15:16], v[17:18], off
	s_branch .LBB15_1807
.LBB15_1806:
	s_mov_b32 s6, 0
.LBB15_1807:
	s_delay_alu instid0(SALU_CYCLE_1)
	s_and_b32 vcc_lo, exec_lo, s6
	s_cbranch_vccz .LBB15_1823
; %bb.1808:
	v_cmp_lt_i16_e64 s3, s2, 27
	s_delay_alu instid0(VALU_DEP_1)
	s_and_b32 vcc_lo, exec_lo, s3
	s_mov_b32 s3, -1
	s_cbranch_vccnz .LBB15_1814
; %bb.1809:
	v_cvt_u32_f64_e32 v2, v[0:1]
	v_cmp_gt_i16_e64 s3, s2, 27
	s_delay_alu instid0(VALU_DEP_1)
	s_and_b32 vcc_lo, exec_lo, s3
	s_mov_b32 s3, -1
	s_cbranch_vccz .LBB15_1811
; %bb.1810:
	s_mov_b32 s3, 0
	global_store_b32 v[15:16], v2, off
.LBB15_1811:
	s_and_not1_b32 vcc_lo, exec_lo, s3
	s_cbranch_vccnz .LBB15_1813
; %bb.1812:
	global_store_b16 v[15:16], v2, off
.LBB15_1813:
	s_mov_b32 s3, 0
.LBB15_1814:
	s_delay_alu instid0(SALU_CYCLE_1)
	s_and_not1_b32 vcc_lo, exec_lo, s3
	s_cbranch_vccnz .LBB15_1822
; %bb.1815:
	v_cvt_f32_f64_e32 v2, v[0:1]
	v_mov_b32_e32 v7, 0x80
	s_mov_b32 s3, exec_lo
	s_delay_alu instid0(VALU_DEP_2) | instskip(NEXT) | instid1(VALU_DEP_1)
	v_and_b32_e32 v3, 0x7fffffff, v2
	v_cmpx_gt_u32_e32 0x43800000, v3
	s_cbranch_execz .LBB15_1821
; %bb.1816:
	v_cmp_lt_u32_e32 vcc_lo, 0x3bffffff, v3
	s_mov_b32 s6, 0
                                        ; implicit-def: $vgpr3
	s_and_saveexec_b32 s7, vcc_lo
	s_delay_alu instid0(SALU_CYCLE_1)
	s_xor_b32 s7, exec_lo, s7
	s_cbranch_execz .LBB15_1916
; %bb.1817:
	v_bfe_u32 v3, v2, 20, 1
	s_mov_b32 s6, exec_lo
	s_delay_alu instid0(VALU_DEP_1) | instskip(NEXT) | instid1(VALU_DEP_1)
	v_add3_u32 v3, v2, v3, 0x487ffff
	v_lshrrev_b32_e32 v3, 20, v3
	s_or_saveexec_b32 s7, s7
                                        ; implicit-def: $sgpr8
	s_delay_alu instid0(SALU_CYCLE_1)
	s_xor_b32 exec_lo, exec_lo, s7
	s_cbranch_execnz .LBB15_1917
.LBB15_1818:
	s_or_b32 exec_lo, exec_lo, s7
	v_mov_b32_e32 v7, s8
	s_and_saveexec_b32 s7, s6
.LBB15_1819:
	v_lshrrev_b32_e32 v2, 24, v2
	s_delay_alu instid0(VALU_DEP_1)
	v_and_or_b32 v7, 0x80, v2, v3
.LBB15_1820:
	s_or_b32 exec_lo, exec_lo, s7
.LBB15_1821:
	s_delay_alu instid0(SALU_CYCLE_1)
	s_or_b32 exec_lo, exec_lo, s3
	global_store_b8 v[15:16], v7, off
.LBB15_1822:
	s_mov_b32 s3, -1
.LBB15_1823:
	s_mov_b32 s6, 0
.LBB15_1824:
	s_delay_alu instid0(SALU_CYCLE_1)
	s_and_b32 vcc_lo, exec_lo, s6
	s_cbranch_vccz .LBB15_1864
; %bb.1825:
	v_cmp_gt_i16_e64 s1, s2, 22
	s_delay_alu instid0(VALU_DEP_1)
	s_and_b32 vcc_lo, exec_lo, s1
	s_mov_b32 s1, -1
	s_cbranch_vccz .LBB15_1857
; %bb.1826:
	v_cmp_lt_i16_e64 s1, s2, 24
	s_delay_alu instid0(VALU_DEP_1)
	s_and_b32 vcc_lo, exec_lo, s1
	s_mov_b32 s1, -1
	s_cbranch_vccnz .LBB15_1846
; %bb.1827:
	v_cmp_gt_i16_e64 s1, s2, 24
	s_delay_alu instid0(VALU_DEP_1)
	s_and_b32 vcc_lo, exec_lo, s1
	s_mov_b32 s1, -1
	s_cbranch_vccz .LBB15_1835
; %bb.1828:
	v_cvt_f32_f64_e32 v2, v[0:1]
	v_mov_b32_e32 v7, 0x80
	s_mov_b32 s1, exec_lo
	s_delay_alu instid0(VALU_DEP_2) | instskip(NEXT) | instid1(VALU_DEP_1)
	v_and_b32_e32 v3, 0x7fffffff, v2
	v_cmpx_gt_u32_e32 0x47800000, v3
	s_cbranch_execz .LBB15_1834
; %bb.1829:
	v_cmp_lt_u32_e32 vcc_lo, 0x37ffffff, v3
	s_mov_b32 s3, 0
                                        ; implicit-def: $vgpr3
	s_and_saveexec_b32 s6, vcc_lo
	s_delay_alu instid0(SALU_CYCLE_1)
	s_xor_b32 s6, exec_lo, s6
	s_cbranch_execz .LBB15_1923
; %bb.1830:
	v_bfe_u32 v3, v2, 21, 1
	s_mov_b32 s3, exec_lo
	s_delay_alu instid0(VALU_DEP_1) | instskip(NEXT) | instid1(VALU_DEP_1)
	v_add3_u32 v3, v2, v3, 0x88fffff
	v_lshrrev_b32_e32 v3, 21, v3
	s_or_saveexec_b32 s6, s6
                                        ; implicit-def: $sgpr7
	s_delay_alu instid0(SALU_CYCLE_1)
	s_xor_b32 exec_lo, exec_lo, s6
	s_cbranch_execnz .LBB15_1924
.LBB15_1831:
	s_or_b32 exec_lo, exec_lo, s6
	v_mov_b32_e32 v7, s7
	s_and_saveexec_b32 s6, s3
.LBB15_1832:
	v_lshrrev_b32_e32 v2, 24, v2
	s_delay_alu instid0(VALU_DEP_1)
	v_and_or_b32 v7, 0x80, v2, v3
.LBB15_1833:
	s_or_b32 exec_lo, exec_lo, s6
.LBB15_1834:
	s_delay_alu instid0(SALU_CYCLE_1)
	s_or_b32 exec_lo, exec_lo, s1
	s_mov_b32 s1, 0
	global_store_b8 v[15:16], v7, off
.LBB15_1835:
	s_and_b32 vcc_lo, exec_lo, s1
	s_cbranch_vccz .LBB15_1845
; %bb.1836:
	v_cvt_f32_f64_e32 v2, v[0:1]
	s_mov_b32 s1, exec_lo
                                        ; implicit-def: $vgpr3
	s_delay_alu instid0(VALU_DEP_1) | instskip(NEXT) | instid1(VALU_DEP_1)
	v_and_b32_e32 v7, 0x7fffffff, v2
	v_cmpx_gt_u32_e32 0x43f00000, v7
	s_xor_b32 s1, exec_lo, s1
	s_cbranch_execz .LBB15_1842
; %bb.1837:
	s_mov_b32 s3, exec_lo
                                        ; implicit-def: $vgpr3
	v_cmpx_lt_u32_e32 0x3c7fffff, v7
	s_xor_b32 s3, exec_lo, s3
; %bb.1838:
	v_bfe_u32 v3, v2, 20, 1
	s_delay_alu instid0(VALU_DEP_1) | instskip(NEXT) | instid1(VALU_DEP_1)
	v_add3_u32 v3, v2, v3, 0x407ffff
	v_and_b32_e32 v7, 0xff00000, v3
	v_lshrrev_b32_e32 v3, 20, v3
	s_delay_alu instid0(VALU_DEP_2) | instskip(NEXT) | instid1(VALU_DEP_2)
	v_cmp_ne_u32_e32 vcc_lo, 0x7f00000, v7
	v_cndmask_b32_e32 v3, 0x7e, v3, vcc_lo
; %bb.1839:
	s_and_not1_saveexec_b32 s3, s3
; %bb.1840:
	v_add_f32_e64 v3, 0x46800000, |v2|
; %bb.1841:
	s_or_b32 exec_lo, exec_lo, s3
                                        ; implicit-def: $vgpr7
.LBB15_1842:
	s_and_not1_saveexec_b32 s1, s1
; %bb.1843:
	v_mov_b32_e32 v3, 0x7f
	v_cmp_lt_u32_e32 vcc_lo, 0x7f800000, v7
	s_delay_alu instid0(VALU_DEP_2)
	v_cndmask_b32_e32 v3, 0x7e, v3, vcc_lo
; %bb.1844:
	s_or_b32 exec_lo, exec_lo, s1
	v_lshrrev_b32_e32 v2, 24, v2
	s_delay_alu instid0(VALU_DEP_1)
	v_and_or_b32 v2, 0x80, v2, v3
	global_store_b8 v[15:16], v2, off
.LBB15_1845:
	s_mov_b32 s1, 0
.LBB15_1846:
	s_delay_alu instid0(SALU_CYCLE_1)
	s_and_not1_b32 vcc_lo, exec_lo, s1
	s_cbranch_vccnz .LBB15_1856
; %bb.1847:
	v_cvt_f32_f64_e32 v2, v[0:1]
	s_mov_b32 s1, exec_lo
                                        ; implicit-def: $vgpr3
	s_delay_alu instid0(VALU_DEP_1) | instskip(NEXT) | instid1(VALU_DEP_1)
	v_and_b32_e32 v7, 0x7fffffff, v2
	v_cmpx_gt_u32_e32 0x47800000, v7
	s_xor_b32 s1, exec_lo, s1
	s_cbranch_execz .LBB15_1853
; %bb.1848:
	s_mov_b32 s3, exec_lo
                                        ; implicit-def: $vgpr3
	v_cmpx_lt_u32_e32 0x387fffff, v7
	s_xor_b32 s3, exec_lo, s3
; %bb.1849:
	v_bfe_u32 v3, v2, 21, 1
	s_delay_alu instid0(VALU_DEP_1) | instskip(NEXT) | instid1(VALU_DEP_1)
	v_add3_u32 v3, v2, v3, 0x80fffff
	v_lshrrev_b32_e32 v3, 21, v3
; %bb.1850:
	s_and_not1_saveexec_b32 s3, s3
; %bb.1851:
	v_add_f32_e64 v3, 0x43000000, |v2|
; %bb.1852:
	s_or_b32 exec_lo, exec_lo, s3
                                        ; implicit-def: $vgpr7
.LBB15_1853:
	s_and_not1_saveexec_b32 s1, s1
; %bb.1854:
	v_mov_b32_e32 v3, 0x7f
	v_cmp_lt_u32_e32 vcc_lo, 0x7f800000, v7
	s_delay_alu instid0(VALU_DEP_2)
	v_cndmask_b32_e32 v3, 0x7c, v3, vcc_lo
; %bb.1855:
	s_or_b32 exec_lo, exec_lo, s1
	v_lshrrev_b32_e32 v2, 24, v2
	s_delay_alu instid0(VALU_DEP_1)
	v_and_or_b32 v2, 0x80, v2, v3
	global_store_b8 v[15:16], v2, off
.LBB15_1856:
	s_mov_b32 s1, 0
	s_mov_b32 s3, -1
.LBB15_1857:
	s_and_not1_b32 vcc_lo, exec_lo, s1
	s_mov_b32 s1, 0
	s_cbranch_vccnz .LBB15_1864
; %bb.1858:
	v_cmp_gt_i16_e64 s1, s2, 14
	s_delay_alu instid0(VALU_DEP_1)
	s_and_b32 vcc_lo, exec_lo, s1
	s_mov_b32 s1, -1
	s_cbranch_vccz .LBB15_1862
; %bb.1859:
	v_cmp_eq_u16_e64 s0, s2, 15
	s_delay_alu instid0(VALU_DEP_1)
	s_and_b32 vcc_lo, exec_lo, s0
	s_mov_b32 s0, -1
	s_cbranch_vccz .LBB15_1861
; %bb.1860:
	v_cvt_f32_f64_e32 v2, v[0:1]
	s_mov_b32 s0, 0
	s_mov_b32 s3, -1
	s_delay_alu instid0(VALU_DEP_1) | instskip(SKIP_1) | instid1(VALU_DEP_2)
	v_bfe_u32 v3, v2, 16, 1
	v_cmp_o_f32_e32 vcc_lo, v2, v2
	v_add3_u32 v3, v2, v3, 0x7fff
	s_delay_alu instid0(VALU_DEP_1) | instskip(NEXT) | instid1(VALU_DEP_1)
	v_lshrrev_b32_e32 v3, 16, v3
	v_cndmask_b32_e32 v2, 0x7fc0, v3, vcc_lo
	global_store_b16 v[15:16], v2, off
.LBB15_1861:
	s_mov_b32 s1, 0
.LBB15_1862:
	s_delay_alu instid0(SALU_CYCLE_1)
	s_and_b32 vcc_lo, exec_lo, s1
	s_mov_b32 s1, 0
	s_cbranch_vccz .LBB15_1864
; %bb.1863:
	v_cmp_ne_u16_e64 s0, s2, 11
	s_mov_b32 s1, -1
.LBB15_1864:
	s_delay_alu instid0(VALU_DEP_1)
	s_and_b32 vcc_lo, exec_lo, s0
	s_cbranch_vccnz .LBB15_1921
; %bb.1865:
	s_and_not1_b32 vcc_lo, exec_lo, s1
	s_cbranch_vccnz .LBB15_1867
.LBB15_1866:
	v_cmp_neq_f64_e32 vcc_lo, 0, v[0:1]
	s_mov_b32 s3, -1
	v_cndmask_b32_e64 v2, 0, 1, vcc_lo
	global_store_b8 v[15:16], v2, off
.LBB15_1867:
	s_mov_b32 s0, 0
.LBB15_1868:
	s_delay_alu instid0(SALU_CYCLE_1)
	s_and_b32 vcc_lo, exec_lo, s0
	s_cbranch_vccz .LBB15_1907
; %bb.1869:
	v_cmp_lt_i16_e64 s0, s2, 5
	s_delay_alu instid0(VALU_DEP_1)
	s_and_b32 vcc_lo, exec_lo, s0
	s_mov_b32 s0, -1
	s_cbranch_vccnz .LBB15_1890
; %bb.1870:
	v_cmp_lt_i16_e64 s0, s2, 8
	s_delay_alu instid0(VALU_DEP_1)
	s_and_b32 vcc_lo, exec_lo, s0
	s_mov_b32 s0, -1
	s_cbranch_vccnz .LBB15_1880
	;; [unrolled: 6-line block ×3, first 2 shown]
; %bb.1872:
	v_cmp_gt_i16_e64 s0, s2, 9
	s_delay_alu instid0(VALU_DEP_1)
	s_and_b32 vcc_lo, exec_lo, s0
	s_mov_b32 s0, -1
	s_cbranch_vccz .LBB15_1874
; %bb.1873:
	v_mov_b32_e32 v2, 0
	s_mov_b32 s0, 0
	s_delay_alu instid0(VALU_DEP_1)
	v_mov_b32_e32 v3, v2
	global_store_b128 v[15:16], v[0:3], off
.LBB15_1874:
	s_and_not1_b32 vcc_lo, exec_lo, s0
	s_cbranch_vccnz .LBB15_1876
; %bb.1875:
	v_cvt_f32_f64_e32 v2, v[0:1]
	v_mov_b32_e32 v3, 0
	global_store_b64 v[15:16], v[2:3], off
.LBB15_1876:
	s_mov_b32 s0, 0
.LBB15_1877:
	s_delay_alu instid0(SALU_CYCLE_1)
	s_and_not1_b32 vcc_lo, exec_lo, s0
	s_cbranch_vccnz .LBB15_1879
; %bb.1878:
	v_cvt_f32_f64_e32 v2, v[0:1]
	s_delay_alu instid0(VALU_DEP_1) | instskip(NEXT) | instid1(VALU_DEP_1)
	v_cvt_f16_f32_e32 v2, v2
	v_and_b32_e32 v2, 0xffff, v2
	global_store_b32 v[15:16], v2, off
.LBB15_1879:
	s_mov_b32 s0, 0
.LBB15_1880:
	s_delay_alu instid0(SALU_CYCLE_1)
	s_and_not1_b32 vcc_lo, exec_lo, s0
	s_cbranch_vccnz .LBB15_1889
; %bb.1881:
	v_cmp_lt_i16_e64 s0, s2, 6
	s_delay_alu instid0(VALU_DEP_1)
	s_and_b32 vcc_lo, exec_lo, s0
	s_mov_b32 s0, -1
	s_cbranch_vccnz .LBB15_1887
; %bb.1882:
	v_cmp_gt_i16_e64 s0, s2, 6
	s_delay_alu instid0(VALU_DEP_1)
	s_and_b32 vcc_lo, exec_lo, s0
	s_mov_b32 s0, -1
	s_cbranch_vccz .LBB15_1884
; %bb.1883:
	s_mov_b32 s0, 0
	global_store_b64 v[15:16], v[0:1], off
.LBB15_1884:
	s_and_not1_b32 vcc_lo, exec_lo, s0
	s_cbranch_vccnz .LBB15_1886
; %bb.1885:
	v_cvt_f32_f64_e32 v2, v[0:1]
	global_store_b32 v[15:16], v2, off
.LBB15_1886:
	s_mov_b32 s0, 0
.LBB15_1887:
	s_delay_alu instid0(SALU_CYCLE_1)
	s_and_not1_b32 vcc_lo, exec_lo, s0
	s_cbranch_vccnz .LBB15_1889
; %bb.1888:
	v_cvt_f32_f64_e32 v2, v[0:1]
	s_delay_alu instid0(VALU_DEP_1)
	v_cvt_f16_f32_e32 v2, v2
	global_store_b16 v[15:16], v2, off
.LBB15_1889:
	s_mov_b32 s0, 0
.LBB15_1890:
	s_delay_alu instid0(SALU_CYCLE_1)
	s_and_not1_b32 vcc_lo, exec_lo, s0
	s_cbranch_vccnz .LBB15_1906
; %bb.1891:
	v_cmp_lt_i16_e64 s0, s2, 2
	s_delay_alu instid0(VALU_DEP_1)
	s_and_b32 vcc_lo, exec_lo, s0
	s_mov_b32 s0, -1
	s_cbranch_vccnz .LBB15_1901
; %bb.1892:
	v_cmp_lt_i16_e64 s0, s2, 3
	s_delay_alu instid0(VALU_DEP_1)
	s_and_b32 vcc_lo, exec_lo, s0
	s_mov_b32 s0, -1
	s_cbranch_vccnz .LBB15_1898
; %bb.1893:
	v_cmp_gt_i16_e64 s0, s2, 3
	s_delay_alu instid0(VALU_DEP_1)
	s_and_b32 vcc_lo, exec_lo, s0
	s_mov_b32 s0, -1
	s_cbranch_vccz .LBB15_1895
; %bb.1894:
	v_trunc_f64_e32 v[2:3], v[0:1]
	s_mov_b32 s0, 0
	s_delay_alu instid0(VALU_DEP_1) | instskip(NEXT) | instid1(VALU_DEP_1)
	v_ldexp_f64 v[17:18], v[2:3], 0xffffffe0
	v_floor_f64_e32 v[17:18], v[17:18]
	s_delay_alu instid0(VALU_DEP_1) | instskip(SKIP_1) | instid1(VALU_DEP_2)
	v_fma_f64 v[2:3], 0xc1f00000, v[17:18], v[2:3]
	v_cvt_i32_f64_e32 v18, v[17:18]
	v_cvt_u32_f64_e32 v17, v[2:3]
	global_store_b64 v[15:16], v[17:18], off
.LBB15_1895:
	s_and_not1_b32 vcc_lo, exec_lo, s0
	s_cbranch_vccnz .LBB15_1897
; %bb.1896:
	v_cvt_i32_f64_e32 v2, v[0:1]
	global_store_b32 v[15:16], v2, off
.LBB15_1897:
	s_mov_b32 s0, 0
.LBB15_1898:
	s_delay_alu instid0(SALU_CYCLE_1)
	s_and_not1_b32 vcc_lo, exec_lo, s0
	s_cbranch_vccnz .LBB15_1900
; %bb.1899:
	v_cvt_i32_f64_e32 v2, v[0:1]
	global_store_b16 v[15:16], v2, off
.LBB15_1900:
	s_mov_b32 s0, 0
.LBB15_1901:
	s_delay_alu instid0(SALU_CYCLE_1)
	s_and_not1_b32 vcc_lo, exec_lo, s0
	s_cbranch_vccnz .LBB15_1906
; %bb.1902:
	v_cmp_gt_i16_e64 s0, s2, 0
	s_delay_alu instid0(VALU_DEP_1)
	s_and_b32 vcc_lo, exec_lo, s0
	s_mov_b32 s0, -1
	s_cbranch_vccz .LBB15_1904
; %bb.1903:
	v_cvt_i32_f64_e32 v2, v[0:1]
	s_mov_b32 s0, 0
	global_store_b8 v[15:16], v2, off
.LBB15_1904:
	s_and_not1_b32 vcc_lo, exec_lo, s0
	s_cbranch_vccnz .LBB15_1906
; %bb.1905:
	v_trunc_f64_e32 v[0:1], v[0:1]
	s_delay_alu instid0(VALU_DEP_1) | instskip(NEXT) | instid1(VALU_DEP_1)
	v_ldexp_f64 v[2:3], v[0:1], 0xffffffe0
	v_floor_f64_e32 v[2:3], v[2:3]
	s_delay_alu instid0(VALU_DEP_1) | instskip(NEXT) | instid1(VALU_DEP_1)
	v_fma_f64 v[0:1], 0xc1f00000, v[2:3], v[0:1]
	v_cvt_u32_f64_e32 v0, v[0:1]
	global_store_b8 v[15:16], v0, off
.LBB15_1906:
	s_mov_b32 s3, -1
.LBB15_1907:
	s_delay_alu instid0(SALU_CYCLE_1)
	s_and_not1_b32 vcc_lo, exec_lo, s3
	s_cbranch_vccnz .LBB15_2174
; %bb.1908:
	v_cmp_lt_i16_e64 s0, s2, 11
	v_add_co_u32 v0, s1, s4, v6
	s_delay_alu instid0(VALU_DEP_1) | instskip(SKIP_1) | instid1(VALU_DEP_3)
	v_add_co_ci_u32_e64 v1, null, s5, 0, s1
	s_mov_b32 s3, 0
	s_and_b32 vcc_lo, exec_lo, s0
	s_mov_b32 s0, -1
	s_cbranch_vccnz .LBB15_1997
; %bb.1909:
	v_cmp_gt_i16_e64 s0, s2, 25
	s_mov_b32 s6, -1
	s_mov_b32 s1, 0
	s_delay_alu instid0(VALU_DEP_1)
	s_and_b32 vcc_lo, exec_lo, s0
	s_mov_b32 s0, 0
	s_cbranch_vccz .LBB15_1953
; %bb.1910:
	v_cmp_gt_i16_e64 s0, s2, 28
	s_delay_alu instid0(VALU_DEP_1)
	s_and_b32 vcc_lo, exec_lo, s0
	s_cbranch_vccz .LBB15_1915
; %bb.1911:
	v_cmp_gt_i16_e64 s0, s2, 43
	s_delay_alu instid0(VALU_DEP_1)
	s_and_b32 vcc_lo, exec_lo, s0
	;; [unrolled: 5-line block ×3, first 2 shown]
	s_cbranch_vccz .LBB15_1925
; %bb.1913:
	v_cmp_eq_u16_e64 s3, s2, 46
	s_mov_b32 s0, -1
	s_mov_b32 s6, 0
	s_delay_alu instid0(VALU_DEP_1)
	s_and_b32 vcc_lo, exec_lo, s3
	s_mov_b32 s3, 0
	s_cbranch_vccz .LBB15_1926
; %bb.1914:
	v_cvt_f32_f64_e32 v2, v[4:5]
	s_mov_b32 s0, 0
	s_mov_b32 s3, -1
	s_delay_alu instid0(VALU_DEP_1) | instskip(SKIP_1) | instid1(VALU_DEP_2)
	v_bfe_u32 v3, v2, 16, 1
	v_cmp_o_f32_e32 vcc_lo, v2, v2
	v_add3_u32 v3, v2, v3, 0x7fff
	s_delay_alu instid0(VALU_DEP_1) | instskip(NEXT) | instid1(VALU_DEP_1)
	v_lshrrev_b32_e32 v3, 16, v3
	v_cndmask_b32_e32 v2, 0x7fc0, v3, vcc_lo
	global_store_b32 v[0:1], v2, off
	s_branch .LBB15_1926
.LBB15_1915:
	s_mov_b32 s0, 0
	s_branch .LBB15_1936
.LBB15_1916:
	s_or_saveexec_b32 s7, s7
                                        ; implicit-def: $sgpr8
	s_delay_alu instid0(SALU_CYCLE_1)
	s_xor_b32 exec_lo, exec_lo, s7
	s_cbranch_execz .LBB15_1818
.LBB15_1917:
	v_add_f32_e64 v3, 0x46000000, |v2|
	s_and_not1_b32 s6, s6, exec_lo
	s_mov_b32 s8, 0
	s_delay_alu instid0(VALU_DEP_1) | instskip(NEXT) | instid1(VALU_DEP_1)
	v_and_b32_e32 v3, 0xff, v3
	v_cmp_ne_u32_e32 vcc_lo, 0, v3
	s_and_b32 s9, vcc_lo, exec_lo
	s_delay_alu instid0(SALU_CYCLE_1)
	s_or_b32 s6, s6, s9
	s_or_b32 exec_lo, exec_lo, s7
	v_mov_b32_e32 v7, s8
	s_and_saveexec_b32 s7, s6
	s_cbranch_execnz .LBB15_1819
	s_branch .LBB15_1820
.LBB15_1918:
	s_mov_b32 s0, 0
	s_branch .LBB15_1932
.LBB15_1919:
	s_trap 2
	s_sendmsg_rtn_b32 s0, sendmsg(MSG_RTN_GET_DOORBELL)
	s_mov_b32 ttmp2, m0
	s_waitcnt lgkmcnt(0)
	s_and_b32 s0, s0, 0x3ff
	s_delay_alu instid0(SALU_CYCLE_1) | instskip(NEXT) | instid1(SALU_CYCLE_1)
	s_bitset1_b32 s0, 10
	s_mov_b32 m0, s0
	s_sendmsg sendmsg(MSG_INTERRUPT)
	s_mov_b32 m0, ttmp2
.LBB15_1920:                            ; =>This Inner Loop Header: Depth=1
	s_sethalt 5
	s_branch .LBB15_1920
.LBB15_1921:
	s_cbranch_execnz .LBB15_2048
; %bb.1922:
	s_or_b32 s12, s12, exec_lo
	s_cbranch_execz .LBB15_1866
	s_branch .LBB15_1867
.LBB15_1923:
	s_or_saveexec_b32 s6, s6
                                        ; implicit-def: $sgpr7
	s_delay_alu instid0(SALU_CYCLE_1)
	s_xor_b32 exec_lo, exec_lo, s6
	s_cbranch_execz .LBB15_1831
.LBB15_1924:
	v_add_f32_e64 v3, 0x42800000, |v2|
	s_and_not1_b32 s3, s3, exec_lo
	s_mov_b32 s7, 0
	s_delay_alu instid0(VALU_DEP_1) | instskip(NEXT) | instid1(VALU_DEP_1)
	v_and_b32_e32 v3, 0xff, v3
	v_cmp_ne_u32_e32 vcc_lo, 0, v3
	s_and_b32 s8, vcc_lo, exec_lo
	s_delay_alu instid0(SALU_CYCLE_1)
	s_or_b32 s3, s3, s8
	s_or_b32 exec_lo, exec_lo, s6
	v_mov_b32_e32 v7, s7
	s_and_saveexec_b32 s6, s3
	s_cbranch_execnz .LBB15_1832
	s_branch .LBB15_1833
.LBB15_1925:
	s_mov_b32 s0, 0
.LBB15_1926:
	s_and_b32 vcc_lo, exec_lo, s6
	s_cbranch_vccz .LBB15_1931
; %bb.1927:
	v_cmp_eq_u16_e64 s0, s2, 44
	s_delay_alu instid0(VALU_DEP_1)
	s_and_b32 vcc_lo, exec_lo, s0
	s_mov_b32 s0, -1
	s_cbranch_vccz .LBB15_1931
; %bb.1928:
	v_cvt_f32_f64_e32 v2, v[4:5]
	v_mov_b32_e32 v3, 0xff
	s_mov_b32 s3, exec_lo
	s_delay_alu instid0(VALU_DEP_2) | instskip(NEXT) | instid1(VALU_DEP_1)
	v_bfe_u32 v6, v2, 23, 8
	v_cmpx_ne_u32_e32 0xff, v6
; %bb.1929:
	v_and_b32_e32 v3, 0x400000, v2
	v_and_or_b32 v6, 0x3fffff, v2, v6
	v_lshrrev_b32_e32 v2, 23, v2
	s_delay_alu instid0(VALU_DEP_3) | instskip(NEXT) | instid1(VALU_DEP_3)
	v_cmp_ne_u32_e32 vcc_lo, 0, v3
	v_cmp_ne_u32_e64 s0, 0, v6
	s_delay_alu instid0(VALU_DEP_1) | instskip(NEXT) | instid1(SALU_CYCLE_1)
	s_and_b32 s0, vcc_lo, s0
	v_cndmask_b32_e64 v3, 0, 1, s0
	s_delay_alu instid0(VALU_DEP_1)
	v_add_nc_u32_e32 v3, v2, v3
; %bb.1930:
	s_or_b32 exec_lo, exec_lo, s3
	s_mov_b32 s0, 0
	s_mov_b32 s3, -1
	global_store_b8 v[0:1], v3, off
.LBB15_1931:
	s_mov_b32 s6, 0
.LBB15_1932:
	s_delay_alu instid0(SALU_CYCLE_1)
	s_and_b32 vcc_lo, exec_lo, s6
	s_cbranch_vccz .LBB15_1935
; %bb.1933:
	v_cmp_eq_u16_e64 s0, s2, 29
	s_delay_alu instid0(VALU_DEP_1)
	s_and_b32 vcc_lo, exec_lo, s0
	s_mov_b32 s0, -1
	s_cbranch_vccz .LBB15_1935
; %bb.1934:
	v_trunc_f64_e32 v[2:3], v[4:5]
	s_mov_b32 s0, 0
	s_mov_b32 s3, -1
	s_mov_b32 s6, 0
	s_delay_alu instid0(VALU_DEP_1) | instskip(NEXT) | instid1(VALU_DEP_1)
	v_ldexp_f64 v[6:7], v[2:3], 0xffffffe0
	v_floor_f64_e32 v[6:7], v[6:7]
	s_delay_alu instid0(VALU_DEP_1) | instskip(SKIP_1) | instid1(VALU_DEP_2)
	v_fma_f64 v[2:3], 0xc1f00000, v[6:7], v[2:3]
	v_cvt_u32_f64_e32 v7, v[6:7]
	v_cvt_u32_f64_e32 v6, v[2:3]
	global_store_b64 v[0:1], v[6:7], off
	s_branch .LBB15_1936
.LBB15_1935:
	s_mov_b32 s6, 0
.LBB15_1936:
	s_delay_alu instid0(SALU_CYCLE_1)
	s_and_b32 vcc_lo, exec_lo, s6
	s_cbranch_vccz .LBB15_1952
; %bb.1937:
	v_cmp_lt_i16_e64 s3, s2, 27
	s_delay_alu instid0(VALU_DEP_1)
	s_and_b32 vcc_lo, exec_lo, s3
	s_mov_b32 s3, -1
	s_cbranch_vccnz .LBB15_1943
; %bb.1938:
	v_cvt_u32_f64_e32 v2, v[4:5]
	v_cmp_gt_i16_e64 s3, s2, 27
	s_delay_alu instid0(VALU_DEP_1)
	s_and_b32 vcc_lo, exec_lo, s3
	s_mov_b32 s3, -1
	s_cbranch_vccz .LBB15_1940
; %bb.1939:
	s_mov_b32 s3, 0
	global_store_b32 v[0:1], v2, off
.LBB15_1940:
	s_and_not1_b32 vcc_lo, exec_lo, s3
	s_cbranch_vccnz .LBB15_1942
; %bb.1941:
	global_store_b16 v[0:1], v2, off
.LBB15_1942:
	s_mov_b32 s3, 0
.LBB15_1943:
	s_delay_alu instid0(SALU_CYCLE_1)
	s_and_not1_b32 vcc_lo, exec_lo, s3
	s_cbranch_vccnz .LBB15_1951
; %bb.1944:
	v_cvt_f32_f64_e32 v2, v[4:5]
	v_mov_b32_e32 v6, 0x80
	s_mov_b32 s3, exec_lo
	s_delay_alu instid0(VALU_DEP_2) | instskip(NEXT) | instid1(VALU_DEP_1)
	v_and_b32_e32 v3, 0x7fffffff, v2
	v_cmpx_gt_u32_e32 0x43800000, v3
	s_cbranch_execz .LBB15_1950
; %bb.1945:
	v_cmp_lt_u32_e32 vcc_lo, 0x3bffffff, v3
	s_mov_b32 s6, 0
                                        ; implicit-def: $vgpr3
	s_and_saveexec_b32 s7, vcc_lo
	s_delay_alu instid0(SALU_CYCLE_1)
	s_xor_b32 s7, exec_lo, s7
	s_cbranch_execz .LBB15_2045
; %bb.1946:
	v_bfe_u32 v3, v2, 20, 1
	s_mov_b32 s6, exec_lo
	s_delay_alu instid0(VALU_DEP_1) | instskip(NEXT) | instid1(VALU_DEP_1)
	v_add3_u32 v3, v2, v3, 0x487ffff
	v_lshrrev_b32_e32 v3, 20, v3
	s_or_saveexec_b32 s7, s7
                                        ; implicit-def: $sgpr8
	s_delay_alu instid0(SALU_CYCLE_1)
	s_xor_b32 exec_lo, exec_lo, s7
	s_cbranch_execnz .LBB15_2046
.LBB15_1947:
	s_or_b32 exec_lo, exec_lo, s7
	v_mov_b32_e32 v6, s8
	s_and_saveexec_b32 s7, s6
.LBB15_1948:
	v_lshrrev_b32_e32 v2, 24, v2
	s_delay_alu instid0(VALU_DEP_1)
	v_and_or_b32 v6, 0x80, v2, v3
.LBB15_1949:
	s_or_b32 exec_lo, exec_lo, s7
.LBB15_1950:
	s_delay_alu instid0(SALU_CYCLE_1)
	s_or_b32 exec_lo, exec_lo, s3
	global_store_b8 v[0:1], v6, off
.LBB15_1951:
	s_mov_b32 s3, -1
.LBB15_1952:
	s_mov_b32 s6, 0
.LBB15_1953:
	s_delay_alu instid0(SALU_CYCLE_1)
	s_and_b32 vcc_lo, exec_lo, s6
	s_cbranch_vccz .LBB15_1993
; %bb.1954:
	v_cmp_gt_i16_e64 s1, s2, 22
	s_delay_alu instid0(VALU_DEP_1)
	s_and_b32 vcc_lo, exec_lo, s1
	s_mov_b32 s1, -1
	s_cbranch_vccz .LBB15_1986
; %bb.1955:
	v_cmp_lt_i16_e64 s1, s2, 24
	s_delay_alu instid0(VALU_DEP_1)
	s_and_b32 vcc_lo, exec_lo, s1
	s_mov_b32 s1, -1
	s_cbranch_vccnz .LBB15_1975
; %bb.1956:
	v_cmp_gt_i16_e64 s1, s2, 24
	s_delay_alu instid0(VALU_DEP_1)
	s_and_b32 vcc_lo, exec_lo, s1
	s_mov_b32 s1, -1
	s_cbranch_vccz .LBB15_1964
; %bb.1957:
	v_cvt_f32_f64_e32 v2, v[4:5]
	v_mov_b32_e32 v6, 0x80
	s_mov_b32 s1, exec_lo
	s_delay_alu instid0(VALU_DEP_2) | instskip(NEXT) | instid1(VALU_DEP_1)
	v_and_b32_e32 v3, 0x7fffffff, v2
	v_cmpx_gt_u32_e32 0x47800000, v3
	s_cbranch_execz .LBB15_1963
; %bb.1958:
	v_cmp_lt_u32_e32 vcc_lo, 0x37ffffff, v3
	s_mov_b32 s3, 0
                                        ; implicit-def: $vgpr3
	s_and_saveexec_b32 s6, vcc_lo
	s_delay_alu instid0(SALU_CYCLE_1)
	s_xor_b32 s6, exec_lo, s6
	s_cbranch_execz .LBB15_2052
; %bb.1959:
	v_bfe_u32 v3, v2, 21, 1
	s_mov_b32 s3, exec_lo
	s_delay_alu instid0(VALU_DEP_1) | instskip(NEXT) | instid1(VALU_DEP_1)
	v_add3_u32 v3, v2, v3, 0x88fffff
	v_lshrrev_b32_e32 v3, 21, v3
	s_or_saveexec_b32 s6, s6
                                        ; implicit-def: $sgpr7
	s_delay_alu instid0(SALU_CYCLE_1)
	s_xor_b32 exec_lo, exec_lo, s6
	s_cbranch_execnz .LBB15_2053
.LBB15_1960:
	s_or_b32 exec_lo, exec_lo, s6
	v_mov_b32_e32 v6, s7
	s_and_saveexec_b32 s6, s3
.LBB15_1961:
	v_lshrrev_b32_e32 v2, 24, v2
	s_delay_alu instid0(VALU_DEP_1)
	v_and_or_b32 v6, 0x80, v2, v3
.LBB15_1962:
	s_or_b32 exec_lo, exec_lo, s6
.LBB15_1963:
	s_delay_alu instid0(SALU_CYCLE_1)
	s_or_b32 exec_lo, exec_lo, s1
	s_mov_b32 s1, 0
	global_store_b8 v[0:1], v6, off
.LBB15_1964:
	s_and_b32 vcc_lo, exec_lo, s1
	s_cbranch_vccz .LBB15_1974
; %bb.1965:
	v_cvt_f32_f64_e32 v2, v[4:5]
	s_mov_b32 s1, exec_lo
                                        ; implicit-def: $vgpr3
	s_delay_alu instid0(VALU_DEP_1) | instskip(NEXT) | instid1(VALU_DEP_1)
	v_and_b32_e32 v6, 0x7fffffff, v2
	v_cmpx_gt_u32_e32 0x43f00000, v6
	s_xor_b32 s1, exec_lo, s1
	s_cbranch_execz .LBB15_1971
; %bb.1966:
	s_mov_b32 s3, exec_lo
                                        ; implicit-def: $vgpr3
	v_cmpx_lt_u32_e32 0x3c7fffff, v6
	s_xor_b32 s3, exec_lo, s3
; %bb.1967:
	v_bfe_u32 v3, v2, 20, 1
	s_delay_alu instid0(VALU_DEP_1) | instskip(NEXT) | instid1(VALU_DEP_1)
	v_add3_u32 v3, v2, v3, 0x407ffff
	v_and_b32_e32 v6, 0xff00000, v3
	v_lshrrev_b32_e32 v3, 20, v3
	s_delay_alu instid0(VALU_DEP_2) | instskip(NEXT) | instid1(VALU_DEP_2)
	v_cmp_ne_u32_e32 vcc_lo, 0x7f00000, v6
	v_cndmask_b32_e32 v3, 0x7e, v3, vcc_lo
; %bb.1968:
	s_and_not1_saveexec_b32 s3, s3
; %bb.1969:
	v_add_f32_e64 v3, 0x46800000, |v2|
; %bb.1970:
	s_or_b32 exec_lo, exec_lo, s3
                                        ; implicit-def: $vgpr6
.LBB15_1971:
	s_and_not1_saveexec_b32 s1, s1
; %bb.1972:
	v_mov_b32_e32 v3, 0x7f
	v_cmp_lt_u32_e32 vcc_lo, 0x7f800000, v6
	s_delay_alu instid0(VALU_DEP_2)
	v_cndmask_b32_e32 v3, 0x7e, v3, vcc_lo
; %bb.1973:
	s_or_b32 exec_lo, exec_lo, s1
	v_lshrrev_b32_e32 v2, 24, v2
	s_delay_alu instid0(VALU_DEP_1)
	v_and_or_b32 v2, 0x80, v2, v3
	global_store_b8 v[0:1], v2, off
.LBB15_1974:
	s_mov_b32 s1, 0
.LBB15_1975:
	s_delay_alu instid0(SALU_CYCLE_1)
	s_and_not1_b32 vcc_lo, exec_lo, s1
	s_cbranch_vccnz .LBB15_1985
; %bb.1976:
	v_cvt_f32_f64_e32 v2, v[4:5]
	s_mov_b32 s1, exec_lo
                                        ; implicit-def: $vgpr3
	s_delay_alu instid0(VALU_DEP_1) | instskip(NEXT) | instid1(VALU_DEP_1)
	v_and_b32_e32 v6, 0x7fffffff, v2
	v_cmpx_gt_u32_e32 0x47800000, v6
	s_xor_b32 s1, exec_lo, s1
	s_cbranch_execz .LBB15_1982
; %bb.1977:
	s_mov_b32 s3, exec_lo
                                        ; implicit-def: $vgpr3
	v_cmpx_lt_u32_e32 0x387fffff, v6
	s_xor_b32 s3, exec_lo, s3
; %bb.1978:
	v_bfe_u32 v3, v2, 21, 1
	s_delay_alu instid0(VALU_DEP_1) | instskip(NEXT) | instid1(VALU_DEP_1)
	v_add3_u32 v3, v2, v3, 0x80fffff
	v_lshrrev_b32_e32 v3, 21, v3
; %bb.1979:
	s_and_not1_saveexec_b32 s3, s3
; %bb.1980:
	v_add_f32_e64 v3, 0x43000000, |v2|
; %bb.1981:
	s_or_b32 exec_lo, exec_lo, s3
                                        ; implicit-def: $vgpr6
.LBB15_1982:
	s_and_not1_saveexec_b32 s1, s1
; %bb.1983:
	v_mov_b32_e32 v3, 0x7f
	v_cmp_lt_u32_e32 vcc_lo, 0x7f800000, v6
	s_delay_alu instid0(VALU_DEP_2)
	v_cndmask_b32_e32 v3, 0x7c, v3, vcc_lo
; %bb.1984:
	s_or_b32 exec_lo, exec_lo, s1
	v_lshrrev_b32_e32 v2, 24, v2
	s_delay_alu instid0(VALU_DEP_1)
	v_and_or_b32 v2, 0x80, v2, v3
	global_store_b8 v[0:1], v2, off
.LBB15_1985:
	s_mov_b32 s1, 0
	s_mov_b32 s3, -1
.LBB15_1986:
	s_and_not1_b32 vcc_lo, exec_lo, s1
	s_mov_b32 s1, 0
	s_cbranch_vccnz .LBB15_1993
; %bb.1987:
	v_cmp_gt_i16_e64 s1, s2, 14
	s_delay_alu instid0(VALU_DEP_1)
	s_and_b32 vcc_lo, exec_lo, s1
	s_mov_b32 s1, -1
	s_cbranch_vccz .LBB15_1991
; %bb.1988:
	v_cmp_eq_u16_e64 s0, s2, 15
	s_delay_alu instid0(VALU_DEP_1)
	s_and_b32 vcc_lo, exec_lo, s0
	s_mov_b32 s0, -1
	s_cbranch_vccz .LBB15_1990
; %bb.1989:
	v_cvt_f32_f64_e32 v2, v[4:5]
	s_mov_b32 s0, 0
	s_mov_b32 s3, -1
	s_delay_alu instid0(VALU_DEP_1) | instskip(SKIP_1) | instid1(VALU_DEP_2)
	v_bfe_u32 v3, v2, 16, 1
	v_cmp_o_f32_e32 vcc_lo, v2, v2
	v_add3_u32 v3, v2, v3, 0x7fff
	s_delay_alu instid0(VALU_DEP_1) | instskip(NEXT) | instid1(VALU_DEP_1)
	v_lshrrev_b32_e32 v3, 16, v3
	v_cndmask_b32_e32 v2, 0x7fc0, v3, vcc_lo
	global_store_b16 v[0:1], v2, off
.LBB15_1990:
	s_mov_b32 s1, 0
.LBB15_1991:
	s_delay_alu instid0(SALU_CYCLE_1)
	s_and_b32 vcc_lo, exec_lo, s1
	s_mov_b32 s1, 0
	s_cbranch_vccz .LBB15_1993
; %bb.1992:
	v_cmp_ne_u16_e64 s0, s2, 11
	s_mov_b32 s1, -1
.LBB15_1993:
	s_delay_alu instid0(VALU_DEP_1)
	s_and_b32 vcc_lo, exec_lo, s0
	s_cbranch_vccnz .LBB15_2050
; %bb.1994:
	s_and_not1_b32 vcc_lo, exec_lo, s1
	s_cbranch_vccnz .LBB15_1996
.LBB15_1995:
	v_cmp_neq_f64_e32 vcc_lo, 0, v[4:5]
	s_mov_b32 s3, -1
	v_cndmask_b32_e64 v2, 0, 1, vcc_lo
	global_store_b8 v[0:1], v2, off
.LBB15_1996:
	s_mov_b32 s0, 0
.LBB15_1997:
	s_delay_alu instid0(SALU_CYCLE_1)
	s_and_b32 vcc_lo, exec_lo, s0
	s_cbranch_vccz .LBB15_2036
; %bb.1998:
	v_cmp_lt_i16_e64 s0, s2, 5
	s_delay_alu instid0(VALU_DEP_1)
	s_and_b32 vcc_lo, exec_lo, s0
	s_mov_b32 s0, -1
	s_cbranch_vccnz .LBB15_2019
; %bb.1999:
	v_cmp_lt_i16_e64 s0, s2, 8
	s_delay_alu instid0(VALU_DEP_1)
	s_and_b32 vcc_lo, exec_lo, s0
	s_mov_b32 s0, -1
	s_cbranch_vccnz .LBB15_2009
	;; [unrolled: 6-line block ×3, first 2 shown]
; %bb.2001:
	v_cmp_gt_i16_e64 s0, s2, 9
	s_delay_alu instid0(VALU_DEP_1)
	s_and_b32 vcc_lo, exec_lo, s0
	s_mov_b32 s0, -1
	s_cbranch_vccz .LBB15_2003
; %bb.2002:
	v_mov_b32_e32 v6, 0
	s_mov_b32 s0, 0
	s_delay_alu instid0(VALU_DEP_1)
	v_mov_b32_e32 v7, v6
	global_store_b128 v[0:1], v[4:7], off
.LBB15_2003:
	s_and_not1_b32 vcc_lo, exec_lo, s0
	s_cbranch_vccnz .LBB15_2005
; %bb.2004:
	v_cvt_f32_f64_e32 v2, v[4:5]
	v_mov_b32_e32 v3, 0
	global_store_b64 v[0:1], v[2:3], off
.LBB15_2005:
	s_mov_b32 s0, 0
.LBB15_2006:
	s_delay_alu instid0(SALU_CYCLE_1)
	s_and_not1_b32 vcc_lo, exec_lo, s0
	s_cbranch_vccnz .LBB15_2008
; %bb.2007:
	v_cvt_f32_f64_e32 v2, v[4:5]
	s_delay_alu instid0(VALU_DEP_1) | instskip(NEXT) | instid1(VALU_DEP_1)
	v_cvt_f16_f32_e32 v2, v2
	v_and_b32_e32 v2, 0xffff, v2
	global_store_b32 v[0:1], v2, off
.LBB15_2008:
	s_mov_b32 s0, 0
.LBB15_2009:
	s_delay_alu instid0(SALU_CYCLE_1)
	s_and_not1_b32 vcc_lo, exec_lo, s0
	s_cbranch_vccnz .LBB15_2018
; %bb.2010:
	v_cmp_lt_i16_e64 s0, s2, 6
	s_delay_alu instid0(VALU_DEP_1)
	s_and_b32 vcc_lo, exec_lo, s0
	s_mov_b32 s0, -1
	s_cbranch_vccnz .LBB15_2016
; %bb.2011:
	v_cmp_gt_i16_e64 s0, s2, 6
	s_delay_alu instid0(VALU_DEP_1)
	s_and_b32 vcc_lo, exec_lo, s0
	s_mov_b32 s0, -1
	s_cbranch_vccz .LBB15_2013
; %bb.2012:
	s_mov_b32 s0, 0
	global_store_b64 v[0:1], v[4:5], off
.LBB15_2013:
	s_and_not1_b32 vcc_lo, exec_lo, s0
	s_cbranch_vccnz .LBB15_2015
; %bb.2014:
	v_cvt_f32_f64_e32 v2, v[4:5]
	global_store_b32 v[0:1], v2, off
.LBB15_2015:
	s_mov_b32 s0, 0
.LBB15_2016:
	s_delay_alu instid0(SALU_CYCLE_1)
	s_and_not1_b32 vcc_lo, exec_lo, s0
	s_cbranch_vccnz .LBB15_2018
; %bb.2017:
	v_cvt_f32_f64_e32 v2, v[4:5]
	s_delay_alu instid0(VALU_DEP_1)
	v_cvt_f16_f32_e32 v2, v2
	global_store_b16 v[0:1], v2, off
.LBB15_2018:
	s_mov_b32 s0, 0
.LBB15_2019:
	s_delay_alu instid0(SALU_CYCLE_1)
	s_and_not1_b32 vcc_lo, exec_lo, s0
	s_cbranch_vccnz .LBB15_2035
; %bb.2020:
	v_cmp_lt_i16_e64 s0, s2, 2
	s_delay_alu instid0(VALU_DEP_1)
	s_and_b32 vcc_lo, exec_lo, s0
	s_mov_b32 s0, -1
	s_cbranch_vccnz .LBB15_2030
; %bb.2021:
	v_cmp_lt_i16_e64 s0, s2, 3
	s_delay_alu instid0(VALU_DEP_1)
	s_and_b32 vcc_lo, exec_lo, s0
	s_mov_b32 s0, -1
	s_cbranch_vccnz .LBB15_2027
; %bb.2022:
	v_cmp_gt_i16_e64 s0, s2, 3
	s_delay_alu instid0(VALU_DEP_1)
	s_and_b32 vcc_lo, exec_lo, s0
	s_mov_b32 s0, -1
	s_cbranch_vccz .LBB15_2024
; %bb.2023:
	v_trunc_f64_e32 v[2:3], v[4:5]
	s_mov_b32 s0, 0
	s_delay_alu instid0(VALU_DEP_1) | instskip(NEXT) | instid1(VALU_DEP_1)
	v_ldexp_f64 v[6:7], v[2:3], 0xffffffe0
	v_floor_f64_e32 v[6:7], v[6:7]
	s_delay_alu instid0(VALU_DEP_1) | instskip(SKIP_1) | instid1(VALU_DEP_2)
	v_fma_f64 v[2:3], 0xc1f00000, v[6:7], v[2:3]
	v_cvt_i32_f64_e32 v7, v[6:7]
	v_cvt_u32_f64_e32 v6, v[2:3]
	global_store_b64 v[0:1], v[6:7], off
.LBB15_2024:
	s_and_not1_b32 vcc_lo, exec_lo, s0
	s_cbranch_vccnz .LBB15_2026
; %bb.2025:
	v_cvt_i32_f64_e32 v2, v[4:5]
	global_store_b32 v[0:1], v2, off
.LBB15_2026:
	s_mov_b32 s0, 0
.LBB15_2027:
	s_delay_alu instid0(SALU_CYCLE_1)
	s_and_not1_b32 vcc_lo, exec_lo, s0
	s_cbranch_vccnz .LBB15_2029
; %bb.2028:
	v_cvt_i32_f64_e32 v2, v[4:5]
	global_store_b16 v[0:1], v2, off
.LBB15_2029:
	s_mov_b32 s0, 0
.LBB15_2030:
	s_delay_alu instid0(SALU_CYCLE_1)
	s_and_not1_b32 vcc_lo, exec_lo, s0
	s_cbranch_vccnz .LBB15_2035
; %bb.2031:
	v_cmp_gt_i16_e64 s0, s2, 0
	s_delay_alu instid0(VALU_DEP_1)
	s_and_b32 vcc_lo, exec_lo, s0
	s_mov_b32 s0, -1
	s_cbranch_vccz .LBB15_2033
; %bb.2032:
	v_cvt_i32_f64_e32 v2, v[4:5]
	s_mov_b32 s0, 0
	global_store_b8 v[0:1], v2, off
.LBB15_2033:
	s_and_not1_b32 vcc_lo, exec_lo, s0
	s_cbranch_vccnz .LBB15_2035
; %bb.2034:
	v_trunc_f64_e32 v[2:3], v[4:5]
	s_delay_alu instid0(VALU_DEP_1) | instskip(NEXT) | instid1(VALU_DEP_1)
	v_ldexp_f64 v[4:5], v[2:3], 0xffffffe0
	v_floor_f64_e32 v[4:5], v[4:5]
	s_delay_alu instid0(VALU_DEP_1) | instskip(NEXT) | instid1(VALU_DEP_1)
	v_fma_f64 v[2:3], 0xc1f00000, v[4:5], v[2:3]
	v_cvt_u32_f64_e32 v2, v[2:3]
	global_store_b8 v[0:1], v2, off
.LBB15_2035:
	s_mov_b32 s3, -1
.LBB15_2036:
	s_delay_alu instid0(SALU_CYCLE_1)
	s_and_not1_b32 vcc_lo, exec_lo, s3
	s_cbranch_vccnz .LBB15_2174
; %bb.2037:
	v_cmp_lt_i16_e64 s0, s2, 11
	v_add_co_u32 v0, s1, s4, v12
	s_delay_alu instid0(VALU_DEP_1) | instskip(SKIP_1) | instid1(VALU_DEP_3)
	v_add_co_ci_u32_e64 v1, null, s5, 0, s1
	s_mov_b32 s3, 0
	s_and_b32 vcc_lo, exec_lo, s0
	s_mov_b32 s0, -1
	s_cbranch_vccnz .LBB15_2126
; %bb.2038:
	v_cmp_gt_i16_e64 s0, s2, 25
	s_mov_b32 s6, -1
	s_mov_b32 s1, 0
	s_delay_alu instid0(VALU_DEP_1)
	s_and_b32 vcc_lo, exec_lo, s0
	s_mov_b32 s0, 0
	s_cbranch_vccz .LBB15_2082
; %bb.2039:
	v_cmp_gt_i16_e64 s0, s2, 28
	s_delay_alu instid0(VALU_DEP_1)
	s_and_b32 vcc_lo, exec_lo, s0
	s_cbranch_vccz .LBB15_2044
; %bb.2040:
	v_cmp_gt_i16_e64 s0, s2, 43
	s_delay_alu instid0(VALU_DEP_1)
	s_and_b32 vcc_lo, exec_lo, s0
	;; [unrolled: 5-line block ×3, first 2 shown]
	s_cbranch_vccz .LBB15_2054
; %bb.2042:
	v_cmp_eq_u16_e64 s3, s2, 46
	s_mov_b32 s0, -1
	s_mov_b32 s6, 0
	s_delay_alu instid0(VALU_DEP_1)
	s_and_b32 vcc_lo, exec_lo, s3
	s_mov_b32 s3, 0
	s_cbranch_vccz .LBB15_2055
; %bb.2043:
	v_cvt_f32_f64_e32 v2, v[10:11]
	s_mov_b32 s0, 0
	s_mov_b32 s3, -1
	s_delay_alu instid0(VALU_DEP_1) | instskip(SKIP_1) | instid1(VALU_DEP_2)
	v_bfe_u32 v3, v2, 16, 1
	v_cmp_o_f32_e32 vcc_lo, v2, v2
	v_add3_u32 v3, v2, v3, 0x7fff
	s_delay_alu instid0(VALU_DEP_1) | instskip(NEXT) | instid1(VALU_DEP_1)
	v_lshrrev_b32_e32 v3, 16, v3
	v_cndmask_b32_e32 v2, 0x7fc0, v3, vcc_lo
	global_store_b32 v[0:1], v2, off
	s_branch .LBB15_2055
.LBB15_2044:
	s_mov_b32 s0, 0
	s_branch .LBB15_2065
.LBB15_2045:
	s_or_saveexec_b32 s7, s7
                                        ; implicit-def: $sgpr8
	s_delay_alu instid0(SALU_CYCLE_1)
	s_xor_b32 exec_lo, exec_lo, s7
	s_cbranch_execz .LBB15_1947
.LBB15_2046:
	v_add_f32_e64 v3, 0x46000000, |v2|
	s_and_not1_b32 s6, s6, exec_lo
	s_mov_b32 s8, 0
	s_delay_alu instid0(VALU_DEP_1) | instskip(NEXT) | instid1(VALU_DEP_1)
	v_and_b32_e32 v3, 0xff, v3
	v_cmp_ne_u32_e32 vcc_lo, 0, v3
	s_and_b32 s9, vcc_lo, exec_lo
	s_delay_alu instid0(SALU_CYCLE_1)
	s_or_b32 s6, s6, s9
	s_or_b32 exec_lo, exec_lo, s7
	v_mov_b32_e32 v6, s8
	s_and_saveexec_b32 s7, s6
	s_cbranch_execnz .LBB15_1948
	s_branch .LBB15_1949
.LBB15_2047:
	s_mov_b32 s0, 0
	s_branch .LBB15_2061
.LBB15_2048:
	s_trap 2
	s_sendmsg_rtn_b32 s0, sendmsg(MSG_RTN_GET_DOORBELL)
	s_mov_b32 ttmp2, m0
	s_waitcnt lgkmcnt(0)
	s_and_b32 s0, s0, 0x3ff
	s_delay_alu instid0(SALU_CYCLE_1) | instskip(NEXT) | instid1(SALU_CYCLE_1)
	s_bitset1_b32 s0, 10
	s_mov_b32 m0, s0
	s_sendmsg sendmsg(MSG_INTERRUPT)
	s_mov_b32 m0, ttmp2
.LBB15_2049:                            ; =>This Inner Loop Header: Depth=1
	s_sethalt 5
	s_branch .LBB15_2049
.LBB15_2050:
	s_cbranch_execnz .LBB15_2179
; %bb.2051:
	s_or_b32 s12, s12, exec_lo
	s_cbranch_execz .LBB15_1995
	s_branch .LBB15_1996
.LBB15_2052:
	s_or_saveexec_b32 s6, s6
                                        ; implicit-def: $sgpr7
	s_delay_alu instid0(SALU_CYCLE_1)
	s_xor_b32 exec_lo, exec_lo, s6
	s_cbranch_execz .LBB15_1960
.LBB15_2053:
	v_add_f32_e64 v3, 0x42800000, |v2|
	s_and_not1_b32 s3, s3, exec_lo
	s_mov_b32 s7, 0
	s_delay_alu instid0(VALU_DEP_1) | instskip(NEXT) | instid1(VALU_DEP_1)
	v_and_b32_e32 v3, 0xff, v3
	v_cmp_ne_u32_e32 vcc_lo, 0, v3
	s_and_b32 s8, vcc_lo, exec_lo
	s_delay_alu instid0(SALU_CYCLE_1)
	s_or_b32 s3, s3, s8
	s_or_b32 exec_lo, exec_lo, s6
	v_mov_b32_e32 v6, s7
	s_and_saveexec_b32 s6, s3
	s_cbranch_execnz .LBB15_1961
	s_branch .LBB15_1962
.LBB15_2054:
	s_mov_b32 s0, 0
.LBB15_2055:
	s_and_b32 vcc_lo, exec_lo, s6
	s_cbranch_vccz .LBB15_2060
; %bb.2056:
	v_cmp_eq_u16_e64 s0, s2, 44
	s_delay_alu instid0(VALU_DEP_1)
	s_and_b32 vcc_lo, exec_lo, s0
	s_mov_b32 s0, -1
	s_cbranch_vccz .LBB15_2060
; %bb.2057:
	v_cvt_f32_f64_e32 v2, v[10:11]
	v_mov_b32_e32 v3, 0xff
	s_mov_b32 s3, exec_lo
	s_delay_alu instid0(VALU_DEP_2) | instskip(NEXT) | instid1(VALU_DEP_1)
	v_bfe_u32 v4, v2, 23, 8
	v_cmpx_ne_u32_e32 0xff, v4
; %bb.2058:
	v_and_b32_e32 v3, 0x400000, v2
	v_and_or_b32 v4, 0x3fffff, v2, v4
	v_lshrrev_b32_e32 v2, 23, v2
	s_delay_alu instid0(VALU_DEP_3) | instskip(NEXT) | instid1(VALU_DEP_3)
	v_cmp_ne_u32_e32 vcc_lo, 0, v3
	v_cmp_ne_u32_e64 s0, 0, v4
	s_delay_alu instid0(VALU_DEP_1) | instskip(NEXT) | instid1(SALU_CYCLE_1)
	s_and_b32 s0, vcc_lo, s0
	v_cndmask_b32_e64 v3, 0, 1, s0
	s_delay_alu instid0(VALU_DEP_1)
	v_add_nc_u32_e32 v3, v2, v3
; %bb.2059:
	s_or_b32 exec_lo, exec_lo, s3
	s_mov_b32 s0, 0
	s_mov_b32 s3, -1
	global_store_b8 v[0:1], v3, off
.LBB15_2060:
	s_mov_b32 s6, 0
.LBB15_2061:
	s_delay_alu instid0(SALU_CYCLE_1)
	s_and_b32 vcc_lo, exec_lo, s6
	s_cbranch_vccz .LBB15_2064
; %bb.2062:
	v_cmp_eq_u16_e64 s0, s2, 29
	s_delay_alu instid0(VALU_DEP_1)
	s_and_b32 vcc_lo, exec_lo, s0
	s_mov_b32 s0, -1
	s_cbranch_vccz .LBB15_2064
; %bb.2063:
	v_trunc_f64_e32 v[2:3], v[10:11]
	s_mov_b32 s0, 0
	s_mov_b32 s3, -1
	s_mov_b32 s6, 0
	s_delay_alu instid0(VALU_DEP_1) | instskip(NEXT) | instid1(VALU_DEP_1)
	v_ldexp_f64 v[4:5], v[2:3], 0xffffffe0
	v_floor_f64_e32 v[4:5], v[4:5]
	s_delay_alu instid0(VALU_DEP_1) | instskip(SKIP_1) | instid1(VALU_DEP_2)
	v_fma_f64 v[2:3], 0xc1f00000, v[4:5], v[2:3]
	v_cvt_u32_f64_e32 v4, v[4:5]
	v_cvt_u32_f64_e32 v3, v[2:3]
	global_store_b64 v[0:1], v[3:4], off
	s_branch .LBB15_2065
.LBB15_2064:
	s_mov_b32 s6, 0
.LBB15_2065:
	s_delay_alu instid0(SALU_CYCLE_1)
	s_and_b32 vcc_lo, exec_lo, s6
	s_cbranch_vccz .LBB15_2081
; %bb.2066:
	v_cmp_lt_i16_e64 s3, s2, 27
	s_delay_alu instid0(VALU_DEP_1)
	s_and_b32 vcc_lo, exec_lo, s3
	s_mov_b32 s3, -1
	s_cbranch_vccnz .LBB15_2072
; %bb.2067:
	v_cvt_u32_f64_e32 v2, v[10:11]
	v_cmp_gt_i16_e64 s3, s2, 27
	s_delay_alu instid0(VALU_DEP_1)
	s_and_b32 vcc_lo, exec_lo, s3
	s_mov_b32 s3, -1
	s_cbranch_vccz .LBB15_2069
; %bb.2068:
	s_mov_b32 s3, 0
	global_store_b32 v[0:1], v2, off
.LBB15_2069:
	s_and_not1_b32 vcc_lo, exec_lo, s3
	s_cbranch_vccnz .LBB15_2071
; %bb.2070:
	global_store_b16 v[0:1], v2, off
.LBB15_2071:
	s_mov_b32 s3, 0
.LBB15_2072:
	s_delay_alu instid0(SALU_CYCLE_1)
	s_and_not1_b32 vcc_lo, exec_lo, s3
	s_cbranch_vccnz .LBB15_2080
; %bb.2073:
	v_cvt_f32_f64_e32 v2, v[10:11]
	v_mov_b32_e32 v4, 0x80
	s_mov_b32 s3, exec_lo
	s_delay_alu instid0(VALU_DEP_2) | instskip(NEXT) | instid1(VALU_DEP_1)
	v_and_b32_e32 v3, 0x7fffffff, v2
	v_cmpx_gt_u32_e32 0x43800000, v3
	s_cbranch_execz .LBB15_2079
; %bb.2074:
	v_cmp_lt_u32_e32 vcc_lo, 0x3bffffff, v3
	s_mov_b32 s6, 0
                                        ; implicit-def: $vgpr3
	s_and_saveexec_b32 s7, vcc_lo
	s_delay_alu instid0(SALU_CYCLE_1)
	s_xor_b32 s7, exec_lo, s7
	s_cbranch_execz .LBB15_2176
; %bb.2075:
	v_bfe_u32 v3, v2, 20, 1
	s_mov_b32 s6, exec_lo
	s_delay_alu instid0(VALU_DEP_1) | instskip(NEXT) | instid1(VALU_DEP_1)
	v_add3_u32 v3, v2, v3, 0x487ffff
	v_lshrrev_b32_e32 v3, 20, v3
	s_or_saveexec_b32 s7, s7
                                        ; implicit-def: $sgpr8
	s_delay_alu instid0(SALU_CYCLE_1)
	s_xor_b32 exec_lo, exec_lo, s7
	s_cbranch_execnz .LBB15_2177
.LBB15_2076:
	s_or_b32 exec_lo, exec_lo, s7
	v_mov_b32_e32 v4, s8
	s_and_saveexec_b32 s7, s6
.LBB15_2077:
	v_lshrrev_b32_e32 v2, 24, v2
	s_delay_alu instid0(VALU_DEP_1)
	v_and_or_b32 v4, 0x80, v2, v3
.LBB15_2078:
	s_or_b32 exec_lo, exec_lo, s7
.LBB15_2079:
	s_delay_alu instid0(SALU_CYCLE_1)
	s_or_b32 exec_lo, exec_lo, s3
	global_store_b8 v[0:1], v4, off
.LBB15_2080:
	s_mov_b32 s3, -1
.LBB15_2081:
	s_mov_b32 s6, 0
.LBB15_2082:
	s_delay_alu instid0(SALU_CYCLE_1)
	s_and_b32 vcc_lo, exec_lo, s6
	s_cbranch_vccz .LBB15_2122
; %bb.2083:
	v_cmp_gt_i16_e64 s1, s2, 22
	s_delay_alu instid0(VALU_DEP_1)
	s_and_b32 vcc_lo, exec_lo, s1
	s_mov_b32 s1, -1
	s_cbranch_vccz .LBB15_2115
; %bb.2084:
	v_cmp_lt_i16_e64 s1, s2, 24
	s_delay_alu instid0(VALU_DEP_1)
	s_and_b32 vcc_lo, exec_lo, s1
	s_mov_b32 s1, -1
	s_cbranch_vccnz .LBB15_2104
; %bb.2085:
	v_cmp_gt_i16_e64 s1, s2, 24
	s_delay_alu instid0(VALU_DEP_1)
	s_and_b32 vcc_lo, exec_lo, s1
	s_mov_b32 s1, -1
	s_cbranch_vccz .LBB15_2093
; %bb.2086:
	v_cvt_f32_f64_e32 v2, v[10:11]
	v_mov_b32_e32 v4, 0x80
	s_mov_b32 s1, exec_lo
	s_delay_alu instid0(VALU_DEP_2) | instskip(NEXT) | instid1(VALU_DEP_1)
	v_and_b32_e32 v3, 0x7fffffff, v2
	v_cmpx_gt_u32_e32 0x47800000, v3
	s_cbranch_execz .LBB15_2092
; %bb.2087:
	v_cmp_lt_u32_e32 vcc_lo, 0x37ffffff, v3
	s_mov_b32 s3, 0
                                        ; implicit-def: $vgpr3
	s_and_saveexec_b32 s6, vcc_lo
	s_delay_alu instid0(SALU_CYCLE_1)
	s_xor_b32 s6, exec_lo, s6
	s_cbranch_execz .LBB15_2183
; %bb.2088:
	v_bfe_u32 v3, v2, 21, 1
	s_mov_b32 s3, exec_lo
	s_delay_alu instid0(VALU_DEP_1) | instskip(NEXT) | instid1(VALU_DEP_1)
	v_add3_u32 v3, v2, v3, 0x88fffff
	v_lshrrev_b32_e32 v3, 21, v3
	s_or_saveexec_b32 s6, s6
                                        ; implicit-def: $sgpr7
	s_delay_alu instid0(SALU_CYCLE_1)
	s_xor_b32 exec_lo, exec_lo, s6
	s_cbranch_execnz .LBB15_2184
.LBB15_2089:
	s_or_b32 exec_lo, exec_lo, s6
	v_mov_b32_e32 v4, s7
	s_and_saveexec_b32 s6, s3
.LBB15_2090:
	v_lshrrev_b32_e32 v2, 24, v2
	s_delay_alu instid0(VALU_DEP_1)
	v_and_or_b32 v4, 0x80, v2, v3
.LBB15_2091:
	s_or_b32 exec_lo, exec_lo, s6
.LBB15_2092:
	s_delay_alu instid0(SALU_CYCLE_1)
	s_or_b32 exec_lo, exec_lo, s1
	s_mov_b32 s1, 0
	global_store_b8 v[0:1], v4, off
.LBB15_2093:
	s_and_b32 vcc_lo, exec_lo, s1
	s_cbranch_vccz .LBB15_2103
; %bb.2094:
	v_cvt_f32_f64_e32 v2, v[10:11]
	s_mov_b32 s1, exec_lo
                                        ; implicit-def: $vgpr3
	s_delay_alu instid0(VALU_DEP_1) | instskip(NEXT) | instid1(VALU_DEP_1)
	v_and_b32_e32 v4, 0x7fffffff, v2
	v_cmpx_gt_u32_e32 0x43f00000, v4
	s_xor_b32 s1, exec_lo, s1
	s_cbranch_execz .LBB15_2100
; %bb.2095:
	s_mov_b32 s3, exec_lo
                                        ; implicit-def: $vgpr3
	v_cmpx_lt_u32_e32 0x3c7fffff, v4
	s_xor_b32 s3, exec_lo, s3
; %bb.2096:
	v_bfe_u32 v3, v2, 20, 1
	s_delay_alu instid0(VALU_DEP_1) | instskip(NEXT) | instid1(VALU_DEP_1)
	v_add3_u32 v3, v2, v3, 0x407ffff
	v_and_b32_e32 v4, 0xff00000, v3
	v_lshrrev_b32_e32 v3, 20, v3
	s_delay_alu instid0(VALU_DEP_2) | instskip(NEXT) | instid1(VALU_DEP_2)
	v_cmp_ne_u32_e32 vcc_lo, 0x7f00000, v4
	v_cndmask_b32_e32 v3, 0x7e, v3, vcc_lo
; %bb.2097:
	s_and_not1_saveexec_b32 s3, s3
; %bb.2098:
	v_add_f32_e64 v3, 0x46800000, |v2|
; %bb.2099:
	s_or_b32 exec_lo, exec_lo, s3
                                        ; implicit-def: $vgpr4
.LBB15_2100:
	s_and_not1_saveexec_b32 s1, s1
; %bb.2101:
	v_mov_b32_e32 v3, 0x7f
	v_cmp_lt_u32_e32 vcc_lo, 0x7f800000, v4
	s_delay_alu instid0(VALU_DEP_2)
	v_cndmask_b32_e32 v3, 0x7e, v3, vcc_lo
; %bb.2102:
	s_or_b32 exec_lo, exec_lo, s1
	v_lshrrev_b32_e32 v2, 24, v2
	s_delay_alu instid0(VALU_DEP_1)
	v_and_or_b32 v2, 0x80, v2, v3
	global_store_b8 v[0:1], v2, off
.LBB15_2103:
	s_mov_b32 s1, 0
.LBB15_2104:
	s_delay_alu instid0(SALU_CYCLE_1)
	s_and_not1_b32 vcc_lo, exec_lo, s1
	s_cbranch_vccnz .LBB15_2114
; %bb.2105:
	v_cvt_f32_f64_e32 v2, v[10:11]
	s_mov_b32 s1, exec_lo
                                        ; implicit-def: $vgpr3
	s_delay_alu instid0(VALU_DEP_1) | instskip(NEXT) | instid1(VALU_DEP_1)
	v_and_b32_e32 v4, 0x7fffffff, v2
	v_cmpx_gt_u32_e32 0x47800000, v4
	s_xor_b32 s1, exec_lo, s1
	s_cbranch_execz .LBB15_2111
; %bb.2106:
	s_mov_b32 s3, exec_lo
                                        ; implicit-def: $vgpr3
	v_cmpx_lt_u32_e32 0x387fffff, v4
	s_xor_b32 s3, exec_lo, s3
; %bb.2107:
	v_bfe_u32 v3, v2, 21, 1
	s_delay_alu instid0(VALU_DEP_1) | instskip(NEXT) | instid1(VALU_DEP_1)
	v_add3_u32 v3, v2, v3, 0x80fffff
	v_lshrrev_b32_e32 v3, 21, v3
; %bb.2108:
	s_and_not1_saveexec_b32 s3, s3
; %bb.2109:
	v_add_f32_e64 v3, 0x43000000, |v2|
; %bb.2110:
	s_or_b32 exec_lo, exec_lo, s3
                                        ; implicit-def: $vgpr4
.LBB15_2111:
	s_and_not1_saveexec_b32 s1, s1
; %bb.2112:
	v_mov_b32_e32 v3, 0x7f
	v_cmp_lt_u32_e32 vcc_lo, 0x7f800000, v4
	s_delay_alu instid0(VALU_DEP_2)
	v_cndmask_b32_e32 v3, 0x7c, v3, vcc_lo
; %bb.2113:
	s_or_b32 exec_lo, exec_lo, s1
	v_lshrrev_b32_e32 v2, 24, v2
	s_delay_alu instid0(VALU_DEP_1)
	v_and_or_b32 v2, 0x80, v2, v3
	global_store_b8 v[0:1], v2, off
.LBB15_2114:
	s_mov_b32 s1, 0
	s_mov_b32 s3, -1
.LBB15_2115:
	s_and_not1_b32 vcc_lo, exec_lo, s1
	s_mov_b32 s1, 0
	s_cbranch_vccnz .LBB15_2122
; %bb.2116:
	v_cmp_gt_i16_e64 s1, s2, 14
	s_delay_alu instid0(VALU_DEP_1)
	s_and_b32 vcc_lo, exec_lo, s1
	s_mov_b32 s1, -1
	s_cbranch_vccz .LBB15_2120
; %bb.2117:
	v_cmp_eq_u16_e64 s0, s2, 15
	s_delay_alu instid0(VALU_DEP_1)
	s_and_b32 vcc_lo, exec_lo, s0
	s_mov_b32 s0, -1
	s_cbranch_vccz .LBB15_2119
; %bb.2118:
	v_cvt_f32_f64_e32 v2, v[10:11]
	s_mov_b32 s0, 0
	s_mov_b32 s3, -1
	s_delay_alu instid0(VALU_DEP_1) | instskip(SKIP_1) | instid1(VALU_DEP_2)
	v_bfe_u32 v3, v2, 16, 1
	v_cmp_o_f32_e32 vcc_lo, v2, v2
	v_add3_u32 v3, v2, v3, 0x7fff
	s_delay_alu instid0(VALU_DEP_1) | instskip(NEXT) | instid1(VALU_DEP_1)
	v_lshrrev_b32_e32 v3, 16, v3
	v_cndmask_b32_e32 v2, 0x7fc0, v3, vcc_lo
	global_store_b16 v[0:1], v2, off
.LBB15_2119:
	s_mov_b32 s1, 0
.LBB15_2120:
	s_delay_alu instid0(SALU_CYCLE_1)
	s_and_b32 vcc_lo, exec_lo, s1
	s_mov_b32 s1, 0
	s_cbranch_vccz .LBB15_2122
; %bb.2121:
	v_cmp_ne_u16_e64 s0, s2, 11
	s_mov_b32 s1, -1
.LBB15_2122:
	s_delay_alu instid0(VALU_DEP_1)
	s_and_b32 vcc_lo, exec_lo, s0
	s_cbranch_vccnz .LBB15_2181
; %bb.2123:
	s_and_not1_b32 vcc_lo, exec_lo, s1
	s_cbranch_vccnz .LBB15_2125
.LBB15_2124:
	v_cmp_neq_f64_e32 vcc_lo, 0, v[10:11]
	s_mov_b32 s3, -1
	v_cndmask_b32_e64 v2, 0, 1, vcc_lo
	global_store_b8 v[0:1], v2, off
.LBB15_2125:
	s_mov_b32 s0, 0
.LBB15_2126:
	s_delay_alu instid0(SALU_CYCLE_1)
	s_and_b32 vcc_lo, exec_lo, s0
	s_cbranch_vccz .LBB15_2165
; %bb.2127:
	v_cmp_lt_i16_e64 s0, s2, 5
	s_delay_alu instid0(VALU_DEP_1)
	s_and_b32 vcc_lo, exec_lo, s0
	s_mov_b32 s0, -1
	s_cbranch_vccnz .LBB15_2148
; %bb.2128:
	v_cmp_lt_i16_e64 s0, s2, 8
	s_delay_alu instid0(VALU_DEP_1)
	s_and_b32 vcc_lo, exec_lo, s0
	s_mov_b32 s0, -1
	s_cbranch_vccnz .LBB15_2138
	;; [unrolled: 6-line block ×3, first 2 shown]
; %bb.2130:
	v_cmp_gt_i16_e64 s0, s2, 9
	s_delay_alu instid0(VALU_DEP_1)
	s_and_b32 vcc_lo, exec_lo, s0
	s_mov_b32 s0, -1
	s_cbranch_vccz .LBB15_2132
; %bb.2131:
	v_mov_b32_e32 v12, 0
	s_mov_b32 s0, 0
	s_delay_alu instid0(VALU_DEP_1)
	v_mov_b32_e32 v13, v12
	global_store_b128 v[0:1], v[10:13], off
.LBB15_2132:
	s_and_not1_b32 vcc_lo, exec_lo, s0
	s_cbranch_vccnz .LBB15_2134
; %bb.2133:
	v_cvt_f32_f64_e32 v2, v[10:11]
	v_mov_b32_e32 v3, 0
	global_store_b64 v[0:1], v[2:3], off
.LBB15_2134:
	s_mov_b32 s0, 0
.LBB15_2135:
	s_delay_alu instid0(SALU_CYCLE_1)
	s_and_not1_b32 vcc_lo, exec_lo, s0
	s_cbranch_vccnz .LBB15_2137
; %bb.2136:
	v_cvt_f32_f64_e32 v2, v[10:11]
	s_delay_alu instid0(VALU_DEP_1) | instskip(NEXT) | instid1(VALU_DEP_1)
	v_cvt_f16_f32_e32 v2, v2
	v_and_b32_e32 v2, 0xffff, v2
	global_store_b32 v[0:1], v2, off
.LBB15_2137:
	s_mov_b32 s0, 0
.LBB15_2138:
	s_delay_alu instid0(SALU_CYCLE_1)
	s_and_not1_b32 vcc_lo, exec_lo, s0
	s_cbranch_vccnz .LBB15_2147
; %bb.2139:
	v_cmp_lt_i16_e64 s0, s2, 6
	s_delay_alu instid0(VALU_DEP_1)
	s_and_b32 vcc_lo, exec_lo, s0
	s_mov_b32 s0, -1
	s_cbranch_vccnz .LBB15_2145
; %bb.2140:
	v_cmp_gt_i16_e64 s0, s2, 6
	s_delay_alu instid0(VALU_DEP_1)
	s_and_b32 vcc_lo, exec_lo, s0
	s_mov_b32 s0, -1
	s_cbranch_vccz .LBB15_2142
; %bb.2141:
	s_mov_b32 s0, 0
	global_store_b64 v[0:1], v[10:11], off
.LBB15_2142:
	s_and_not1_b32 vcc_lo, exec_lo, s0
	s_cbranch_vccnz .LBB15_2144
; %bb.2143:
	v_cvt_f32_f64_e32 v2, v[10:11]
	global_store_b32 v[0:1], v2, off
.LBB15_2144:
	s_mov_b32 s0, 0
.LBB15_2145:
	s_delay_alu instid0(SALU_CYCLE_1)
	s_and_not1_b32 vcc_lo, exec_lo, s0
	s_cbranch_vccnz .LBB15_2147
; %bb.2146:
	v_cvt_f32_f64_e32 v2, v[10:11]
	s_delay_alu instid0(VALU_DEP_1)
	v_cvt_f16_f32_e32 v2, v2
	global_store_b16 v[0:1], v2, off
.LBB15_2147:
	s_mov_b32 s0, 0
.LBB15_2148:
	s_delay_alu instid0(SALU_CYCLE_1)
	s_and_not1_b32 vcc_lo, exec_lo, s0
	s_cbranch_vccnz .LBB15_2164
; %bb.2149:
	v_cmp_lt_i16_e64 s0, s2, 2
	s_delay_alu instid0(VALU_DEP_1)
	s_and_b32 vcc_lo, exec_lo, s0
	s_mov_b32 s0, -1
	s_cbranch_vccnz .LBB15_2159
; %bb.2150:
	v_cmp_lt_i16_e64 s0, s2, 3
	s_delay_alu instid0(VALU_DEP_1)
	s_and_b32 vcc_lo, exec_lo, s0
	s_mov_b32 s0, -1
	s_cbranch_vccnz .LBB15_2156
; %bb.2151:
	v_cmp_gt_i16_e64 s0, s2, 3
	s_delay_alu instid0(VALU_DEP_1)
	s_and_b32 vcc_lo, exec_lo, s0
	s_mov_b32 s0, -1
	s_cbranch_vccz .LBB15_2153
; %bb.2152:
	v_trunc_f64_e32 v[2:3], v[10:11]
	s_mov_b32 s0, 0
	s_delay_alu instid0(VALU_DEP_1) | instskip(NEXT) | instid1(VALU_DEP_1)
	v_ldexp_f64 v[4:5], v[2:3], 0xffffffe0
	v_floor_f64_e32 v[4:5], v[4:5]
	s_delay_alu instid0(VALU_DEP_1) | instskip(SKIP_1) | instid1(VALU_DEP_2)
	v_fma_f64 v[2:3], 0xc1f00000, v[4:5], v[2:3]
	v_cvt_i32_f64_e32 v4, v[4:5]
	v_cvt_u32_f64_e32 v3, v[2:3]
	global_store_b64 v[0:1], v[3:4], off
.LBB15_2153:
	s_and_not1_b32 vcc_lo, exec_lo, s0
	s_cbranch_vccnz .LBB15_2155
; %bb.2154:
	v_cvt_i32_f64_e32 v2, v[10:11]
	global_store_b32 v[0:1], v2, off
.LBB15_2155:
	s_mov_b32 s0, 0
.LBB15_2156:
	s_delay_alu instid0(SALU_CYCLE_1)
	s_and_not1_b32 vcc_lo, exec_lo, s0
	s_cbranch_vccnz .LBB15_2158
; %bb.2157:
	v_cvt_i32_f64_e32 v2, v[10:11]
	global_store_b16 v[0:1], v2, off
.LBB15_2158:
	s_mov_b32 s0, 0
.LBB15_2159:
	s_delay_alu instid0(SALU_CYCLE_1)
	s_and_not1_b32 vcc_lo, exec_lo, s0
	s_cbranch_vccnz .LBB15_2164
; %bb.2160:
	v_cmp_gt_i16_e64 s0, s2, 0
	s_delay_alu instid0(VALU_DEP_1)
	s_and_b32 vcc_lo, exec_lo, s0
	s_mov_b32 s0, -1
	s_cbranch_vccz .LBB15_2162
; %bb.2161:
	v_cvt_i32_f64_e32 v2, v[10:11]
	s_mov_b32 s0, 0
	global_store_b8 v[0:1], v2, off
.LBB15_2162:
	s_and_not1_b32 vcc_lo, exec_lo, s0
	s_cbranch_vccnz .LBB15_2164
; %bb.2163:
	v_trunc_f64_e32 v[2:3], v[10:11]
	s_delay_alu instid0(VALU_DEP_1) | instskip(NEXT) | instid1(VALU_DEP_1)
	v_ldexp_f64 v[4:5], v[2:3], 0xffffffe0
	v_floor_f64_e32 v[4:5], v[4:5]
	s_delay_alu instid0(VALU_DEP_1) | instskip(NEXT) | instid1(VALU_DEP_1)
	v_fma_f64 v[2:3], 0xc1f00000, v[4:5], v[2:3]
	v_cvt_u32_f64_e32 v2, v[2:3]
	global_store_b8 v[0:1], v2, off
.LBB15_2164:
	s_mov_b32 s3, -1
.LBB15_2165:
	s_delay_alu instid0(SALU_CYCLE_1)
	s_and_not1_b32 vcc_lo, exec_lo, s3
	s_cbranch_vccnz .LBB15_2174
; %bb.2166:
	v_cmp_lt_i16_e64 s0, s2, 11
	v_add_co_u32 v0, s3, s4, v14
	s_delay_alu instid0(VALU_DEP_1) | instskip(SKIP_1) | instid1(VALU_DEP_3)
	v_add_co_ci_u32_e64 v1, null, s5, 0, s3
	s_mov_b32 s1, 0
	s_and_b32 vcc_lo, exec_lo, s0
	s_mov_b32 s0, -1
	s_cbranch_vccnz .LBB15_1738
; %bb.2167:
	v_cmp_gt_i16_e64 s0, s2, 25
	s_mov_b32 s3, -1
	s_delay_alu instid0(VALU_DEP_1)
	s_and_b32 vcc_lo, exec_lo, s0
	s_mov_b32 s0, 0
	s_cbranch_vccz .LBB15_2212
; %bb.2168:
	v_cmp_gt_i16_e64 s0, s2, 28
	s_delay_alu instid0(VALU_DEP_1)
	s_and_b32 vcc_lo, exec_lo, s0
	s_cbranch_vccz .LBB15_2175
; %bb.2169:
	v_cmp_gt_i16_e64 s0, s2, 43
	s_delay_alu instid0(VALU_DEP_1)
	s_and_b32 vcc_lo, exec_lo, s0
	;; [unrolled: 5-line block ×3, first 2 shown]
	s_cbranch_vccz .LBB15_2185
; %bb.2171:
	v_cmp_eq_u16_e64 s0, s2, 46
	s_delay_alu instid0(VALU_DEP_1)
	s_and_b32 vcc_lo, exec_lo, s0
	s_mov_b32 s0, -1
	s_cbranch_vccz .LBB15_2173
; %bb.2172:
	v_cvt_f32_f64_e32 v2, v[8:9]
	s_mov_b32 s0, 0
	s_delay_alu instid0(VALU_DEP_1) | instskip(SKIP_1) | instid1(VALU_DEP_2)
	v_bfe_u32 v3, v2, 16, 1
	v_cmp_o_f32_e32 vcc_lo, v2, v2
	v_add3_u32 v3, v2, v3, 0x7fff
	s_delay_alu instid0(VALU_DEP_1) | instskip(NEXT) | instid1(VALU_DEP_1)
	v_lshrrev_b32_e32 v3, 16, v3
	v_cndmask_b32_e32 v2, 0x7fc0, v3, vcc_lo
	global_store_b32 v[0:1], v2, off
.LBB15_2173:
	s_mov_b32 s3, 0
	s_branch .LBB15_2186
.LBB15_2174:
	s_mov_b32 s0, 0
	s_mov_b32 s1, 0
                                        ; implicit-def: $vgpr0_vgpr1
                                        ; implicit-def: $sgpr2
	s_branch .LBB15_1738
.LBB15_2175:
	s_mov_b32 s0, 0
	s_branch .LBB15_2196
.LBB15_2176:
	s_or_saveexec_b32 s7, s7
                                        ; implicit-def: $sgpr8
	s_delay_alu instid0(SALU_CYCLE_1)
	s_xor_b32 exec_lo, exec_lo, s7
	s_cbranch_execz .LBB15_2076
.LBB15_2177:
	v_add_f32_e64 v3, 0x46000000, |v2|
	s_and_not1_b32 s6, s6, exec_lo
	s_mov_b32 s8, 0
	s_delay_alu instid0(VALU_DEP_1) | instskip(NEXT) | instid1(VALU_DEP_1)
	v_and_b32_e32 v3, 0xff, v3
	v_cmp_ne_u32_e32 vcc_lo, 0, v3
	s_and_b32 s9, vcc_lo, exec_lo
	s_delay_alu instid0(SALU_CYCLE_1)
	s_or_b32 s6, s6, s9
	s_or_b32 exec_lo, exec_lo, s7
	v_mov_b32_e32 v4, s8
	s_and_saveexec_b32 s7, s6
	s_cbranch_execnz .LBB15_2077
	s_branch .LBB15_2078
.LBB15_2178:
	s_mov_b32 s0, 0
	s_branch .LBB15_2192
.LBB15_2179:
	s_trap 2
	s_sendmsg_rtn_b32 s0, sendmsg(MSG_RTN_GET_DOORBELL)
	s_mov_b32 ttmp2, m0
	s_waitcnt lgkmcnt(0)
	s_and_b32 s0, s0, 0x3ff
	s_delay_alu instid0(SALU_CYCLE_1) | instskip(NEXT) | instid1(SALU_CYCLE_1)
	s_bitset1_b32 s0, 10
	s_mov_b32 m0, s0
	s_sendmsg sendmsg(MSG_INTERRUPT)
	s_mov_b32 m0, ttmp2
.LBB15_2180:                            ; =>This Inner Loop Header: Depth=1
	s_sethalt 5
	s_branch .LBB15_2180
.LBB15_2181:
	s_cbranch_execnz .LBB15_2256
; %bb.2182:
	s_or_b32 s12, s12, exec_lo
	s_cbranch_execz .LBB15_2124
	s_branch .LBB15_2125
.LBB15_2183:
	s_or_saveexec_b32 s6, s6
                                        ; implicit-def: $sgpr7
	s_delay_alu instid0(SALU_CYCLE_1)
	s_xor_b32 exec_lo, exec_lo, s6
	s_cbranch_execz .LBB15_2089
.LBB15_2184:
	v_add_f32_e64 v3, 0x42800000, |v2|
	s_and_not1_b32 s3, s3, exec_lo
	s_mov_b32 s7, 0
	s_delay_alu instid0(VALU_DEP_1) | instskip(NEXT) | instid1(VALU_DEP_1)
	v_and_b32_e32 v3, 0xff, v3
	v_cmp_ne_u32_e32 vcc_lo, 0, v3
	s_and_b32 s8, vcc_lo, exec_lo
	s_delay_alu instid0(SALU_CYCLE_1)
	s_or_b32 s3, s3, s8
	s_or_b32 exec_lo, exec_lo, s6
	v_mov_b32_e32 v4, s7
	s_and_saveexec_b32 s6, s3
	s_cbranch_execnz .LBB15_2090
	s_branch .LBB15_2091
.LBB15_2185:
	s_mov_b32 s0, 0
.LBB15_2186:
	s_and_b32 vcc_lo, exec_lo, s3
	s_cbranch_vccz .LBB15_2191
; %bb.2187:
	v_cmp_eq_u16_e64 s0, s2, 44
	s_delay_alu instid0(VALU_DEP_1)
	s_and_b32 vcc_lo, exec_lo, s0
	s_mov_b32 s0, -1
	s_cbranch_vccz .LBB15_2191
; %bb.2188:
	v_cvt_f32_f64_e32 v2, v[8:9]
	v_mov_b32_e32 v3, 0xff
	s_mov_b32 s3, exec_lo
	s_delay_alu instid0(VALU_DEP_2) | instskip(NEXT) | instid1(VALU_DEP_1)
	v_bfe_u32 v4, v2, 23, 8
	v_cmpx_ne_u32_e32 0xff, v4
; %bb.2189:
	v_and_b32_e32 v3, 0x400000, v2
	v_and_or_b32 v4, 0x3fffff, v2, v4
	v_lshrrev_b32_e32 v2, 23, v2
	s_delay_alu instid0(VALU_DEP_3) | instskip(NEXT) | instid1(VALU_DEP_3)
	v_cmp_ne_u32_e32 vcc_lo, 0, v3
	v_cmp_ne_u32_e64 s0, 0, v4
	s_delay_alu instid0(VALU_DEP_1) | instskip(NEXT) | instid1(SALU_CYCLE_1)
	s_and_b32 s0, vcc_lo, s0
	v_cndmask_b32_e64 v3, 0, 1, s0
	s_delay_alu instid0(VALU_DEP_1)
	v_add_nc_u32_e32 v3, v2, v3
; %bb.2190:
	s_or_b32 exec_lo, exec_lo, s3
	s_mov_b32 s0, 0
	global_store_b8 v[0:1], v3, off
.LBB15_2191:
	s_mov_b32 s3, 0
.LBB15_2192:
	s_delay_alu instid0(SALU_CYCLE_1)
	s_and_b32 vcc_lo, exec_lo, s3
	s_cbranch_vccz .LBB15_2195
; %bb.2193:
	v_cmp_eq_u16_e64 s0, s2, 29
	s_delay_alu instid0(VALU_DEP_1)
	s_and_b32 vcc_lo, exec_lo, s0
	s_mov_b32 s0, -1
	s_cbranch_vccz .LBB15_2195
; %bb.2194:
	v_trunc_f64_e32 v[2:3], v[8:9]
	s_mov_b32 s0, 0
	s_delay_alu instid0(VALU_DEP_1) | instskip(NEXT) | instid1(VALU_DEP_1)
	v_ldexp_f64 v[4:5], v[2:3], 0xffffffe0
	v_floor_f64_e32 v[4:5], v[4:5]
	s_delay_alu instid0(VALU_DEP_1) | instskip(SKIP_1) | instid1(VALU_DEP_2)
	v_fma_f64 v[2:3], 0xc1f00000, v[4:5], v[2:3]
	v_cvt_u32_f64_e32 v4, v[4:5]
	v_cvt_u32_f64_e32 v3, v[2:3]
	global_store_b64 v[0:1], v[3:4], off
.LBB15_2195:
	s_mov_b32 s3, 0
.LBB15_2196:
	s_delay_alu instid0(SALU_CYCLE_1)
	s_and_b32 vcc_lo, exec_lo, s3
	s_cbranch_vccz .LBB15_2211
; %bb.2197:
	v_cmp_lt_i16_e64 s3, s2, 27
	s_delay_alu instid0(VALU_DEP_1)
	s_and_b32 vcc_lo, exec_lo, s3
	s_mov_b32 s3, -1
	s_cbranch_vccnz .LBB15_2203
; %bb.2198:
	v_cvt_u32_f64_e32 v2, v[8:9]
	v_cmp_gt_i16_e64 s3, s2, 27
	s_delay_alu instid0(VALU_DEP_1)
	s_and_b32 vcc_lo, exec_lo, s3
	s_mov_b32 s3, -1
	s_cbranch_vccz .LBB15_2200
; %bb.2199:
	s_mov_b32 s3, 0
	global_store_b32 v[0:1], v2, off
.LBB15_2200:
	s_and_not1_b32 vcc_lo, exec_lo, s3
	s_cbranch_vccnz .LBB15_2202
; %bb.2201:
	global_store_b16 v[0:1], v2, off
.LBB15_2202:
	s_mov_b32 s3, 0
.LBB15_2203:
	s_delay_alu instid0(SALU_CYCLE_1)
	s_and_not1_b32 vcc_lo, exec_lo, s3
	s_cbranch_vccnz .LBB15_2211
; %bb.2204:
	v_cvt_f32_f64_e32 v2, v[8:9]
	v_mov_b32_e32 v4, 0x80
	s_mov_b32 s3, exec_lo
	s_delay_alu instid0(VALU_DEP_2) | instskip(NEXT) | instid1(VALU_DEP_1)
	v_and_b32_e32 v3, 0x7fffffff, v2
	v_cmpx_gt_u32_e32 0x43800000, v3
	s_cbranch_execz .LBB15_2210
; %bb.2205:
	v_cmp_lt_u32_e32 vcc_lo, 0x3bffffff, v3
	s_mov_b32 s4, 0
                                        ; implicit-def: $vgpr3
	s_and_saveexec_b32 s5, vcc_lo
	s_delay_alu instid0(SALU_CYCLE_1)
	s_xor_b32 s5, exec_lo, s5
	s_cbranch_execz .LBB15_2254
; %bb.2206:
	v_bfe_u32 v3, v2, 20, 1
	s_mov_b32 s4, exec_lo
	s_delay_alu instid0(VALU_DEP_1) | instskip(NEXT) | instid1(VALU_DEP_1)
	v_add3_u32 v3, v2, v3, 0x487ffff
	v_lshrrev_b32_e32 v3, 20, v3
	s_or_saveexec_b32 s5, s5
                                        ; implicit-def: $sgpr6
	s_delay_alu instid0(SALU_CYCLE_1)
	s_xor_b32 exec_lo, exec_lo, s5
	s_cbranch_execnz .LBB15_2255
.LBB15_2207:
	s_or_b32 exec_lo, exec_lo, s5
	v_mov_b32_e32 v4, s6
	s_and_saveexec_b32 s5, s4
.LBB15_2208:
	v_lshrrev_b32_e32 v2, 24, v2
	s_delay_alu instid0(VALU_DEP_1)
	v_and_or_b32 v4, 0x80, v2, v3
.LBB15_2209:
	s_or_b32 exec_lo, exec_lo, s5
.LBB15_2210:
	s_delay_alu instid0(SALU_CYCLE_1)
	s_or_b32 exec_lo, exec_lo, s3
	global_store_b8 v[0:1], v4, off
.LBB15_2211:
	s_mov_b32 s3, 0
.LBB15_2212:
	s_delay_alu instid0(SALU_CYCLE_1)
	s_and_b32 vcc_lo, exec_lo, s3
	s_cbranch_vccz .LBB15_2252
; %bb.2213:
	v_cmp_gt_i16_e64 s1, s2, 22
	s_delay_alu instid0(VALU_DEP_1)
	s_and_b32 vcc_lo, exec_lo, s1
	s_mov_b32 s1, -1
	s_cbranch_vccz .LBB15_2245
; %bb.2214:
	v_cmp_lt_i16_e64 s1, s2, 24
	s_delay_alu instid0(VALU_DEP_1)
	s_and_b32 vcc_lo, exec_lo, s1
	s_mov_b32 s1, -1
	s_cbranch_vccnz .LBB15_2234
; %bb.2215:
	v_cmp_gt_i16_e64 s1, s2, 24
	s_delay_alu instid0(VALU_DEP_1)
	s_and_b32 vcc_lo, exec_lo, s1
	s_mov_b32 s1, -1
	s_cbranch_vccz .LBB15_2223
; %bb.2216:
	v_cvt_f32_f64_e32 v2, v[8:9]
	v_mov_b32_e32 v4, 0x80
	s_mov_b32 s1, exec_lo
	s_delay_alu instid0(VALU_DEP_2) | instskip(NEXT) | instid1(VALU_DEP_1)
	v_and_b32_e32 v3, 0x7fffffff, v2
	v_cmpx_gt_u32_e32 0x47800000, v3
	s_cbranch_execz .LBB15_2222
; %bb.2217:
	v_cmp_lt_u32_e32 vcc_lo, 0x37ffffff, v3
	s_mov_b32 s3, 0
                                        ; implicit-def: $vgpr3
	s_and_saveexec_b32 s4, vcc_lo
	s_delay_alu instid0(SALU_CYCLE_1)
	s_xor_b32 s4, exec_lo, s4
	s_cbranch_execz .LBB15_2260
; %bb.2218:
	v_bfe_u32 v3, v2, 21, 1
	s_mov_b32 s3, exec_lo
	s_delay_alu instid0(VALU_DEP_1) | instskip(NEXT) | instid1(VALU_DEP_1)
	v_add3_u32 v3, v2, v3, 0x88fffff
	v_lshrrev_b32_e32 v3, 21, v3
	s_or_saveexec_b32 s4, s4
                                        ; implicit-def: $sgpr5
	s_delay_alu instid0(SALU_CYCLE_1)
	s_xor_b32 exec_lo, exec_lo, s4
	s_cbranch_execnz .LBB15_2261
.LBB15_2219:
	s_or_b32 exec_lo, exec_lo, s4
	v_mov_b32_e32 v4, s5
	s_and_saveexec_b32 s4, s3
.LBB15_2220:
	v_lshrrev_b32_e32 v2, 24, v2
	s_delay_alu instid0(VALU_DEP_1)
	v_and_or_b32 v4, 0x80, v2, v3
.LBB15_2221:
	s_or_b32 exec_lo, exec_lo, s4
.LBB15_2222:
	s_delay_alu instid0(SALU_CYCLE_1)
	s_or_b32 exec_lo, exec_lo, s1
	s_mov_b32 s1, 0
	global_store_b8 v[0:1], v4, off
.LBB15_2223:
	s_and_b32 vcc_lo, exec_lo, s1
	s_cbranch_vccz .LBB15_2233
; %bb.2224:
	v_cvt_f32_f64_e32 v2, v[8:9]
	s_mov_b32 s1, exec_lo
                                        ; implicit-def: $vgpr3
	s_delay_alu instid0(VALU_DEP_1) | instskip(NEXT) | instid1(VALU_DEP_1)
	v_and_b32_e32 v4, 0x7fffffff, v2
	v_cmpx_gt_u32_e32 0x43f00000, v4
	s_xor_b32 s1, exec_lo, s1
	s_cbranch_execz .LBB15_2230
; %bb.2225:
	s_mov_b32 s3, exec_lo
                                        ; implicit-def: $vgpr3
	v_cmpx_lt_u32_e32 0x3c7fffff, v4
	s_xor_b32 s3, exec_lo, s3
; %bb.2226:
	v_bfe_u32 v3, v2, 20, 1
	s_delay_alu instid0(VALU_DEP_1) | instskip(NEXT) | instid1(VALU_DEP_1)
	v_add3_u32 v3, v2, v3, 0x407ffff
	v_and_b32_e32 v4, 0xff00000, v3
	v_lshrrev_b32_e32 v3, 20, v3
	s_delay_alu instid0(VALU_DEP_2) | instskip(NEXT) | instid1(VALU_DEP_2)
	v_cmp_ne_u32_e32 vcc_lo, 0x7f00000, v4
	v_cndmask_b32_e32 v3, 0x7e, v3, vcc_lo
; %bb.2227:
	s_and_not1_saveexec_b32 s3, s3
; %bb.2228:
	v_add_f32_e64 v3, 0x46800000, |v2|
; %bb.2229:
	s_or_b32 exec_lo, exec_lo, s3
                                        ; implicit-def: $vgpr4
.LBB15_2230:
	s_and_not1_saveexec_b32 s1, s1
; %bb.2231:
	v_mov_b32_e32 v3, 0x7f
	v_cmp_lt_u32_e32 vcc_lo, 0x7f800000, v4
	s_delay_alu instid0(VALU_DEP_2)
	v_cndmask_b32_e32 v3, 0x7e, v3, vcc_lo
; %bb.2232:
	s_or_b32 exec_lo, exec_lo, s1
	v_lshrrev_b32_e32 v2, 24, v2
	s_delay_alu instid0(VALU_DEP_1)
	v_and_or_b32 v2, 0x80, v2, v3
	global_store_b8 v[0:1], v2, off
.LBB15_2233:
	s_mov_b32 s1, 0
.LBB15_2234:
	s_delay_alu instid0(SALU_CYCLE_1)
	s_and_not1_b32 vcc_lo, exec_lo, s1
	s_cbranch_vccnz .LBB15_2244
; %bb.2235:
	v_cvt_f32_f64_e32 v2, v[8:9]
	s_mov_b32 s1, exec_lo
                                        ; implicit-def: $vgpr3
	s_delay_alu instid0(VALU_DEP_1) | instskip(NEXT) | instid1(VALU_DEP_1)
	v_and_b32_e32 v4, 0x7fffffff, v2
	v_cmpx_gt_u32_e32 0x47800000, v4
	s_xor_b32 s1, exec_lo, s1
	s_cbranch_execz .LBB15_2241
; %bb.2236:
	s_mov_b32 s3, exec_lo
                                        ; implicit-def: $vgpr3
	v_cmpx_lt_u32_e32 0x387fffff, v4
	s_xor_b32 s3, exec_lo, s3
; %bb.2237:
	v_bfe_u32 v3, v2, 21, 1
	s_delay_alu instid0(VALU_DEP_1) | instskip(NEXT) | instid1(VALU_DEP_1)
	v_add3_u32 v3, v2, v3, 0x80fffff
	v_lshrrev_b32_e32 v3, 21, v3
; %bb.2238:
	s_and_not1_saveexec_b32 s3, s3
; %bb.2239:
	v_add_f32_e64 v3, 0x43000000, |v2|
; %bb.2240:
	s_or_b32 exec_lo, exec_lo, s3
                                        ; implicit-def: $vgpr4
.LBB15_2241:
	s_and_not1_saveexec_b32 s1, s1
; %bb.2242:
	v_mov_b32_e32 v3, 0x7f
	v_cmp_lt_u32_e32 vcc_lo, 0x7f800000, v4
	s_delay_alu instid0(VALU_DEP_2)
	v_cndmask_b32_e32 v3, 0x7c, v3, vcc_lo
; %bb.2243:
	s_or_b32 exec_lo, exec_lo, s1
	v_lshrrev_b32_e32 v2, 24, v2
	s_delay_alu instid0(VALU_DEP_1)
	v_and_or_b32 v2, 0x80, v2, v3
	global_store_b8 v[0:1], v2, off
.LBB15_2244:
	s_mov_b32 s1, 0
.LBB15_2245:
	s_delay_alu instid0(SALU_CYCLE_1)
	s_and_not1_b32 vcc_lo, exec_lo, s1
	s_mov_b32 s1, 0
	s_cbranch_vccnz .LBB15_2252
; %bb.2246:
	v_cmp_gt_i16_e64 s1, s2, 14
	s_delay_alu instid0(VALU_DEP_1)
	s_and_b32 vcc_lo, exec_lo, s1
	s_mov_b32 s1, -1
	s_cbranch_vccz .LBB15_2250
; %bb.2247:
	v_cmp_eq_u16_e64 s0, s2, 15
	s_delay_alu instid0(VALU_DEP_1)
	s_and_b32 vcc_lo, exec_lo, s0
	s_mov_b32 s0, -1
	s_cbranch_vccz .LBB15_2249
; %bb.2248:
	v_cvt_f32_f64_e32 v2, v[8:9]
	s_mov_b32 s0, 0
	s_delay_alu instid0(VALU_DEP_1) | instskip(SKIP_1) | instid1(VALU_DEP_2)
	v_bfe_u32 v3, v2, 16, 1
	v_cmp_o_f32_e32 vcc_lo, v2, v2
	v_add3_u32 v3, v2, v3, 0x7fff
	s_delay_alu instid0(VALU_DEP_1) | instskip(NEXT) | instid1(VALU_DEP_1)
	v_lshrrev_b32_e32 v3, 16, v3
	v_cndmask_b32_e32 v2, 0x7fc0, v3, vcc_lo
	global_store_b16 v[0:1], v2, off
.LBB15_2249:
	s_mov_b32 s1, 0
.LBB15_2250:
	s_delay_alu instid0(SALU_CYCLE_1)
	s_and_b32 vcc_lo, exec_lo, s1
	s_mov_b32 s1, 0
	s_cbranch_vccz .LBB15_2252
; %bb.2251:
	v_cmp_ne_u16_e64 s0, s2, 11
	s_mov_b32 s1, -1
.LBB15_2252:
	s_delay_alu instid0(VALU_DEP_1)
	s_and_b32 vcc_lo, exec_lo, s0
	s_cbranch_vccnz .LBB15_2258
.LBB15_2253:
	s_mov_b32 s0, 0
	s_branch .LBB15_1738
.LBB15_2254:
	s_or_saveexec_b32 s5, s5
                                        ; implicit-def: $sgpr6
	s_delay_alu instid0(SALU_CYCLE_1)
	s_xor_b32 exec_lo, exec_lo, s5
	s_cbranch_execz .LBB15_2207
.LBB15_2255:
	v_add_f32_e64 v3, 0x46000000, |v2|
	s_and_not1_b32 s4, s4, exec_lo
	s_mov_b32 s6, 0
	s_delay_alu instid0(VALU_DEP_1) | instskip(NEXT) | instid1(VALU_DEP_1)
	v_and_b32_e32 v3, 0xff, v3
	v_cmp_ne_u32_e32 vcc_lo, 0, v3
	s_and_b32 s7, vcc_lo, exec_lo
	s_delay_alu instid0(SALU_CYCLE_1)
	s_or_b32 s4, s4, s7
	s_or_b32 exec_lo, exec_lo, s5
	v_mov_b32_e32 v4, s6
	s_and_saveexec_b32 s5, s4
	s_cbranch_execnz .LBB15_2208
	s_branch .LBB15_2209
.LBB15_2256:
	s_trap 2
	s_sendmsg_rtn_b32 s0, sendmsg(MSG_RTN_GET_DOORBELL)
	s_mov_b32 ttmp2, m0
	s_waitcnt lgkmcnt(0)
	s_and_b32 s0, s0, 0x3ff
	s_delay_alu instid0(SALU_CYCLE_1) | instskip(NEXT) | instid1(SALU_CYCLE_1)
	s_bitset1_b32 s0, 10
	s_mov_b32 m0, s0
	s_sendmsg sendmsg(MSG_INTERRUPT)
	s_mov_b32 m0, ttmp2
.LBB15_2257:                            ; =>This Inner Loop Header: Depth=1
	s_sethalt 5
	s_branch .LBB15_2257
.LBB15_2258:
	s_cbranch_execnz .LBB15_2262
; %bb.2259:
	s_mov_b32 s1, 0
	s_or_b32 s12, s12, exec_lo
	s_branch .LBB15_2253
.LBB15_2260:
	s_or_saveexec_b32 s4, s4
                                        ; implicit-def: $sgpr5
	s_delay_alu instid0(SALU_CYCLE_1)
	s_xor_b32 exec_lo, exec_lo, s4
	s_cbranch_execz .LBB15_2219
.LBB15_2261:
	v_add_f32_e64 v3, 0x42800000, |v2|
	s_and_not1_b32 s3, s3, exec_lo
	s_mov_b32 s5, 0
	s_delay_alu instid0(VALU_DEP_1) | instskip(NEXT) | instid1(VALU_DEP_1)
	v_and_b32_e32 v3, 0xff, v3
	v_cmp_ne_u32_e32 vcc_lo, 0, v3
	s_and_b32 s6, vcc_lo, exec_lo
	s_delay_alu instid0(SALU_CYCLE_1)
	s_or_b32 s3, s3, s6
	s_or_b32 exec_lo, exec_lo, s4
	v_mov_b32_e32 v4, s5
	s_and_saveexec_b32 s4, s3
	s_cbranch_execnz .LBB15_2220
	s_branch .LBB15_2221
.LBB15_2262:
	s_trap 2
	s_sendmsg_rtn_b32 s0, sendmsg(MSG_RTN_GET_DOORBELL)
	s_mov_b32 ttmp2, m0
	s_waitcnt lgkmcnt(0)
	s_and_b32 s0, s0, 0x3ff
	s_delay_alu instid0(SALU_CYCLE_1) | instskip(NEXT) | instid1(SALU_CYCLE_1)
	s_bitset1_b32 s0, 10
	s_mov_b32 m0, s0
	s_sendmsg sendmsg(MSG_INTERRUPT)
	s_mov_b32 m0, ttmp2
.LBB15_2263:                            ; =>This Inner Loop Header: Depth=1
	s_sethalt 5
	s_branch .LBB15_2263
	.section	.rodata,"a",@progbits
	.p2align	6, 0x0
	.amdhsa_kernel _ZN2at6native32elementwise_kernel_manual_unrollILi128ELi4EZNS0_15gpu_kernel_implINS0_13BUnaryFunctorIdddZZZNS0_12_GLOBAL__N_132hermite_polynomial_h_kernel_cudaERNS_18TensorIteratorBaseEENKUlvE_clEvENKUlvE_clEvEUlddE_EEEEvS6_RKT_EUlibE0_EEviT1_
		.amdhsa_group_segment_fixed_size 0
		.amdhsa_private_segment_fixed_size 0
		.amdhsa_kernarg_size 376
		.amdhsa_user_sgpr_count 15
		.amdhsa_user_sgpr_dispatch_ptr 0
		.amdhsa_user_sgpr_queue_ptr 0
		.amdhsa_user_sgpr_kernarg_segment_ptr 1
		.amdhsa_user_sgpr_dispatch_id 0
		.amdhsa_user_sgpr_private_segment_size 0
		.amdhsa_wavefront_size32 1
		.amdhsa_uses_dynamic_stack 0
		.amdhsa_enable_private_segment 0
		.amdhsa_system_sgpr_workgroup_id_x 1
		.amdhsa_system_sgpr_workgroup_id_y 0
		.amdhsa_system_sgpr_workgroup_id_z 0
		.amdhsa_system_sgpr_workgroup_info 0
		.amdhsa_system_vgpr_workitem_id 0
		.amdhsa_next_free_vgpr 25
		.amdhsa_next_free_sgpr 72
		.amdhsa_reserve_vcc 1
		.amdhsa_float_round_mode_32 0
		.amdhsa_float_round_mode_16_64 0
		.amdhsa_float_denorm_mode_32 3
		.amdhsa_float_denorm_mode_16_64 3
		.amdhsa_dx10_clamp 1
		.amdhsa_ieee_mode 1
		.amdhsa_fp16_overflow 0
		.amdhsa_workgroup_processor_mode 1
		.amdhsa_memory_ordered 1
		.amdhsa_forward_progress 0
		.amdhsa_shared_vgpr_count 0
		.amdhsa_exception_fp_ieee_invalid_op 0
		.amdhsa_exception_fp_denorm_src 0
		.amdhsa_exception_fp_ieee_div_zero 0
		.amdhsa_exception_fp_ieee_overflow 0
		.amdhsa_exception_fp_ieee_underflow 0
		.amdhsa_exception_fp_ieee_inexact 0
		.amdhsa_exception_int_div_zero 0
	.end_amdhsa_kernel
	.section	.text._ZN2at6native32elementwise_kernel_manual_unrollILi128ELi4EZNS0_15gpu_kernel_implINS0_13BUnaryFunctorIdddZZZNS0_12_GLOBAL__N_132hermite_polynomial_h_kernel_cudaERNS_18TensorIteratorBaseEENKUlvE_clEvENKUlvE_clEvEUlddE_EEEEvS6_RKT_EUlibE0_EEviT1_,"axG",@progbits,_ZN2at6native32elementwise_kernel_manual_unrollILi128ELi4EZNS0_15gpu_kernel_implINS0_13BUnaryFunctorIdddZZZNS0_12_GLOBAL__N_132hermite_polynomial_h_kernel_cudaERNS_18TensorIteratorBaseEENKUlvE_clEvENKUlvE_clEvEUlddE_EEEEvS6_RKT_EUlibE0_EEviT1_,comdat
.Lfunc_end15:
	.size	_ZN2at6native32elementwise_kernel_manual_unrollILi128ELi4EZNS0_15gpu_kernel_implINS0_13BUnaryFunctorIdddZZZNS0_12_GLOBAL__N_132hermite_polynomial_h_kernel_cudaERNS_18TensorIteratorBaseEENKUlvE_clEvENKUlvE_clEvEUlddE_EEEEvS6_RKT_EUlibE0_EEviT1_, .Lfunc_end15-_ZN2at6native32elementwise_kernel_manual_unrollILi128ELi4EZNS0_15gpu_kernel_implINS0_13BUnaryFunctorIdddZZZNS0_12_GLOBAL__N_132hermite_polynomial_h_kernel_cudaERNS_18TensorIteratorBaseEENKUlvE_clEvENKUlvE_clEvEUlddE_EEEEvS6_RKT_EUlibE0_EEviT1_
                                        ; -- End function
	.section	.AMDGPU.csdata,"",@progbits
; Kernel info:
; codeLenInByte = 44900
; NumSgprs: 74
; NumVgprs: 25
; ScratchSize: 0
; MemoryBound: 1
; FloatMode: 240
; IeeeMode: 1
; LDSByteSize: 0 bytes/workgroup (compile time only)
; SGPRBlocks: 9
; VGPRBlocks: 3
; NumSGPRsForWavesPerEU: 74
; NumVGPRsForWavesPerEU: 25
; Occupancy: 16
; WaveLimiterHint : 1
; COMPUTE_PGM_RSRC2:SCRATCH_EN: 0
; COMPUTE_PGM_RSRC2:USER_SGPR: 15
; COMPUTE_PGM_RSRC2:TRAP_HANDLER: 0
; COMPUTE_PGM_RSRC2:TGID_X_EN: 1
; COMPUTE_PGM_RSRC2:TGID_Y_EN: 0
; COMPUTE_PGM_RSRC2:TGID_Z_EN: 0
; COMPUTE_PGM_RSRC2:TIDIG_COMP_CNT: 0
	.section	.text._ZN2at6native29vectorized_elementwise_kernelILi16ENS0_13BinaryFunctorIdddZZZNS0_12_GLOBAL__N_132hermite_polynomial_h_kernel_cudaERNS_18TensorIteratorBaseEENKUlvE_clEvENKUlvE_clEvEUlddE_EESt5arrayIPcLm3EEEEviT0_T1_,"axG",@progbits,_ZN2at6native29vectorized_elementwise_kernelILi16ENS0_13BinaryFunctorIdddZZZNS0_12_GLOBAL__N_132hermite_polynomial_h_kernel_cudaERNS_18TensorIteratorBaseEENKUlvE_clEvENKUlvE_clEvEUlddE_EESt5arrayIPcLm3EEEEviT0_T1_,comdat
	.globl	_ZN2at6native29vectorized_elementwise_kernelILi16ENS0_13BinaryFunctorIdddZZZNS0_12_GLOBAL__N_132hermite_polynomial_h_kernel_cudaERNS_18TensorIteratorBaseEENKUlvE_clEvENKUlvE_clEvEUlddE_EESt5arrayIPcLm3EEEEviT0_T1_ ; -- Begin function _ZN2at6native29vectorized_elementwise_kernelILi16ENS0_13BinaryFunctorIdddZZZNS0_12_GLOBAL__N_132hermite_polynomial_h_kernel_cudaERNS_18TensorIteratorBaseEENKUlvE_clEvENKUlvE_clEvEUlddE_EESt5arrayIPcLm3EEEEviT0_T1_
	.p2align	8
	.type	_ZN2at6native29vectorized_elementwise_kernelILi16ENS0_13BinaryFunctorIdddZZZNS0_12_GLOBAL__N_132hermite_polynomial_h_kernel_cudaERNS_18TensorIteratorBaseEENKUlvE_clEvENKUlvE_clEvEUlddE_EESt5arrayIPcLm3EEEEviT0_T1_,@function
_ZN2at6native29vectorized_elementwise_kernelILi16ENS0_13BinaryFunctorIdddZZZNS0_12_GLOBAL__N_132hermite_polynomial_h_kernel_cudaERNS_18TensorIteratorBaseEENKUlvE_clEvENKUlvE_clEvEUlddE_EESt5arrayIPcLm3EEEEviT0_T1_: ; @_ZN2at6native29vectorized_elementwise_kernelILi16ENS0_13BinaryFunctorIdddZZZNS0_12_GLOBAL__N_132hermite_polynomial_h_kernel_cudaERNS_18TensorIteratorBaseEENKUlvE_clEvENKUlvE_clEvEUlddE_EESt5arrayIPcLm3EEEEviT0_T1_
; %bb.0:
	s_clause 0x2
	s_load_b32 s3, s[0:1], 0x0
	s_load_b128 s[4:7], s[0:1], 0x8
	s_load_b64 s[8:9], s[0:1], 0x18
	s_lshl_b32 s2, s15, 10
	s_mov_b32 s0, -1
	s_waitcnt lgkmcnt(0)
	s_sub_i32 s12, s3, s2
	s_delay_alu instid0(SALU_CYCLE_1)
	s_cmpk_gt_i32 s12, 0x3ff
	s_cbranch_scc0 .LBB16_50
; %bb.1:
	s_ashr_i32 s3, s2, 31
	v_lshlrev_b32_e32 v21, 5, v0
	s_lshl_b64 s[0:1], s[2:3], 3
	s_mov_b32 s3, exec_lo
	s_add_u32 s10, s6, s0
	s_addc_u32 s11, s7, s1
	s_add_u32 s14, s8, s0
	s_addc_u32 s15, s9, s1
	s_clause 0x3
	global_load_b128 v[1:4], v21, s[14:15]
	global_load_b128 v[9:12], v21, s[14:15] offset:16
	global_load_b128 v[5:8], v21, s[10:11] offset:16
	global_load_b128 v[13:16], v21, s[10:11]
	s_waitcnt vmcnt(3)
	v_trunc_f64_e32 v[17:18], v[1:2]
	v_cmp_class_f64_e64 vcc_lo, v[1:2], 0x1f8
	v_mov_b32_e32 v1, 0
	v_mov_b32_e32 v2, 0
	s_delay_alu instid0(VALU_DEP_4) | instskip(NEXT) | instid1(VALU_DEP_1)
	v_ldexp_f64 v[19:20], v[17:18], 0xffffffe0
	v_floor_f64_e32 v[19:20], v[19:20]
	s_delay_alu instid0(VALU_DEP_1) | instskip(SKIP_1) | instid1(VALU_DEP_2)
	v_fma_f64 v[17:18], 0xc1f00000, v[19:20], v[17:18]
	v_cvt_i32_f64_e32 v19, v[19:20]
	v_cvt_u32_f64_e32 v17, v[17:18]
	s_delay_alu instid0(VALU_DEP_1) | instskip(NEXT) | instid1(VALU_DEP_1)
	v_dual_cndmask_b32 v18, -1, v19 :: v_dual_cndmask_b32 v17, -1, v17
	v_cmpx_lt_i64_e32 -1, v[17:18]
	s_cbranch_execz .LBB16_13
; %bb.2:
	v_mov_b32_e32 v1, 0
	v_mov_b32_e32 v2, 0x3ff00000
	s_mov_b32 s13, exec_lo
	v_cmpx_lt_i64_e32 0, v[17:18]
	s_cbranch_execz .LBB16_12
; %bb.3:
                                        ; implicit-def: $vgpr1_vgpr2
	s_mov_b32 s10, exec_lo
	v_cmpx_ne_u64_e32 1, v[17:18]
	s_xor_b32 s14, exec_lo, s10
	s_cbranch_execz .LBB16_9
; %bb.4:
	v_mov_b32_e32 v1, 0
	v_mov_b32_e32 v2, 0x7ff80000
	s_mov_b32 s15, exec_lo
	v_cmpx_gt_u64_e32 0x201, v[17:18]
	s_cbranch_execz .LBB16_8
; %bb.5:
	s_waitcnt vmcnt(0)
	v_add_f64 v[13:14], v[13:14], v[13:14]
	v_mov_b32_e32 v19, 0
	v_lshlrev_b64 v[17:18], 1, v[17:18]
	v_mov_b32_e32 v20, 0x3ff00000
	s_mov_b64 s[10:11], 2
	s_mov_b32 s16, 0
	s_delay_alu instid0(VALU_DEP_4)
	v_dual_mov_b32 v1, v13 :: v_dual_mov_b32 v2, v14
	.p2align	6
.LBB16_6:                               ; =>This Inner Loop Header: Depth=1
	v_cvt_f64_u32_e32 v[22:23], s11
	v_cvt_f64_u32_e32 v[24:25], s10
	s_add_u32 s10, s10, 2
	s_addc_u32 s11, s11, 0
	s_delay_alu instid0(SALU_CYCLE_1) | instskip(SKIP_1) | instid1(VALU_DEP_3)
	v_cmp_ge_u64_e32 vcc_lo, s[10:11], v[17:18]
	s_or_b32 s16, vcc_lo, s16
	v_ldexp_f64 v[22:23], v[22:23], 32
	s_delay_alu instid0(VALU_DEP_1) | instskip(NEXT) | instid1(VALU_DEP_1)
	v_add_f64 v[22:23], v[22:23], v[24:25]
	v_mul_f64 v[19:20], v[19:20], v[22:23]
	v_dual_mov_b32 v23, v2 :: v_dual_mov_b32 v22, v1
	s_delay_alu instid0(VALU_DEP_1)
	v_fma_f64 v[1:2], v[13:14], v[22:23], -v[19:20]
	v_dual_mov_b32 v19, v22 :: v_dual_mov_b32 v20, v23
	s_and_not1_b32 exec_lo, exec_lo, s16
	s_cbranch_execnz .LBB16_6
; %bb.7:
	s_or_b32 exec_lo, exec_lo, s16
.LBB16_8:
	s_delay_alu instid0(SALU_CYCLE_1)
	s_or_b32 exec_lo, exec_lo, s15
.LBB16_9:
	s_and_not1_saveexec_b32 s10, s14
	s_cbranch_execz .LBB16_11
; %bb.10:
	s_waitcnt vmcnt(0)
	v_add_f64 v[1:2], v[13:14], v[13:14]
.LBB16_11:
	s_or_b32 exec_lo, exec_lo, s10
.LBB16_12:
	s_delay_alu instid0(SALU_CYCLE_1)
	s_or_b32 exec_lo, exec_lo, s13
.LBB16_13:
	s_delay_alu instid0(SALU_CYCLE_1)
	s_or_b32 exec_lo, exec_lo, s3
	s_waitcnt vmcnt(0)
	v_trunc_f64_e32 v[13:14], v[3:4]
	v_cmp_class_f64_e64 vcc_lo, v[3:4], 0x1f8
	s_mov_b32 s3, exec_lo
	v_mov_b32_e32 v3, 0
	v_mov_b32_e32 v4, 0
	s_delay_alu instid0(VALU_DEP_4) | instskip(NEXT) | instid1(VALU_DEP_1)
	v_ldexp_f64 v[17:18], v[13:14], 0xffffffe0
	v_floor_f64_e32 v[17:18], v[17:18]
	s_delay_alu instid0(VALU_DEP_1) | instskip(SKIP_1) | instid1(VALU_DEP_2)
	v_fma_f64 v[13:14], 0xc1f00000, v[17:18], v[13:14]
	v_cvt_i32_f64_e32 v17, v[17:18]
	v_cvt_u32_f64_e32 v13, v[13:14]
	s_delay_alu instid0(VALU_DEP_2) | instskip(NEXT) | instid1(VALU_DEP_2)
	v_cndmask_b32_e32 v14, -1, v17, vcc_lo
	v_cndmask_b32_e32 v13, -1, v13, vcc_lo
	s_delay_alu instid0(VALU_DEP_1)
	v_cmpx_lt_i64_e32 -1, v[13:14]
	s_cbranch_execz .LBB16_25
; %bb.14:
	v_mov_b32_e32 v3, 0
	v_mov_b32_e32 v4, 0x3ff00000
	s_mov_b32 s13, exec_lo
	v_cmpx_lt_i64_e32 0, v[13:14]
	s_cbranch_execz .LBB16_24
; %bb.15:
	s_mov_b32 s10, exec_lo
	v_cmpx_ne_u64_e32 1, v[13:14]
	s_xor_b32 s14, exec_lo, s10
	s_cbranch_execz .LBB16_21
; %bb.16:
	v_mov_b32_e32 v3, 0
	v_mov_b32_e32 v4, 0x7ff80000
	s_mov_b32 s15, exec_lo
	v_cmpx_gt_u64_e32 0x201, v[13:14]
	s_cbranch_execz .LBB16_20
; %bb.17:
	v_add_f64 v[15:16], v[15:16], v[15:16]
	v_mov_b32_e32 v17, 0
	v_lshlrev_b64 v[13:14], 1, v[13:14]
	v_mov_b32_e32 v18, 0x3ff00000
	s_mov_b64 s[10:11], 2
	s_mov_b32 s16, 0
	s_delay_alu instid0(VALU_DEP_4)
	v_dual_mov_b32 v3, v15 :: v_dual_mov_b32 v4, v16
	.p2align	6
.LBB16_18:                              ; =>This Inner Loop Header: Depth=1
	v_cvt_f64_u32_e32 v[19:20], s11
	v_cvt_f64_u32_e32 v[22:23], s10
	s_add_u32 s10, s10, 2
	s_addc_u32 s11, s11, 0
	s_delay_alu instid0(SALU_CYCLE_1) | instskip(SKIP_1) | instid1(VALU_DEP_3)
	v_cmp_ge_u64_e32 vcc_lo, s[10:11], v[13:14]
	s_or_b32 s16, vcc_lo, s16
	v_ldexp_f64 v[19:20], v[19:20], 32
	s_delay_alu instid0(VALU_DEP_1) | instskip(NEXT) | instid1(VALU_DEP_1)
	v_add_f64 v[19:20], v[19:20], v[22:23]
	v_mul_f64 v[17:18], v[17:18], v[19:20]
	v_dual_mov_b32 v20, v4 :: v_dual_mov_b32 v19, v3
	s_delay_alu instid0(VALU_DEP_1)
	v_fma_f64 v[3:4], v[15:16], v[19:20], -v[17:18]
	v_dual_mov_b32 v17, v19 :: v_dual_mov_b32 v18, v20
	s_and_not1_b32 exec_lo, exec_lo, s16
	s_cbranch_execnz .LBB16_18
; %bb.19:
	s_or_b32 exec_lo, exec_lo, s16
.LBB16_20:
	s_delay_alu instid0(SALU_CYCLE_1)
	s_or_b32 exec_lo, exec_lo, s15
                                        ; implicit-def: $vgpr15_vgpr16
.LBB16_21:
	s_and_not1_saveexec_b32 s10, s14
; %bb.22:
	v_add_f64 v[3:4], v[15:16], v[15:16]
; %bb.23:
	s_or_b32 exec_lo, exec_lo, s10
.LBB16_24:
	s_delay_alu instid0(SALU_CYCLE_1)
	s_or_b32 exec_lo, exec_lo, s13
.LBB16_25:
	s_delay_alu instid0(SALU_CYCLE_1)
	s_or_b32 exec_lo, exec_lo, s3
	v_trunc_f64_e32 v[13:14], v[9:10]
	v_cmp_class_f64_e64 vcc_lo, v[9:10], 0x1f8
	v_mov_b32_e32 v9, 0
	v_mov_b32_e32 v10, 0
	s_mov_b32 s3, exec_lo
	s_delay_alu instid0(VALU_DEP_4) | instskip(NEXT) | instid1(VALU_DEP_1)
	v_ldexp_f64 v[15:16], v[13:14], 0xffffffe0
	v_floor_f64_e32 v[15:16], v[15:16]
	s_delay_alu instid0(VALU_DEP_1) | instskip(SKIP_1) | instid1(VALU_DEP_2)
	v_fma_f64 v[13:14], 0xc1f00000, v[15:16], v[13:14]
	v_cvt_i32_f64_e32 v15, v[15:16]
	v_cvt_u32_f64_e32 v13, v[13:14]
	s_delay_alu instid0(VALU_DEP_1) | instskip(NEXT) | instid1(VALU_DEP_1)
	v_dual_cndmask_b32 v14, -1, v15 :: v_dual_cndmask_b32 v13, -1, v13
	v_cmpx_lt_i64_e32 -1, v[13:14]
	s_cbranch_execz .LBB16_37
; %bb.26:
	v_mov_b32_e32 v9, 0
	v_mov_b32_e32 v10, 0x3ff00000
	s_mov_b32 s13, exec_lo
	v_cmpx_lt_i64_e32 0, v[13:14]
	s_cbranch_execz .LBB16_36
; %bb.27:
                                        ; implicit-def: $vgpr9_vgpr10
	s_mov_b32 s10, exec_lo
	v_cmpx_ne_u64_e32 1, v[13:14]
	s_xor_b32 s14, exec_lo, s10
	s_cbranch_execz .LBB16_33
; %bb.28:
	v_mov_b32_e32 v9, 0
	v_mov_b32_e32 v10, 0x7ff80000
	s_mov_b32 s15, exec_lo
	v_cmpx_gt_u64_e32 0x201, v[13:14]
	s_cbranch_execz .LBB16_32
; %bb.29:
	v_add_f64 v[5:6], v[5:6], v[5:6]
	v_lshlrev_b64 v[13:14], 1, v[13:14]
	v_mov_b32_e32 v15, 0
	v_mov_b32_e32 v16, 0x3ff00000
	s_mov_b64 s[10:11], 2
	s_mov_b32 s16, 0
	s_delay_alu instid0(VALU_DEP_4)
	v_dual_mov_b32 v10, v6 :: v_dual_mov_b32 v9, v5
	.p2align	6
.LBB16_30:                              ; =>This Inner Loop Header: Depth=1
	v_cvt_f64_u32_e32 v[17:18], s11
	v_cvt_f64_u32_e32 v[19:20], s10
	s_add_u32 s10, s10, 2
	s_addc_u32 s11, s11, 0
	s_delay_alu instid0(SALU_CYCLE_1) | instskip(SKIP_1) | instid1(VALU_DEP_3)
	v_cmp_ge_u64_e32 vcc_lo, s[10:11], v[13:14]
	s_or_b32 s16, vcc_lo, s16
	v_ldexp_f64 v[17:18], v[17:18], 32
	s_delay_alu instid0(VALU_DEP_1) | instskip(NEXT) | instid1(VALU_DEP_1)
	v_add_f64 v[17:18], v[17:18], v[19:20]
	v_mul_f64 v[15:16], v[15:16], v[17:18]
	v_dual_mov_b32 v18, v10 :: v_dual_mov_b32 v17, v9
	s_delay_alu instid0(VALU_DEP_1)
	v_fma_f64 v[9:10], v[5:6], v[17:18], -v[15:16]
	v_dual_mov_b32 v15, v17 :: v_dual_mov_b32 v16, v18
	s_and_not1_b32 exec_lo, exec_lo, s16
	s_cbranch_execnz .LBB16_30
; %bb.31:
	s_or_b32 exec_lo, exec_lo, s16
.LBB16_32:
	s_delay_alu instid0(SALU_CYCLE_1)
	s_or_b32 exec_lo, exec_lo, s15
.LBB16_33:
	s_and_not1_saveexec_b32 s10, s14
; %bb.34:
	v_add_f64 v[9:10], v[5:6], v[5:6]
; %bb.35:
	s_or_b32 exec_lo, exec_lo, s10
.LBB16_36:
	s_delay_alu instid0(SALU_CYCLE_1)
	s_or_b32 exec_lo, exec_lo, s13
.LBB16_37:
	s_delay_alu instid0(SALU_CYCLE_1)
	s_or_b32 exec_lo, exec_lo, s3
	v_trunc_f64_e32 v[5:6], v[11:12]
	v_cmp_class_f64_e64 vcc_lo, v[11:12], 0x1f8
	s_mov_b32 s3, exec_lo
	v_mov_b32_e32 v11, 0
	v_mov_b32_e32 v12, 0
	s_delay_alu instid0(VALU_DEP_4) | instskip(NEXT) | instid1(VALU_DEP_1)
	v_ldexp_f64 v[13:14], v[5:6], 0xffffffe0
	v_floor_f64_e32 v[13:14], v[13:14]
	s_delay_alu instid0(VALU_DEP_1) | instskip(SKIP_1) | instid1(VALU_DEP_2)
	v_fma_f64 v[5:6], 0xc1f00000, v[13:14], v[5:6]
	v_cvt_i32_f64_e32 v13, v[13:14]
	v_cvt_u32_f64_e32 v5, v[5:6]
	s_delay_alu instid0(VALU_DEP_2) | instskip(NEXT) | instid1(VALU_DEP_2)
	v_cndmask_b32_e32 v6, -1, v13, vcc_lo
	v_cndmask_b32_e32 v5, -1, v5, vcc_lo
	s_delay_alu instid0(VALU_DEP_1)
	v_cmpx_lt_i64_e32 -1, v[5:6]
	s_cbranch_execz .LBB16_49
; %bb.38:
	v_mov_b32_e32 v11, 0
	v_mov_b32_e32 v12, 0x3ff00000
	s_mov_b32 s13, exec_lo
	v_cmpx_lt_i64_e32 0, v[5:6]
	s_cbranch_execz .LBB16_48
; %bb.39:
	s_mov_b32 s10, exec_lo
	v_cmpx_ne_u64_e32 1, v[5:6]
	s_xor_b32 s14, exec_lo, s10
	s_cbranch_execz .LBB16_45
; %bb.40:
	v_mov_b32_e32 v11, 0
	v_mov_b32_e32 v12, 0x7ff80000
	s_mov_b32 s15, exec_lo
	v_cmpx_gt_u64_e32 0x201, v[5:6]
	s_cbranch_execz .LBB16_44
; %bb.41:
	v_add_f64 v[7:8], v[7:8], v[7:8]
	v_lshlrev_b64 v[5:6], 1, v[5:6]
	v_mov_b32_e32 v13, 0
	v_mov_b32_e32 v14, 0x3ff00000
	s_mov_b64 s[10:11], 2
	s_mov_b32 s16, 0
	s_delay_alu instid0(VALU_DEP_4)
	v_dual_mov_b32 v12, v8 :: v_dual_mov_b32 v11, v7
	.p2align	6
.LBB16_42:                              ; =>This Inner Loop Header: Depth=1
	v_cvt_f64_u32_e32 v[15:16], s11
	v_cvt_f64_u32_e32 v[17:18], s10
	s_add_u32 s10, s10, 2
	s_addc_u32 s11, s11, 0
	s_delay_alu instid0(SALU_CYCLE_1) | instskip(SKIP_1) | instid1(VALU_DEP_3)
	v_cmp_ge_u64_e32 vcc_lo, s[10:11], v[5:6]
	s_or_b32 s16, vcc_lo, s16
	v_ldexp_f64 v[15:16], v[15:16], 32
	s_delay_alu instid0(VALU_DEP_1) | instskip(NEXT) | instid1(VALU_DEP_1)
	v_add_f64 v[15:16], v[15:16], v[17:18]
	v_mul_f64 v[13:14], v[13:14], v[15:16]
	v_dual_mov_b32 v16, v12 :: v_dual_mov_b32 v15, v11
	s_delay_alu instid0(VALU_DEP_1)
	v_fma_f64 v[11:12], v[7:8], v[15:16], -v[13:14]
	v_dual_mov_b32 v13, v15 :: v_dual_mov_b32 v14, v16
	s_and_not1_b32 exec_lo, exec_lo, s16
	s_cbranch_execnz .LBB16_42
; %bb.43:
	s_or_b32 exec_lo, exec_lo, s16
.LBB16_44:
	s_delay_alu instid0(SALU_CYCLE_1)
	s_or_b32 exec_lo, exec_lo, s15
                                        ; implicit-def: $vgpr7_vgpr8
.LBB16_45:
	s_and_not1_saveexec_b32 s10, s14
; %bb.46:
	v_add_f64 v[11:12], v[7:8], v[7:8]
; %bb.47:
	s_or_b32 exec_lo, exec_lo, s10
.LBB16_48:
	s_delay_alu instid0(SALU_CYCLE_1)
	s_or_b32 exec_lo, exec_lo, s13
.LBB16_49:
	s_delay_alu instid0(SALU_CYCLE_1)
	s_or_b32 exec_lo, exec_lo, s3
	s_add_u32 s10, s4, s0
	s_addc_u32 s11, s5, s1
	s_mov_b32 s0, 0
	s_clause 0x1
	global_store_b128 v21, v[1:4], s[10:11]
	global_store_b128 v21, v[9:12], s[10:11] offset:16
.LBB16_50:
	s_and_b32 vcc_lo, exec_lo, s0
	s_cbranch_vccz .LBB16_107
; %bb.51:
	v_dual_mov_b32 v18, 0 :: v_dual_mov_b32 v1, v0
	v_mov_b32_e32 v19, 0
	v_cmp_gt_i32_e32 vcc_lo, s12, v0
	v_or_b32_e32 v9, s2, v0
	v_or_b32_e32 v26, 0x100, v0
	s_delay_alu instid0(VALU_DEP_4)
	v_dual_mov_b32 v23, v19 :: v_dual_mov_b32 v22, v18
	v_dual_mov_b32 v25, v19 :: v_dual_mov_b32 v24, v18
	s_and_saveexec_b32 s1, vcc_lo
	s_cbranch_execz .LBB16_53
; %bb.52:
	v_mov_b32_e32 v10, 0
	s_delay_alu instid0(VALU_DEP_1) | instskip(NEXT) | instid1(VALU_DEP_1)
	v_lshlrev_b64 v[1:2], 3, v[9:10]
	v_add_co_u32 v3, s0, s6, v1
	s_delay_alu instid0(VALU_DEP_1) | instskip(SKIP_1) | instid1(VALU_DEP_1)
	v_add_co_ci_u32_e64 v4, s0, s7, v2, s0
	v_add_co_u32 v1, s0, s8, v1
	v_add_co_ci_u32_e64 v2, s0, s9, v2, s0
	global_load_b64 v[22:23], v[3:4], off
	global_load_b64 v[24:25], v[1:2], off
	v_or_b32_e32 v1, 0x100, v0
.LBB16_53:
	s_or_b32 exec_lo, exec_lo, s1
	v_dual_mov_b32 v21, v19 :: v_dual_mov_b32 v20, v18
	s_mov_b32 s1, exec_lo
	s_delay_alu instid0(VALU_DEP_2)
	v_cmpx_gt_i32_e64 s12, v1
	s_cbranch_execz .LBB16_55
; %bb.54:
	v_dual_mov_b32 v3, 0 :: v_dual_add_nc_u32 v2, s2, v1
	v_add_nc_u32_e32 v1, 0x100, v1
	s_delay_alu instid0(VALU_DEP_2) | instskip(NEXT) | instid1(VALU_DEP_1)
	v_lshlrev_b64 v[2:3], 3, v[2:3]
	v_add_co_u32 v4, s0, s6, v2
	s_delay_alu instid0(VALU_DEP_1) | instskip(SKIP_1) | instid1(VALU_DEP_1)
	v_add_co_ci_u32_e64 v5, s0, s7, v3, s0
	v_add_co_u32 v2, s0, s8, v2
	v_add_co_ci_u32_e64 v3, s0, s9, v3, s0
	global_load_b64 v[18:19], v[4:5], off
	global_load_b64 v[20:21], v[2:3], off
.LBB16_55:
	s_or_b32 exec_lo, exec_lo, s1
	v_mov_b32_e32 v10, 0
	v_mov_b32_e32 v11, 0
	s_mov_b32 s1, exec_lo
	s_delay_alu instid0(VALU_DEP_1)
	v_dual_mov_b32 v15, v11 :: v_dual_mov_b32 v14, v10
	v_dual_mov_b32 v17, v11 :: v_dual_mov_b32 v16, v10
	v_cmpx_gt_i32_e64 s12, v1
	s_cbranch_execz .LBB16_57
; %bb.56:
	v_dual_mov_b32 v3, 0 :: v_dual_add_nc_u32 v2, s2, v1
	v_add_nc_u32_e32 v1, 0x100, v1
	s_delay_alu instid0(VALU_DEP_2) | instskip(NEXT) | instid1(VALU_DEP_1)
	v_lshlrev_b64 v[2:3], 3, v[2:3]
	v_add_co_u32 v4, s0, s6, v2
	s_delay_alu instid0(VALU_DEP_1) | instskip(SKIP_1) | instid1(VALU_DEP_1)
	v_add_co_ci_u32_e64 v5, s0, s7, v3, s0
	v_add_co_u32 v2, s0, s8, v2
	v_add_co_ci_u32_e64 v3, s0, s9, v3, s0
	global_load_b64 v[14:15], v[4:5], off
	global_load_b64 v[16:17], v[2:3], off
.LBB16_57:
	s_or_b32 exec_lo, exec_lo, s1
	v_dual_mov_b32 v13, v11 :: v_dual_mov_b32 v12, v10
	s_mov_b32 s1, exec_lo
	v_cmpx_gt_i32_e64 s12, v1
	s_cbranch_execnz .LBB16_60
; %bb.58:
	s_or_b32 exec_lo, exec_lo, s1
                                        ; implicit-def: $vgpr1_vgpr2_vgpr3_vgpr4_vgpr5_vgpr6_vgpr7_vgpr8
	s_and_saveexec_b32 s1, vcc_lo
	s_cbranch_execnz .LBB16_61
.LBB16_59:
	s_or_b32 exec_lo, exec_lo, s1
	s_delay_alu instid0(SALU_CYCLE_1)
	s_mov_b32 s1, exec_lo
	v_cmpx_gt_i32_e64 s12, v26
	s_cbranch_execnz .LBB16_74
	s_branch .LBB16_87
.LBB16_60:
	v_dual_mov_b32 v2, 0 :: v_dual_add_nc_u32 v1, s2, v1
	s_delay_alu instid0(VALU_DEP_1) | instskip(NEXT) | instid1(VALU_DEP_1)
	v_lshlrev_b64 v[1:2], 3, v[1:2]
	v_add_co_u32 v3, s0, s6, v1
	s_delay_alu instid0(VALU_DEP_1) | instskip(SKIP_1) | instid1(VALU_DEP_1)
	v_add_co_ci_u32_e64 v4, s0, s7, v2, s0
	v_add_co_u32 v1, s0, s8, v1
	v_add_co_ci_u32_e64 v2, s0, s9, v2, s0
	global_load_b64 v[10:11], v[3:4], off
	global_load_b64 v[12:13], v[1:2], off
	s_or_b32 exec_lo, exec_lo, s1
                                        ; implicit-def: $vgpr1_vgpr2_vgpr3_vgpr4_vgpr5_vgpr6_vgpr7_vgpr8
	s_and_saveexec_b32 s1, vcc_lo
	s_cbranch_execz .LBB16_59
.LBB16_61:
	s_waitcnt vmcnt(0)
	v_trunc_f64_e32 v[1:2], v[24:25]
	v_cmp_class_f64_e64 s0, v[24:25], 0x1f8
	s_mov_b32 s3, exec_lo
	s_delay_alu instid0(VALU_DEP_2) | instskip(NEXT) | instid1(VALU_DEP_1)
	v_ldexp_f64 v[3:4], v[1:2], 0xffffffe0
	v_floor_f64_e32 v[3:4], v[3:4]
	s_delay_alu instid0(VALU_DEP_1) | instskip(SKIP_1) | instid1(VALU_DEP_2)
	v_fma_f64 v[1:2], 0xc1f00000, v[3:4], v[1:2]
	v_cvt_i32_f64_e32 v3, v[3:4]
	v_cvt_u32_f64_e32 v1, v[1:2]
	s_delay_alu instid0(VALU_DEP_2) | instskip(NEXT) | instid1(VALU_DEP_2)
	v_cndmask_b32_e64 v4, -1, v3, s0
	v_cndmask_b32_e64 v3, -1, v1, s0
	v_mov_b32_e32 v1, 0
	v_mov_b32_e32 v2, 0
	s_delay_alu instid0(VALU_DEP_3)
	v_cmpx_lt_i64_e32 -1, v[3:4]
	s_cbranch_execz .LBB16_73
; %bb.62:
	v_mov_b32_e32 v1, 0
	v_mov_b32_e32 v2, 0x3ff00000
	s_mov_b32 s8, exec_lo
	v_cmpx_lt_i64_e32 0, v[3:4]
	s_cbranch_execz .LBB16_72
; %bb.63:
                                        ; implicit-def: $vgpr1_vgpr2
	s_mov_b32 s6, exec_lo
	v_cmpx_ne_u64_e32 1, v[3:4]
	s_xor_b32 s9, exec_lo, s6
	s_cbranch_execz .LBB16_69
; %bb.64:
	v_mov_b32_e32 v1, 0
	v_mov_b32_e32 v2, 0x7ff80000
	s_mov_b32 s10, exec_lo
	v_cmpx_gt_u64_e32 0x201, v[3:4]
	s_cbranch_execz .LBB16_68
; %bb.65:
	v_add_f64 v[5:6], v[22:23], v[22:23]
	v_mov_b32_e32 v7, 0
	v_lshlrev_b64 v[3:4], 1, v[3:4]
	v_mov_b32_e32 v8, 0x3ff00000
	s_mov_b64 s[6:7], 2
	s_mov_b32 s11, 0
	s_delay_alu instid0(VALU_DEP_4)
	v_dual_mov_b32 v1, v5 :: v_dual_mov_b32 v2, v6
	.p2align	6
.LBB16_66:                              ; =>This Inner Loop Header: Depth=1
	v_cvt_f64_u32_e32 v[22:23], s7
	v_cvt_f64_u32_e32 v[24:25], s6
	s_add_u32 s6, s6, 2
	s_addc_u32 s7, s7, 0
	s_delay_alu instid0(SALU_CYCLE_1) | instskip(NEXT) | instid1(VALU_DEP_1)
	v_cmp_ge_u64_e64 s0, s[6:7], v[3:4]
	s_or_b32 s11, s0, s11
	s_delay_alu instid0(VALU_DEP_3) | instskip(NEXT) | instid1(VALU_DEP_1)
	v_ldexp_f64 v[22:23], v[22:23], 32
	v_add_f64 v[22:23], v[22:23], v[24:25]
	s_delay_alu instid0(VALU_DEP_1) | instskip(SKIP_1) | instid1(VALU_DEP_1)
	v_mul_f64 v[7:8], v[7:8], v[22:23]
	v_dual_mov_b32 v23, v2 :: v_dual_mov_b32 v22, v1
	v_fma_f64 v[1:2], v[5:6], v[22:23], -v[7:8]
	v_dual_mov_b32 v7, v22 :: v_dual_mov_b32 v8, v23
	s_and_not1_b32 exec_lo, exec_lo, s11
	s_cbranch_execnz .LBB16_66
; %bb.67:
	s_or_b32 exec_lo, exec_lo, s11
.LBB16_68:
	s_delay_alu instid0(SALU_CYCLE_1)
	s_or_b32 exec_lo, exec_lo, s10
                                        ; implicit-def: $vgpr22_vgpr23
.LBB16_69:
	s_and_not1_saveexec_b32 s0, s9
; %bb.70:
	v_add_f64 v[1:2], v[22:23], v[22:23]
; %bb.71:
	s_or_b32 exec_lo, exec_lo, s0
.LBB16_72:
	s_delay_alu instid0(SALU_CYCLE_1)
	s_or_b32 exec_lo, exec_lo, s8
.LBB16_73:
	s_delay_alu instid0(SALU_CYCLE_1) | instskip(NEXT) | instid1(SALU_CYCLE_1)
	s_or_b32 exec_lo, exec_lo, s3
	s_or_b32 exec_lo, exec_lo, s1
	s_delay_alu instid0(SALU_CYCLE_1)
	s_mov_b32 s1, exec_lo
	v_cmpx_gt_i32_e64 s12, v26
	s_cbranch_execz .LBB16_87
.LBB16_74:
	s_waitcnt vmcnt(0)
	v_trunc_f64_e32 v[3:4], v[20:21]
	v_cmp_class_f64_e64 s0, v[20:21], 0x1f8
	s_mov_b32 s3, exec_lo
	s_delay_alu instid0(VALU_DEP_2) | instskip(NEXT) | instid1(VALU_DEP_1)
	v_ldexp_f64 v[22:23], v[3:4], 0xffffffe0
	v_floor_f64_e32 v[22:23], v[22:23]
	s_delay_alu instid0(VALU_DEP_1) | instskip(SKIP_1) | instid1(VALU_DEP_2)
	v_fma_f64 v[3:4], 0xc1f00000, v[22:23], v[3:4]
	v_cvt_i32_f64_e32 v22, v[22:23]
	v_cvt_u32_f64_e32 v3, v[3:4]
	s_delay_alu instid0(VALU_DEP_2) | instskip(NEXT) | instid1(VALU_DEP_2)
	v_cndmask_b32_e64 v21, -1, v22, s0
	v_cndmask_b32_e64 v20, -1, v3, s0
	v_mov_b32_e32 v3, 0
	v_mov_b32_e32 v4, 0
	s_delay_alu instid0(VALU_DEP_3)
	v_cmpx_lt_i64_e32 -1, v[20:21]
	s_cbranch_execz .LBB16_86
; %bb.75:
	v_mov_b32_e32 v3, 0
	v_mov_b32_e32 v4, 0x3ff00000
	s_mov_b32 s8, exec_lo
	v_cmpx_lt_i64_e32 0, v[20:21]
	s_cbranch_execz .LBB16_85
; %bb.76:
	s_mov_b32 s6, exec_lo
	v_cmpx_ne_u64_e32 1, v[20:21]
	s_xor_b32 s9, exec_lo, s6
	s_cbranch_execz .LBB16_82
; %bb.77:
	v_mov_b32_e32 v3, 0
	v_mov_b32_e32 v4, 0x7ff80000
	s_mov_b32 s10, exec_lo
	v_cmpx_gt_u64_e32 0x201, v[20:21]
	s_cbranch_execz .LBB16_81
; %bb.78:
	v_add_f64 v[18:19], v[18:19], v[18:19]
	v_lshlrev_b64 v[20:21], 1, v[20:21]
	v_mov_b32_e32 v22, 0
	v_mov_b32_e32 v23, 0x3ff00000
	s_mov_b64 s[6:7], 2
	s_mov_b32 s11, 0
	s_delay_alu instid0(VALU_DEP_4)
	v_dual_mov_b32 v3, v18 :: v_dual_mov_b32 v4, v19
	.p2align	6
.LBB16_79:                              ; =>This Inner Loop Header: Depth=1
	v_cvt_f64_u32_e32 v[24:25], s7
	v_cvt_f64_u32_e32 v[27:28], s6
	s_add_u32 s6, s6, 2
	s_addc_u32 s7, s7, 0
	s_delay_alu instid0(SALU_CYCLE_1) | instskip(NEXT) | instid1(VALU_DEP_1)
	v_cmp_ge_u64_e64 s0, s[6:7], v[20:21]
	s_or_b32 s11, s0, s11
	s_delay_alu instid0(VALU_DEP_3) | instskip(NEXT) | instid1(VALU_DEP_1)
	v_ldexp_f64 v[24:25], v[24:25], 32
	v_add_f64 v[24:25], v[24:25], v[27:28]
	s_delay_alu instid0(VALU_DEP_1) | instskip(SKIP_1) | instid1(VALU_DEP_1)
	v_mul_f64 v[22:23], v[22:23], v[24:25]
	v_dual_mov_b32 v25, v4 :: v_dual_mov_b32 v24, v3
	v_fma_f64 v[3:4], v[18:19], v[24:25], -v[22:23]
	v_dual_mov_b32 v22, v24 :: v_dual_mov_b32 v23, v25
	s_and_not1_b32 exec_lo, exec_lo, s11
	s_cbranch_execnz .LBB16_79
; %bb.80:
	s_or_b32 exec_lo, exec_lo, s11
.LBB16_81:
	s_delay_alu instid0(SALU_CYCLE_1)
	s_or_b32 exec_lo, exec_lo, s10
                                        ; implicit-def: $vgpr18_vgpr19
.LBB16_82:
	s_and_not1_saveexec_b32 s0, s9
; %bb.83:
	v_add_f64 v[3:4], v[18:19], v[18:19]
; %bb.84:
	s_or_b32 exec_lo, exec_lo, s0
.LBB16_85:
	s_delay_alu instid0(SALU_CYCLE_1)
	s_or_b32 exec_lo, exec_lo, s8
.LBB16_86:
	s_delay_alu instid0(SALU_CYCLE_1)
	s_or_b32 exec_lo, exec_lo, s3
.LBB16_87:
	s_delay_alu instid0(SALU_CYCLE_1) | instskip(SKIP_3) | instid1(VALU_DEP_1)
	s_or_b32 exec_lo, exec_lo, s1
	s_waitcnt vmcnt(1)
	v_or_b32_e32 v18, 0x200, v0
	s_mov_b32 s1, exec_lo
	v_cmpx_gt_i32_e64 s12, v18
	s_cbranch_execz .LBB16_101
; %bb.88:
	s_waitcnt vmcnt(0)
	v_trunc_f64_e32 v[5:6], v[16:17]
	v_cmp_class_f64_e64 s0, v[16:17], 0x1f8
	s_mov_b32 s3, exec_lo
	s_delay_alu instid0(VALU_DEP_2) | instskip(NEXT) | instid1(VALU_DEP_1)
	v_ldexp_f64 v[18:19], v[5:6], 0xffffffe0
	v_floor_f64_e32 v[18:19], v[18:19]
	s_delay_alu instid0(VALU_DEP_1) | instskip(SKIP_1) | instid1(VALU_DEP_2)
	v_fma_f64 v[5:6], 0xc1f00000, v[18:19], v[5:6]
	v_cvt_i32_f64_e32 v18, v[18:19]
	v_cvt_u32_f64_e32 v5, v[5:6]
	s_delay_alu instid0(VALU_DEP_2) | instskip(NEXT) | instid1(VALU_DEP_2)
	v_cndmask_b32_e64 v17, -1, v18, s0
	v_cndmask_b32_e64 v16, -1, v5, s0
	v_mov_b32_e32 v5, 0
	v_mov_b32_e32 v6, 0
	s_delay_alu instid0(VALU_DEP_3)
	v_cmpx_lt_i64_e32 -1, v[16:17]
	s_cbranch_execz .LBB16_100
; %bb.89:
	v_mov_b32_e32 v5, 0
	v_mov_b32_e32 v6, 0x3ff00000
	s_mov_b32 s8, exec_lo
	v_cmpx_lt_i64_e32 0, v[16:17]
	s_cbranch_execz .LBB16_99
; %bb.90:
	s_mov_b32 s6, exec_lo
	v_cmpx_ne_u64_e32 1, v[16:17]
	s_xor_b32 s9, exec_lo, s6
	s_cbranch_execz .LBB16_96
; %bb.91:
	v_mov_b32_e32 v5, 0
	v_mov_b32_e32 v6, 0x7ff80000
	s_mov_b32 s10, exec_lo
	v_cmpx_gt_u64_e32 0x201, v[16:17]
	s_cbranch_execz .LBB16_95
; %bb.92:
	v_add_f64 v[14:15], v[14:15], v[14:15]
	v_lshlrev_b64 v[16:17], 1, v[16:17]
	v_mov_b32_e32 v18, 0
	v_mov_b32_e32 v19, 0x3ff00000
	s_mov_b64 s[6:7], 2
	s_mov_b32 s11, 0
	s_delay_alu instid0(VALU_DEP_4)
	v_dual_mov_b32 v5, v14 :: v_dual_mov_b32 v6, v15
	.p2align	6
.LBB16_93:                              ; =>This Inner Loop Header: Depth=1
	v_cvt_f64_u32_e32 v[20:21], s7
	v_cvt_f64_u32_e32 v[22:23], s6
	s_add_u32 s6, s6, 2
	s_addc_u32 s7, s7, 0
	s_delay_alu instid0(SALU_CYCLE_1) | instskip(NEXT) | instid1(VALU_DEP_1)
	v_cmp_ge_u64_e64 s0, s[6:7], v[16:17]
	s_or_b32 s11, s0, s11
	s_delay_alu instid0(VALU_DEP_3) | instskip(NEXT) | instid1(VALU_DEP_1)
	v_ldexp_f64 v[20:21], v[20:21], 32
	v_add_f64 v[20:21], v[20:21], v[22:23]
	s_delay_alu instid0(VALU_DEP_1) | instskip(SKIP_1) | instid1(VALU_DEP_1)
	v_mul_f64 v[18:19], v[18:19], v[20:21]
	v_dual_mov_b32 v21, v6 :: v_dual_mov_b32 v20, v5
	v_fma_f64 v[5:6], v[14:15], v[20:21], -v[18:19]
	v_dual_mov_b32 v18, v20 :: v_dual_mov_b32 v19, v21
	s_and_not1_b32 exec_lo, exec_lo, s11
	s_cbranch_execnz .LBB16_93
; %bb.94:
	s_or_b32 exec_lo, exec_lo, s11
.LBB16_95:
	s_delay_alu instid0(SALU_CYCLE_1)
	s_or_b32 exec_lo, exec_lo, s10
                                        ; implicit-def: $vgpr14_vgpr15
.LBB16_96:
	s_and_not1_saveexec_b32 s0, s9
; %bb.97:
	v_add_f64 v[5:6], v[14:15], v[14:15]
; %bb.98:
	s_or_b32 exec_lo, exec_lo, s0
.LBB16_99:
	s_delay_alu instid0(SALU_CYCLE_1)
	s_or_b32 exec_lo, exec_lo, s8
.LBB16_100:
	s_delay_alu instid0(SALU_CYCLE_1)
	s_or_b32 exec_lo, exec_lo, s3
.LBB16_101:
	s_delay_alu instid0(SALU_CYCLE_1) | instskip(SKIP_2) | instid1(VALU_DEP_1)
	s_or_b32 exec_lo, exec_lo, s1
	v_or_b32_e32 v14, 0x300, v0
	s_mov_b32 s1, exec_lo
	v_cmpx_gt_i32_e64 s12, v14
	s_cbranch_execnz .LBB16_108
; %bb.102:
	s_or_b32 exec_lo, exec_lo, s1
	s_and_saveexec_b32 s0, vcc_lo
	s_delay_alu instid0(SALU_CYCLE_1)
	s_xor_b32 s0, exec_lo, s0
	s_cbranch_execnz .LBB16_121
.LBB16_103:
	s_or_b32 exec_lo, exec_lo, s0
	s_delay_alu instid0(SALU_CYCLE_1)
	s_mov_b32 s0, exec_lo
	v_cmpx_gt_i32_e64 s12, v0
	s_cbranch_execnz .LBB16_122
.LBB16_104:
	s_or_b32 exec_lo, exec_lo, s0
	s_delay_alu instid0(SALU_CYCLE_1)
	s_mov_b32 s0, exec_lo
	v_cmpx_gt_i32_e64 s12, v0
	s_cbranch_execnz .LBB16_123
.LBB16_105:
	s_or_b32 exec_lo, exec_lo, s0
	s_delay_alu instid0(SALU_CYCLE_1)
	s_mov_b32 s0, exec_lo
	v_cmpx_gt_i32_e64 s12, v0
	s_cbranch_execz .LBB16_107
.LBB16_106:
	v_dual_mov_b32 v1, 0 :: v_dual_add_nc_u32 v0, s2, v0
	s_delay_alu instid0(VALU_DEP_1) | instskip(NEXT) | instid1(VALU_DEP_1)
	v_lshlrev_b64 v[0:1], 3, v[0:1]
	v_add_co_u32 v0, vcc_lo, s4, v0
	s_delay_alu instid0(VALU_DEP_2)
	v_add_co_ci_u32_e32 v1, vcc_lo, s5, v1, vcc_lo
	global_store_b64 v[0:1], v[7:8], off
.LBB16_107:
	s_nop 0
	s_sendmsg sendmsg(MSG_DEALLOC_VGPRS)
	s_endpgm
.LBB16_108:
	s_waitcnt vmcnt(0)
	v_trunc_f64_e32 v[7:8], v[12:13]
	v_cmp_class_f64_e64 s0, v[12:13], 0x1f8
	s_mov_b32 s3, exec_lo
	s_delay_alu instid0(VALU_DEP_2) | instskip(NEXT) | instid1(VALU_DEP_1)
	v_ldexp_f64 v[14:15], v[7:8], 0xffffffe0
	v_floor_f64_e32 v[14:15], v[14:15]
	s_delay_alu instid0(VALU_DEP_1) | instskip(SKIP_1) | instid1(VALU_DEP_2)
	v_fma_f64 v[7:8], 0xc1f00000, v[14:15], v[7:8]
	v_cvt_i32_f64_e32 v14, v[14:15]
	v_cvt_u32_f64_e32 v7, v[7:8]
	s_delay_alu instid0(VALU_DEP_2) | instskip(NEXT) | instid1(VALU_DEP_2)
	v_cndmask_b32_e64 v13, -1, v14, s0
	v_cndmask_b32_e64 v12, -1, v7, s0
	v_mov_b32_e32 v7, 0
	v_mov_b32_e32 v8, 0
	s_delay_alu instid0(VALU_DEP_3)
	v_cmpx_lt_i64_e32 -1, v[12:13]
	s_cbranch_execz .LBB16_120
; %bb.109:
	v_mov_b32_e32 v7, 0
	v_mov_b32_e32 v8, 0x3ff00000
	s_mov_b32 s8, exec_lo
	v_cmpx_lt_i64_e32 0, v[12:13]
	s_cbranch_execz .LBB16_119
; %bb.110:
	s_mov_b32 s6, exec_lo
	v_cmpx_ne_u64_e32 1, v[12:13]
	s_xor_b32 s9, exec_lo, s6
	s_cbranch_execz .LBB16_116
; %bb.111:
	v_mov_b32_e32 v7, 0
	v_mov_b32_e32 v8, 0x7ff80000
	s_mov_b32 s10, exec_lo
	v_cmpx_gt_u64_e32 0x201, v[12:13]
	s_cbranch_execz .LBB16_115
; %bb.112:
	v_add_f64 v[10:11], v[10:11], v[10:11]
	v_lshlrev_b64 v[12:13], 1, v[12:13]
	v_mov_b32_e32 v14, 0
	v_mov_b32_e32 v15, 0x3ff00000
	s_mov_b64 s[6:7], 2
	s_mov_b32 s11, 0
	s_delay_alu instid0(VALU_DEP_4)
	v_dual_mov_b32 v7, v10 :: v_dual_mov_b32 v8, v11
	.p2align	6
.LBB16_113:                             ; =>This Inner Loop Header: Depth=1
	v_cvt_f64_u32_e32 v[16:17], s7
	v_cvt_f64_u32_e32 v[18:19], s6
	s_add_u32 s6, s6, 2
	s_addc_u32 s7, s7, 0
	s_delay_alu instid0(SALU_CYCLE_1) | instskip(NEXT) | instid1(VALU_DEP_1)
	v_cmp_ge_u64_e64 s0, s[6:7], v[12:13]
	s_or_b32 s11, s0, s11
	s_delay_alu instid0(VALU_DEP_3) | instskip(NEXT) | instid1(VALU_DEP_1)
	v_ldexp_f64 v[16:17], v[16:17], 32
	v_add_f64 v[16:17], v[16:17], v[18:19]
	s_delay_alu instid0(VALU_DEP_1) | instskip(SKIP_1) | instid1(VALU_DEP_1)
	v_mul_f64 v[14:15], v[14:15], v[16:17]
	v_dual_mov_b32 v17, v8 :: v_dual_mov_b32 v16, v7
	v_fma_f64 v[7:8], v[10:11], v[16:17], -v[14:15]
	v_dual_mov_b32 v14, v16 :: v_dual_mov_b32 v15, v17
	s_and_not1_b32 exec_lo, exec_lo, s11
	s_cbranch_execnz .LBB16_113
; %bb.114:
	s_or_b32 exec_lo, exec_lo, s11
.LBB16_115:
	s_delay_alu instid0(SALU_CYCLE_1)
	s_or_b32 exec_lo, exec_lo, s10
                                        ; implicit-def: $vgpr10_vgpr11
.LBB16_116:
	s_and_not1_saveexec_b32 s0, s9
; %bb.117:
	v_add_f64 v[7:8], v[10:11], v[10:11]
; %bb.118:
	s_or_b32 exec_lo, exec_lo, s0
.LBB16_119:
	s_delay_alu instid0(SALU_CYCLE_1)
	s_or_b32 exec_lo, exec_lo, s8
.LBB16_120:
	s_delay_alu instid0(SALU_CYCLE_1) | instskip(NEXT) | instid1(SALU_CYCLE_1)
	s_or_b32 exec_lo, exec_lo, s3
	s_or_b32 exec_lo, exec_lo, s1
	s_and_saveexec_b32 s0, vcc_lo
	s_delay_alu instid0(SALU_CYCLE_1)
	s_xor_b32 s0, exec_lo, s0
	s_cbranch_execz .LBB16_103
.LBB16_121:
	v_mov_b32_e32 v10, 0
	v_mov_b32_e32 v0, v26
	s_delay_alu instid0(VALU_DEP_2) | instskip(NEXT) | instid1(VALU_DEP_1)
	v_lshlrev_b64 v[9:10], 3, v[9:10]
	v_add_co_u32 v9, vcc_lo, s4, v9
	s_delay_alu instid0(VALU_DEP_2) | instskip(SKIP_2) | instid1(SALU_CYCLE_1)
	v_add_co_ci_u32_e32 v10, vcc_lo, s5, v10, vcc_lo
	global_store_b64 v[9:10], v[1:2], off
	s_or_b32 exec_lo, exec_lo, s0
	s_mov_b32 s0, exec_lo
	v_cmpx_gt_i32_e64 s12, v0
	s_cbranch_execz .LBB16_104
.LBB16_122:
	v_dual_mov_b32 v2, 0 :: v_dual_add_nc_u32 v1, s2, v0
	v_add_nc_u32_e32 v0, 0x100, v0
	s_delay_alu instid0(VALU_DEP_2) | instskip(NEXT) | instid1(VALU_DEP_1)
	v_lshlrev_b64 v[1:2], 3, v[1:2]
	v_add_co_u32 v1, vcc_lo, s4, v1
	s_delay_alu instid0(VALU_DEP_2) | instskip(SKIP_2) | instid1(SALU_CYCLE_1)
	v_add_co_ci_u32_e32 v2, vcc_lo, s5, v2, vcc_lo
	global_store_b64 v[1:2], v[3:4], off
	s_or_b32 exec_lo, exec_lo, s0
	s_mov_b32 s0, exec_lo
	v_cmpx_gt_i32_e64 s12, v0
	s_cbranch_execz .LBB16_105
.LBB16_123:
	v_dual_mov_b32 v2, 0 :: v_dual_add_nc_u32 v1, s2, v0
	v_add_nc_u32_e32 v0, 0x100, v0
	s_delay_alu instid0(VALU_DEP_2) | instskip(NEXT) | instid1(VALU_DEP_1)
	v_lshlrev_b64 v[1:2], 3, v[1:2]
	v_add_co_u32 v1, vcc_lo, s4, v1
	s_delay_alu instid0(VALU_DEP_2) | instskip(SKIP_2) | instid1(SALU_CYCLE_1)
	v_add_co_ci_u32_e32 v2, vcc_lo, s5, v2, vcc_lo
	global_store_b64 v[1:2], v[5:6], off
	s_or_b32 exec_lo, exec_lo, s0
	s_mov_b32 s0, exec_lo
	v_cmpx_gt_i32_e64 s12, v0
	s_cbranch_execnz .LBB16_106
	s_branch .LBB16_107
	.section	.rodata,"a",@progbits
	.p2align	6, 0x0
	.amdhsa_kernel _ZN2at6native29vectorized_elementwise_kernelILi16ENS0_13BinaryFunctorIdddZZZNS0_12_GLOBAL__N_132hermite_polynomial_h_kernel_cudaERNS_18TensorIteratorBaseEENKUlvE_clEvENKUlvE_clEvEUlddE_EESt5arrayIPcLm3EEEEviT0_T1_
		.amdhsa_group_segment_fixed_size 0
		.amdhsa_private_segment_fixed_size 0
		.amdhsa_kernarg_size 32
		.amdhsa_user_sgpr_count 15
		.amdhsa_user_sgpr_dispatch_ptr 0
		.amdhsa_user_sgpr_queue_ptr 0
		.amdhsa_user_sgpr_kernarg_segment_ptr 1
		.amdhsa_user_sgpr_dispatch_id 0
		.amdhsa_user_sgpr_private_segment_size 0
		.amdhsa_wavefront_size32 1
		.amdhsa_uses_dynamic_stack 0
		.amdhsa_enable_private_segment 0
		.amdhsa_system_sgpr_workgroup_id_x 1
		.amdhsa_system_sgpr_workgroup_id_y 0
		.amdhsa_system_sgpr_workgroup_id_z 0
		.amdhsa_system_sgpr_workgroup_info 0
		.amdhsa_system_vgpr_workitem_id 0
		.amdhsa_next_free_vgpr 29
		.amdhsa_next_free_sgpr 17
		.amdhsa_reserve_vcc 1
		.amdhsa_float_round_mode_32 0
		.amdhsa_float_round_mode_16_64 0
		.amdhsa_float_denorm_mode_32 3
		.amdhsa_float_denorm_mode_16_64 3
		.amdhsa_dx10_clamp 1
		.amdhsa_ieee_mode 1
		.amdhsa_fp16_overflow 0
		.amdhsa_workgroup_processor_mode 1
		.amdhsa_memory_ordered 1
		.amdhsa_forward_progress 0
		.amdhsa_shared_vgpr_count 0
		.amdhsa_exception_fp_ieee_invalid_op 0
		.amdhsa_exception_fp_denorm_src 0
		.amdhsa_exception_fp_ieee_div_zero 0
		.amdhsa_exception_fp_ieee_overflow 0
		.amdhsa_exception_fp_ieee_underflow 0
		.amdhsa_exception_fp_ieee_inexact 0
		.amdhsa_exception_int_div_zero 0
	.end_amdhsa_kernel
	.section	.text._ZN2at6native29vectorized_elementwise_kernelILi16ENS0_13BinaryFunctorIdddZZZNS0_12_GLOBAL__N_132hermite_polynomial_h_kernel_cudaERNS_18TensorIteratorBaseEENKUlvE_clEvENKUlvE_clEvEUlddE_EESt5arrayIPcLm3EEEEviT0_T1_,"axG",@progbits,_ZN2at6native29vectorized_elementwise_kernelILi16ENS0_13BinaryFunctorIdddZZZNS0_12_GLOBAL__N_132hermite_polynomial_h_kernel_cudaERNS_18TensorIteratorBaseEENKUlvE_clEvENKUlvE_clEvEUlddE_EESt5arrayIPcLm3EEEEviT0_T1_,comdat
.Lfunc_end16:
	.size	_ZN2at6native29vectorized_elementwise_kernelILi16ENS0_13BinaryFunctorIdddZZZNS0_12_GLOBAL__N_132hermite_polynomial_h_kernel_cudaERNS_18TensorIteratorBaseEENKUlvE_clEvENKUlvE_clEvEUlddE_EESt5arrayIPcLm3EEEEviT0_T1_, .Lfunc_end16-_ZN2at6native29vectorized_elementwise_kernelILi16ENS0_13BinaryFunctorIdddZZZNS0_12_GLOBAL__N_132hermite_polynomial_h_kernel_cudaERNS_18TensorIteratorBaseEENKUlvE_clEvENKUlvE_clEvEUlddE_EESt5arrayIPcLm3EEEEviT0_T1_
                                        ; -- End function
	.section	.AMDGPU.csdata,"",@progbits
; Kernel info:
; codeLenInByte = 4016
; NumSgprs: 19
; NumVgprs: 29
; ScratchSize: 0
; MemoryBound: 0
; FloatMode: 240
; IeeeMode: 1
; LDSByteSize: 0 bytes/workgroup (compile time only)
; SGPRBlocks: 2
; VGPRBlocks: 3
; NumSGPRsForWavesPerEU: 19
; NumVGPRsForWavesPerEU: 29
; Occupancy: 16
; WaveLimiterHint : 0
; COMPUTE_PGM_RSRC2:SCRATCH_EN: 0
; COMPUTE_PGM_RSRC2:USER_SGPR: 15
; COMPUTE_PGM_RSRC2:TRAP_HANDLER: 0
; COMPUTE_PGM_RSRC2:TGID_X_EN: 1
; COMPUTE_PGM_RSRC2:TGID_Y_EN: 0
; COMPUTE_PGM_RSRC2:TGID_Z_EN: 0
; COMPUTE_PGM_RSRC2:TIDIG_COMP_CNT: 0
	.section	.text._ZN2at6native29vectorized_elementwise_kernelILi8ENS0_13BinaryFunctorIdddZZZNS0_12_GLOBAL__N_132hermite_polynomial_h_kernel_cudaERNS_18TensorIteratorBaseEENKUlvE_clEvENKUlvE_clEvEUlddE_EESt5arrayIPcLm3EEEEviT0_T1_,"axG",@progbits,_ZN2at6native29vectorized_elementwise_kernelILi8ENS0_13BinaryFunctorIdddZZZNS0_12_GLOBAL__N_132hermite_polynomial_h_kernel_cudaERNS_18TensorIteratorBaseEENKUlvE_clEvENKUlvE_clEvEUlddE_EESt5arrayIPcLm3EEEEviT0_T1_,comdat
	.globl	_ZN2at6native29vectorized_elementwise_kernelILi8ENS0_13BinaryFunctorIdddZZZNS0_12_GLOBAL__N_132hermite_polynomial_h_kernel_cudaERNS_18TensorIteratorBaseEENKUlvE_clEvENKUlvE_clEvEUlddE_EESt5arrayIPcLm3EEEEviT0_T1_ ; -- Begin function _ZN2at6native29vectorized_elementwise_kernelILi8ENS0_13BinaryFunctorIdddZZZNS0_12_GLOBAL__N_132hermite_polynomial_h_kernel_cudaERNS_18TensorIteratorBaseEENKUlvE_clEvENKUlvE_clEvEUlddE_EESt5arrayIPcLm3EEEEviT0_T1_
	.p2align	8
	.type	_ZN2at6native29vectorized_elementwise_kernelILi8ENS0_13BinaryFunctorIdddZZZNS0_12_GLOBAL__N_132hermite_polynomial_h_kernel_cudaERNS_18TensorIteratorBaseEENKUlvE_clEvENKUlvE_clEvEUlddE_EESt5arrayIPcLm3EEEEviT0_T1_,@function
_ZN2at6native29vectorized_elementwise_kernelILi8ENS0_13BinaryFunctorIdddZZZNS0_12_GLOBAL__N_132hermite_polynomial_h_kernel_cudaERNS_18TensorIteratorBaseEENKUlvE_clEvENKUlvE_clEvEUlddE_EESt5arrayIPcLm3EEEEviT0_T1_: ; @_ZN2at6native29vectorized_elementwise_kernelILi8ENS0_13BinaryFunctorIdddZZZNS0_12_GLOBAL__N_132hermite_polynomial_h_kernel_cudaERNS_18TensorIteratorBaseEENKUlvE_clEvENKUlvE_clEvEUlddE_EESt5arrayIPcLm3EEEEviT0_T1_
; %bb.0:
	s_clause 0x2
	s_load_b32 s3, s[0:1], 0x0
	s_load_b128 s[4:7], s[0:1], 0x8
	s_load_b64 s[8:9], s[0:1], 0x18
	s_lshl_b32 s2, s15, 10
	s_mov_b32 s0, -1
	s_waitcnt lgkmcnt(0)
	s_sub_i32 s12, s3, s2
	s_delay_alu instid0(SALU_CYCLE_1)
	s_cmpk_gt_i32 s12, 0x3ff
	s_cbranch_scc0 .LBB17_50
; %bb.1:
	s_ashr_i32 s3, s2, 31
	v_lshlrev_b32_e32 v21, 5, v0
	s_lshl_b64 s[0:1], s[2:3], 3
	s_mov_b32 s3, exec_lo
	s_add_u32 s10, s6, s0
	s_addc_u32 s11, s7, s1
	s_add_u32 s14, s8, s0
	s_addc_u32 s15, s9, s1
	s_clause 0x3
	global_load_b128 v[1:4], v21, s[14:15]
	global_load_b128 v[9:12], v21, s[14:15] offset:16
	global_load_b128 v[5:8], v21, s[10:11] offset:16
	global_load_b128 v[13:16], v21, s[10:11]
	s_waitcnt vmcnt(3)
	v_trunc_f64_e32 v[17:18], v[1:2]
	v_cmp_class_f64_e64 vcc_lo, v[1:2], 0x1f8
	v_mov_b32_e32 v1, 0
	v_mov_b32_e32 v2, 0
	s_delay_alu instid0(VALU_DEP_4) | instskip(NEXT) | instid1(VALU_DEP_1)
	v_ldexp_f64 v[19:20], v[17:18], 0xffffffe0
	v_floor_f64_e32 v[19:20], v[19:20]
	s_delay_alu instid0(VALU_DEP_1) | instskip(SKIP_1) | instid1(VALU_DEP_2)
	v_fma_f64 v[17:18], 0xc1f00000, v[19:20], v[17:18]
	v_cvt_i32_f64_e32 v19, v[19:20]
	v_cvt_u32_f64_e32 v17, v[17:18]
	s_delay_alu instid0(VALU_DEP_1) | instskip(NEXT) | instid1(VALU_DEP_1)
	v_dual_cndmask_b32 v18, -1, v19 :: v_dual_cndmask_b32 v17, -1, v17
	v_cmpx_lt_i64_e32 -1, v[17:18]
	s_cbranch_execz .LBB17_13
; %bb.2:
	v_mov_b32_e32 v1, 0
	v_mov_b32_e32 v2, 0x3ff00000
	s_mov_b32 s13, exec_lo
	v_cmpx_lt_i64_e32 0, v[17:18]
	s_cbranch_execz .LBB17_12
; %bb.3:
                                        ; implicit-def: $vgpr1_vgpr2
	s_mov_b32 s10, exec_lo
	v_cmpx_ne_u64_e32 1, v[17:18]
	s_xor_b32 s14, exec_lo, s10
	s_cbranch_execz .LBB17_9
; %bb.4:
	v_mov_b32_e32 v1, 0
	v_mov_b32_e32 v2, 0x7ff80000
	s_mov_b32 s15, exec_lo
	v_cmpx_gt_u64_e32 0x201, v[17:18]
	s_cbranch_execz .LBB17_8
; %bb.5:
	s_waitcnt vmcnt(0)
	v_add_f64 v[13:14], v[13:14], v[13:14]
	v_mov_b32_e32 v19, 0
	v_lshlrev_b64 v[17:18], 1, v[17:18]
	v_mov_b32_e32 v20, 0x3ff00000
	s_mov_b64 s[10:11], 2
	s_mov_b32 s16, 0
	s_delay_alu instid0(VALU_DEP_4)
	v_dual_mov_b32 v1, v13 :: v_dual_mov_b32 v2, v14
	.p2align	6
.LBB17_6:                               ; =>This Inner Loop Header: Depth=1
	v_cvt_f64_u32_e32 v[22:23], s11
	v_cvt_f64_u32_e32 v[24:25], s10
	s_add_u32 s10, s10, 2
	s_addc_u32 s11, s11, 0
	s_delay_alu instid0(SALU_CYCLE_1) | instskip(SKIP_1) | instid1(VALU_DEP_3)
	v_cmp_ge_u64_e32 vcc_lo, s[10:11], v[17:18]
	s_or_b32 s16, vcc_lo, s16
	v_ldexp_f64 v[22:23], v[22:23], 32
	s_delay_alu instid0(VALU_DEP_1) | instskip(NEXT) | instid1(VALU_DEP_1)
	v_add_f64 v[22:23], v[22:23], v[24:25]
	v_mul_f64 v[19:20], v[19:20], v[22:23]
	v_dual_mov_b32 v23, v2 :: v_dual_mov_b32 v22, v1
	s_delay_alu instid0(VALU_DEP_1)
	v_fma_f64 v[1:2], v[13:14], v[22:23], -v[19:20]
	v_dual_mov_b32 v19, v22 :: v_dual_mov_b32 v20, v23
	s_and_not1_b32 exec_lo, exec_lo, s16
	s_cbranch_execnz .LBB17_6
; %bb.7:
	s_or_b32 exec_lo, exec_lo, s16
.LBB17_8:
	s_delay_alu instid0(SALU_CYCLE_1)
	s_or_b32 exec_lo, exec_lo, s15
.LBB17_9:
	s_and_not1_saveexec_b32 s10, s14
	s_cbranch_execz .LBB17_11
; %bb.10:
	s_waitcnt vmcnt(0)
	v_add_f64 v[1:2], v[13:14], v[13:14]
.LBB17_11:
	s_or_b32 exec_lo, exec_lo, s10
.LBB17_12:
	s_delay_alu instid0(SALU_CYCLE_1)
	s_or_b32 exec_lo, exec_lo, s13
.LBB17_13:
	s_delay_alu instid0(SALU_CYCLE_1)
	s_or_b32 exec_lo, exec_lo, s3
	s_waitcnt vmcnt(0)
	v_trunc_f64_e32 v[13:14], v[3:4]
	v_cmp_class_f64_e64 vcc_lo, v[3:4], 0x1f8
	s_mov_b32 s3, exec_lo
	v_mov_b32_e32 v3, 0
	v_mov_b32_e32 v4, 0
	s_delay_alu instid0(VALU_DEP_4) | instskip(NEXT) | instid1(VALU_DEP_1)
	v_ldexp_f64 v[17:18], v[13:14], 0xffffffe0
	v_floor_f64_e32 v[17:18], v[17:18]
	s_delay_alu instid0(VALU_DEP_1) | instskip(SKIP_1) | instid1(VALU_DEP_2)
	v_fma_f64 v[13:14], 0xc1f00000, v[17:18], v[13:14]
	v_cvt_i32_f64_e32 v17, v[17:18]
	v_cvt_u32_f64_e32 v13, v[13:14]
	s_delay_alu instid0(VALU_DEP_2) | instskip(NEXT) | instid1(VALU_DEP_2)
	v_cndmask_b32_e32 v14, -1, v17, vcc_lo
	v_cndmask_b32_e32 v13, -1, v13, vcc_lo
	s_delay_alu instid0(VALU_DEP_1)
	v_cmpx_lt_i64_e32 -1, v[13:14]
	s_cbranch_execz .LBB17_25
; %bb.14:
	v_mov_b32_e32 v3, 0
	v_mov_b32_e32 v4, 0x3ff00000
	s_mov_b32 s13, exec_lo
	v_cmpx_lt_i64_e32 0, v[13:14]
	s_cbranch_execz .LBB17_24
; %bb.15:
	s_mov_b32 s10, exec_lo
	v_cmpx_ne_u64_e32 1, v[13:14]
	s_xor_b32 s14, exec_lo, s10
	s_cbranch_execz .LBB17_21
; %bb.16:
	v_mov_b32_e32 v3, 0
	v_mov_b32_e32 v4, 0x7ff80000
	s_mov_b32 s15, exec_lo
	v_cmpx_gt_u64_e32 0x201, v[13:14]
	s_cbranch_execz .LBB17_20
; %bb.17:
	v_add_f64 v[15:16], v[15:16], v[15:16]
	v_mov_b32_e32 v17, 0
	v_lshlrev_b64 v[13:14], 1, v[13:14]
	v_mov_b32_e32 v18, 0x3ff00000
	s_mov_b64 s[10:11], 2
	s_mov_b32 s16, 0
	s_delay_alu instid0(VALU_DEP_4)
	v_dual_mov_b32 v3, v15 :: v_dual_mov_b32 v4, v16
	.p2align	6
.LBB17_18:                              ; =>This Inner Loop Header: Depth=1
	v_cvt_f64_u32_e32 v[19:20], s11
	v_cvt_f64_u32_e32 v[22:23], s10
	s_add_u32 s10, s10, 2
	s_addc_u32 s11, s11, 0
	s_delay_alu instid0(SALU_CYCLE_1) | instskip(SKIP_1) | instid1(VALU_DEP_3)
	v_cmp_ge_u64_e32 vcc_lo, s[10:11], v[13:14]
	s_or_b32 s16, vcc_lo, s16
	v_ldexp_f64 v[19:20], v[19:20], 32
	s_delay_alu instid0(VALU_DEP_1) | instskip(NEXT) | instid1(VALU_DEP_1)
	v_add_f64 v[19:20], v[19:20], v[22:23]
	v_mul_f64 v[17:18], v[17:18], v[19:20]
	v_dual_mov_b32 v20, v4 :: v_dual_mov_b32 v19, v3
	s_delay_alu instid0(VALU_DEP_1)
	v_fma_f64 v[3:4], v[15:16], v[19:20], -v[17:18]
	v_dual_mov_b32 v17, v19 :: v_dual_mov_b32 v18, v20
	s_and_not1_b32 exec_lo, exec_lo, s16
	s_cbranch_execnz .LBB17_18
; %bb.19:
	s_or_b32 exec_lo, exec_lo, s16
.LBB17_20:
	s_delay_alu instid0(SALU_CYCLE_1)
	s_or_b32 exec_lo, exec_lo, s15
                                        ; implicit-def: $vgpr15_vgpr16
.LBB17_21:
	s_and_not1_saveexec_b32 s10, s14
; %bb.22:
	v_add_f64 v[3:4], v[15:16], v[15:16]
; %bb.23:
	s_or_b32 exec_lo, exec_lo, s10
.LBB17_24:
	s_delay_alu instid0(SALU_CYCLE_1)
	s_or_b32 exec_lo, exec_lo, s13
.LBB17_25:
	s_delay_alu instid0(SALU_CYCLE_1)
	s_or_b32 exec_lo, exec_lo, s3
	v_trunc_f64_e32 v[13:14], v[9:10]
	v_cmp_class_f64_e64 vcc_lo, v[9:10], 0x1f8
	v_mov_b32_e32 v9, 0
	v_mov_b32_e32 v10, 0
	s_mov_b32 s3, exec_lo
	s_delay_alu instid0(VALU_DEP_4) | instskip(NEXT) | instid1(VALU_DEP_1)
	v_ldexp_f64 v[15:16], v[13:14], 0xffffffe0
	v_floor_f64_e32 v[15:16], v[15:16]
	s_delay_alu instid0(VALU_DEP_1) | instskip(SKIP_1) | instid1(VALU_DEP_2)
	v_fma_f64 v[13:14], 0xc1f00000, v[15:16], v[13:14]
	v_cvt_i32_f64_e32 v15, v[15:16]
	v_cvt_u32_f64_e32 v13, v[13:14]
	s_delay_alu instid0(VALU_DEP_1) | instskip(NEXT) | instid1(VALU_DEP_1)
	v_dual_cndmask_b32 v14, -1, v15 :: v_dual_cndmask_b32 v13, -1, v13
	v_cmpx_lt_i64_e32 -1, v[13:14]
	s_cbranch_execz .LBB17_37
; %bb.26:
	v_mov_b32_e32 v9, 0
	v_mov_b32_e32 v10, 0x3ff00000
	s_mov_b32 s13, exec_lo
	v_cmpx_lt_i64_e32 0, v[13:14]
	s_cbranch_execz .LBB17_36
; %bb.27:
                                        ; implicit-def: $vgpr9_vgpr10
	s_mov_b32 s10, exec_lo
	v_cmpx_ne_u64_e32 1, v[13:14]
	s_xor_b32 s14, exec_lo, s10
	s_cbranch_execz .LBB17_33
; %bb.28:
	v_mov_b32_e32 v9, 0
	v_mov_b32_e32 v10, 0x7ff80000
	s_mov_b32 s15, exec_lo
	v_cmpx_gt_u64_e32 0x201, v[13:14]
	s_cbranch_execz .LBB17_32
; %bb.29:
	v_add_f64 v[5:6], v[5:6], v[5:6]
	v_lshlrev_b64 v[13:14], 1, v[13:14]
	v_mov_b32_e32 v15, 0
	v_mov_b32_e32 v16, 0x3ff00000
	s_mov_b64 s[10:11], 2
	s_mov_b32 s16, 0
	s_delay_alu instid0(VALU_DEP_4)
	v_dual_mov_b32 v10, v6 :: v_dual_mov_b32 v9, v5
	.p2align	6
.LBB17_30:                              ; =>This Inner Loop Header: Depth=1
	v_cvt_f64_u32_e32 v[17:18], s11
	v_cvt_f64_u32_e32 v[19:20], s10
	s_add_u32 s10, s10, 2
	s_addc_u32 s11, s11, 0
	s_delay_alu instid0(SALU_CYCLE_1) | instskip(SKIP_1) | instid1(VALU_DEP_3)
	v_cmp_ge_u64_e32 vcc_lo, s[10:11], v[13:14]
	s_or_b32 s16, vcc_lo, s16
	v_ldexp_f64 v[17:18], v[17:18], 32
	s_delay_alu instid0(VALU_DEP_1) | instskip(NEXT) | instid1(VALU_DEP_1)
	v_add_f64 v[17:18], v[17:18], v[19:20]
	v_mul_f64 v[15:16], v[15:16], v[17:18]
	v_dual_mov_b32 v18, v10 :: v_dual_mov_b32 v17, v9
	s_delay_alu instid0(VALU_DEP_1)
	v_fma_f64 v[9:10], v[5:6], v[17:18], -v[15:16]
	v_dual_mov_b32 v15, v17 :: v_dual_mov_b32 v16, v18
	s_and_not1_b32 exec_lo, exec_lo, s16
	s_cbranch_execnz .LBB17_30
; %bb.31:
	s_or_b32 exec_lo, exec_lo, s16
.LBB17_32:
	s_delay_alu instid0(SALU_CYCLE_1)
	s_or_b32 exec_lo, exec_lo, s15
.LBB17_33:
	s_and_not1_saveexec_b32 s10, s14
; %bb.34:
	v_add_f64 v[9:10], v[5:6], v[5:6]
; %bb.35:
	s_or_b32 exec_lo, exec_lo, s10
.LBB17_36:
	s_delay_alu instid0(SALU_CYCLE_1)
	s_or_b32 exec_lo, exec_lo, s13
.LBB17_37:
	s_delay_alu instid0(SALU_CYCLE_1)
	s_or_b32 exec_lo, exec_lo, s3
	v_trunc_f64_e32 v[5:6], v[11:12]
	v_cmp_class_f64_e64 vcc_lo, v[11:12], 0x1f8
	s_mov_b32 s3, exec_lo
	v_mov_b32_e32 v11, 0
	v_mov_b32_e32 v12, 0
	s_delay_alu instid0(VALU_DEP_4) | instskip(NEXT) | instid1(VALU_DEP_1)
	v_ldexp_f64 v[13:14], v[5:6], 0xffffffe0
	v_floor_f64_e32 v[13:14], v[13:14]
	s_delay_alu instid0(VALU_DEP_1) | instskip(SKIP_1) | instid1(VALU_DEP_2)
	v_fma_f64 v[5:6], 0xc1f00000, v[13:14], v[5:6]
	v_cvt_i32_f64_e32 v13, v[13:14]
	v_cvt_u32_f64_e32 v5, v[5:6]
	s_delay_alu instid0(VALU_DEP_2) | instskip(NEXT) | instid1(VALU_DEP_2)
	v_cndmask_b32_e32 v6, -1, v13, vcc_lo
	v_cndmask_b32_e32 v5, -1, v5, vcc_lo
	s_delay_alu instid0(VALU_DEP_1)
	v_cmpx_lt_i64_e32 -1, v[5:6]
	s_cbranch_execz .LBB17_49
; %bb.38:
	v_mov_b32_e32 v11, 0
	v_mov_b32_e32 v12, 0x3ff00000
	s_mov_b32 s13, exec_lo
	v_cmpx_lt_i64_e32 0, v[5:6]
	s_cbranch_execz .LBB17_48
; %bb.39:
	s_mov_b32 s10, exec_lo
	v_cmpx_ne_u64_e32 1, v[5:6]
	s_xor_b32 s14, exec_lo, s10
	s_cbranch_execz .LBB17_45
; %bb.40:
	v_mov_b32_e32 v11, 0
	v_mov_b32_e32 v12, 0x7ff80000
	s_mov_b32 s15, exec_lo
	v_cmpx_gt_u64_e32 0x201, v[5:6]
	s_cbranch_execz .LBB17_44
; %bb.41:
	v_add_f64 v[7:8], v[7:8], v[7:8]
	v_lshlrev_b64 v[5:6], 1, v[5:6]
	v_mov_b32_e32 v13, 0
	v_mov_b32_e32 v14, 0x3ff00000
	s_mov_b64 s[10:11], 2
	s_mov_b32 s16, 0
	s_delay_alu instid0(VALU_DEP_4)
	v_dual_mov_b32 v12, v8 :: v_dual_mov_b32 v11, v7
	.p2align	6
.LBB17_42:                              ; =>This Inner Loop Header: Depth=1
	v_cvt_f64_u32_e32 v[15:16], s11
	v_cvt_f64_u32_e32 v[17:18], s10
	s_add_u32 s10, s10, 2
	s_addc_u32 s11, s11, 0
	s_delay_alu instid0(SALU_CYCLE_1) | instskip(SKIP_1) | instid1(VALU_DEP_3)
	v_cmp_ge_u64_e32 vcc_lo, s[10:11], v[5:6]
	s_or_b32 s16, vcc_lo, s16
	v_ldexp_f64 v[15:16], v[15:16], 32
	s_delay_alu instid0(VALU_DEP_1) | instskip(NEXT) | instid1(VALU_DEP_1)
	v_add_f64 v[15:16], v[15:16], v[17:18]
	v_mul_f64 v[13:14], v[13:14], v[15:16]
	v_dual_mov_b32 v16, v12 :: v_dual_mov_b32 v15, v11
	s_delay_alu instid0(VALU_DEP_1)
	v_fma_f64 v[11:12], v[7:8], v[15:16], -v[13:14]
	v_dual_mov_b32 v13, v15 :: v_dual_mov_b32 v14, v16
	s_and_not1_b32 exec_lo, exec_lo, s16
	s_cbranch_execnz .LBB17_42
; %bb.43:
	s_or_b32 exec_lo, exec_lo, s16
.LBB17_44:
	s_delay_alu instid0(SALU_CYCLE_1)
	s_or_b32 exec_lo, exec_lo, s15
                                        ; implicit-def: $vgpr7_vgpr8
.LBB17_45:
	s_and_not1_saveexec_b32 s10, s14
; %bb.46:
	v_add_f64 v[11:12], v[7:8], v[7:8]
; %bb.47:
	s_or_b32 exec_lo, exec_lo, s10
.LBB17_48:
	s_delay_alu instid0(SALU_CYCLE_1)
	s_or_b32 exec_lo, exec_lo, s13
.LBB17_49:
	s_delay_alu instid0(SALU_CYCLE_1)
	s_or_b32 exec_lo, exec_lo, s3
	s_add_u32 s10, s4, s0
	s_addc_u32 s11, s5, s1
	s_mov_b32 s0, 0
	s_clause 0x1
	global_store_b128 v21, v[1:4], s[10:11]
	global_store_b128 v21, v[9:12], s[10:11] offset:16
.LBB17_50:
	s_and_b32 vcc_lo, exec_lo, s0
	s_cbranch_vccz .LBB17_107
; %bb.51:
	v_dual_mov_b32 v18, 0 :: v_dual_mov_b32 v1, v0
	v_mov_b32_e32 v19, 0
	v_cmp_gt_i32_e32 vcc_lo, s12, v0
	v_or_b32_e32 v9, s2, v0
	v_or_b32_e32 v26, 0x100, v0
	s_delay_alu instid0(VALU_DEP_4)
	v_dual_mov_b32 v23, v19 :: v_dual_mov_b32 v22, v18
	v_dual_mov_b32 v25, v19 :: v_dual_mov_b32 v24, v18
	s_and_saveexec_b32 s1, vcc_lo
	s_cbranch_execz .LBB17_53
; %bb.52:
	v_mov_b32_e32 v10, 0
	s_delay_alu instid0(VALU_DEP_1) | instskip(NEXT) | instid1(VALU_DEP_1)
	v_lshlrev_b64 v[1:2], 3, v[9:10]
	v_add_co_u32 v3, s0, s6, v1
	s_delay_alu instid0(VALU_DEP_1) | instskip(SKIP_1) | instid1(VALU_DEP_1)
	v_add_co_ci_u32_e64 v4, s0, s7, v2, s0
	v_add_co_u32 v1, s0, s8, v1
	v_add_co_ci_u32_e64 v2, s0, s9, v2, s0
	global_load_b64 v[22:23], v[3:4], off
	global_load_b64 v[24:25], v[1:2], off
	v_or_b32_e32 v1, 0x100, v0
.LBB17_53:
	s_or_b32 exec_lo, exec_lo, s1
	v_dual_mov_b32 v21, v19 :: v_dual_mov_b32 v20, v18
	s_mov_b32 s1, exec_lo
	s_delay_alu instid0(VALU_DEP_2)
	v_cmpx_gt_i32_e64 s12, v1
	s_cbranch_execz .LBB17_55
; %bb.54:
	v_dual_mov_b32 v3, 0 :: v_dual_add_nc_u32 v2, s2, v1
	v_add_nc_u32_e32 v1, 0x100, v1
	s_delay_alu instid0(VALU_DEP_2) | instskip(NEXT) | instid1(VALU_DEP_1)
	v_lshlrev_b64 v[2:3], 3, v[2:3]
	v_add_co_u32 v4, s0, s6, v2
	s_delay_alu instid0(VALU_DEP_1) | instskip(SKIP_1) | instid1(VALU_DEP_1)
	v_add_co_ci_u32_e64 v5, s0, s7, v3, s0
	v_add_co_u32 v2, s0, s8, v2
	v_add_co_ci_u32_e64 v3, s0, s9, v3, s0
	global_load_b64 v[18:19], v[4:5], off
	global_load_b64 v[20:21], v[2:3], off
.LBB17_55:
	s_or_b32 exec_lo, exec_lo, s1
	v_mov_b32_e32 v10, 0
	v_mov_b32_e32 v11, 0
	s_mov_b32 s1, exec_lo
	s_delay_alu instid0(VALU_DEP_1)
	v_dual_mov_b32 v15, v11 :: v_dual_mov_b32 v14, v10
	v_dual_mov_b32 v17, v11 :: v_dual_mov_b32 v16, v10
	v_cmpx_gt_i32_e64 s12, v1
	s_cbranch_execz .LBB17_57
; %bb.56:
	v_dual_mov_b32 v3, 0 :: v_dual_add_nc_u32 v2, s2, v1
	v_add_nc_u32_e32 v1, 0x100, v1
	s_delay_alu instid0(VALU_DEP_2) | instskip(NEXT) | instid1(VALU_DEP_1)
	v_lshlrev_b64 v[2:3], 3, v[2:3]
	v_add_co_u32 v4, s0, s6, v2
	s_delay_alu instid0(VALU_DEP_1) | instskip(SKIP_1) | instid1(VALU_DEP_1)
	v_add_co_ci_u32_e64 v5, s0, s7, v3, s0
	v_add_co_u32 v2, s0, s8, v2
	v_add_co_ci_u32_e64 v3, s0, s9, v3, s0
	global_load_b64 v[14:15], v[4:5], off
	global_load_b64 v[16:17], v[2:3], off
.LBB17_57:
	s_or_b32 exec_lo, exec_lo, s1
	v_dual_mov_b32 v13, v11 :: v_dual_mov_b32 v12, v10
	s_mov_b32 s1, exec_lo
	v_cmpx_gt_i32_e64 s12, v1
	s_cbranch_execnz .LBB17_60
; %bb.58:
	s_or_b32 exec_lo, exec_lo, s1
                                        ; implicit-def: $vgpr1_vgpr2_vgpr3_vgpr4_vgpr5_vgpr6_vgpr7_vgpr8
	s_and_saveexec_b32 s1, vcc_lo
	s_cbranch_execnz .LBB17_61
.LBB17_59:
	s_or_b32 exec_lo, exec_lo, s1
	s_delay_alu instid0(SALU_CYCLE_1)
	s_mov_b32 s1, exec_lo
	v_cmpx_gt_i32_e64 s12, v26
	s_cbranch_execnz .LBB17_74
	s_branch .LBB17_87
.LBB17_60:
	v_dual_mov_b32 v2, 0 :: v_dual_add_nc_u32 v1, s2, v1
	s_delay_alu instid0(VALU_DEP_1) | instskip(NEXT) | instid1(VALU_DEP_1)
	v_lshlrev_b64 v[1:2], 3, v[1:2]
	v_add_co_u32 v3, s0, s6, v1
	s_delay_alu instid0(VALU_DEP_1) | instskip(SKIP_1) | instid1(VALU_DEP_1)
	v_add_co_ci_u32_e64 v4, s0, s7, v2, s0
	v_add_co_u32 v1, s0, s8, v1
	v_add_co_ci_u32_e64 v2, s0, s9, v2, s0
	global_load_b64 v[10:11], v[3:4], off
	global_load_b64 v[12:13], v[1:2], off
	s_or_b32 exec_lo, exec_lo, s1
                                        ; implicit-def: $vgpr1_vgpr2_vgpr3_vgpr4_vgpr5_vgpr6_vgpr7_vgpr8
	s_and_saveexec_b32 s1, vcc_lo
	s_cbranch_execz .LBB17_59
.LBB17_61:
	s_waitcnt vmcnt(0)
	v_trunc_f64_e32 v[1:2], v[24:25]
	v_cmp_class_f64_e64 s0, v[24:25], 0x1f8
	s_mov_b32 s3, exec_lo
	s_delay_alu instid0(VALU_DEP_2) | instskip(NEXT) | instid1(VALU_DEP_1)
	v_ldexp_f64 v[3:4], v[1:2], 0xffffffe0
	v_floor_f64_e32 v[3:4], v[3:4]
	s_delay_alu instid0(VALU_DEP_1) | instskip(SKIP_1) | instid1(VALU_DEP_2)
	v_fma_f64 v[1:2], 0xc1f00000, v[3:4], v[1:2]
	v_cvt_i32_f64_e32 v3, v[3:4]
	v_cvt_u32_f64_e32 v1, v[1:2]
	s_delay_alu instid0(VALU_DEP_2) | instskip(NEXT) | instid1(VALU_DEP_2)
	v_cndmask_b32_e64 v4, -1, v3, s0
	v_cndmask_b32_e64 v3, -1, v1, s0
	v_mov_b32_e32 v1, 0
	v_mov_b32_e32 v2, 0
	s_delay_alu instid0(VALU_DEP_3)
	v_cmpx_lt_i64_e32 -1, v[3:4]
	s_cbranch_execz .LBB17_73
; %bb.62:
	v_mov_b32_e32 v1, 0
	v_mov_b32_e32 v2, 0x3ff00000
	s_mov_b32 s8, exec_lo
	v_cmpx_lt_i64_e32 0, v[3:4]
	s_cbranch_execz .LBB17_72
; %bb.63:
                                        ; implicit-def: $vgpr1_vgpr2
	s_mov_b32 s6, exec_lo
	v_cmpx_ne_u64_e32 1, v[3:4]
	s_xor_b32 s9, exec_lo, s6
	s_cbranch_execz .LBB17_69
; %bb.64:
	v_mov_b32_e32 v1, 0
	v_mov_b32_e32 v2, 0x7ff80000
	s_mov_b32 s10, exec_lo
	v_cmpx_gt_u64_e32 0x201, v[3:4]
	s_cbranch_execz .LBB17_68
; %bb.65:
	v_add_f64 v[5:6], v[22:23], v[22:23]
	v_mov_b32_e32 v7, 0
	v_lshlrev_b64 v[3:4], 1, v[3:4]
	v_mov_b32_e32 v8, 0x3ff00000
	s_mov_b64 s[6:7], 2
	s_mov_b32 s11, 0
	s_delay_alu instid0(VALU_DEP_4)
	v_dual_mov_b32 v1, v5 :: v_dual_mov_b32 v2, v6
	.p2align	6
.LBB17_66:                              ; =>This Inner Loop Header: Depth=1
	v_cvt_f64_u32_e32 v[22:23], s7
	v_cvt_f64_u32_e32 v[24:25], s6
	s_add_u32 s6, s6, 2
	s_addc_u32 s7, s7, 0
	s_delay_alu instid0(SALU_CYCLE_1) | instskip(NEXT) | instid1(VALU_DEP_1)
	v_cmp_ge_u64_e64 s0, s[6:7], v[3:4]
	s_or_b32 s11, s0, s11
	s_delay_alu instid0(VALU_DEP_3) | instskip(NEXT) | instid1(VALU_DEP_1)
	v_ldexp_f64 v[22:23], v[22:23], 32
	v_add_f64 v[22:23], v[22:23], v[24:25]
	s_delay_alu instid0(VALU_DEP_1) | instskip(SKIP_1) | instid1(VALU_DEP_1)
	v_mul_f64 v[7:8], v[7:8], v[22:23]
	v_dual_mov_b32 v23, v2 :: v_dual_mov_b32 v22, v1
	v_fma_f64 v[1:2], v[5:6], v[22:23], -v[7:8]
	v_dual_mov_b32 v7, v22 :: v_dual_mov_b32 v8, v23
	s_and_not1_b32 exec_lo, exec_lo, s11
	s_cbranch_execnz .LBB17_66
; %bb.67:
	s_or_b32 exec_lo, exec_lo, s11
.LBB17_68:
	s_delay_alu instid0(SALU_CYCLE_1)
	s_or_b32 exec_lo, exec_lo, s10
                                        ; implicit-def: $vgpr22_vgpr23
.LBB17_69:
	s_and_not1_saveexec_b32 s0, s9
; %bb.70:
	v_add_f64 v[1:2], v[22:23], v[22:23]
; %bb.71:
	s_or_b32 exec_lo, exec_lo, s0
.LBB17_72:
	s_delay_alu instid0(SALU_CYCLE_1)
	s_or_b32 exec_lo, exec_lo, s8
.LBB17_73:
	s_delay_alu instid0(SALU_CYCLE_1) | instskip(NEXT) | instid1(SALU_CYCLE_1)
	s_or_b32 exec_lo, exec_lo, s3
	s_or_b32 exec_lo, exec_lo, s1
	s_delay_alu instid0(SALU_CYCLE_1)
	s_mov_b32 s1, exec_lo
	v_cmpx_gt_i32_e64 s12, v26
	s_cbranch_execz .LBB17_87
.LBB17_74:
	s_waitcnt vmcnt(0)
	v_trunc_f64_e32 v[3:4], v[20:21]
	v_cmp_class_f64_e64 s0, v[20:21], 0x1f8
	s_mov_b32 s3, exec_lo
	s_delay_alu instid0(VALU_DEP_2) | instskip(NEXT) | instid1(VALU_DEP_1)
	v_ldexp_f64 v[22:23], v[3:4], 0xffffffe0
	v_floor_f64_e32 v[22:23], v[22:23]
	s_delay_alu instid0(VALU_DEP_1) | instskip(SKIP_1) | instid1(VALU_DEP_2)
	v_fma_f64 v[3:4], 0xc1f00000, v[22:23], v[3:4]
	v_cvt_i32_f64_e32 v22, v[22:23]
	v_cvt_u32_f64_e32 v3, v[3:4]
	s_delay_alu instid0(VALU_DEP_2) | instskip(NEXT) | instid1(VALU_DEP_2)
	v_cndmask_b32_e64 v21, -1, v22, s0
	v_cndmask_b32_e64 v20, -1, v3, s0
	v_mov_b32_e32 v3, 0
	v_mov_b32_e32 v4, 0
	s_delay_alu instid0(VALU_DEP_3)
	v_cmpx_lt_i64_e32 -1, v[20:21]
	s_cbranch_execz .LBB17_86
; %bb.75:
	v_mov_b32_e32 v3, 0
	v_mov_b32_e32 v4, 0x3ff00000
	s_mov_b32 s8, exec_lo
	v_cmpx_lt_i64_e32 0, v[20:21]
	s_cbranch_execz .LBB17_85
; %bb.76:
	s_mov_b32 s6, exec_lo
	v_cmpx_ne_u64_e32 1, v[20:21]
	s_xor_b32 s9, exec_lo, s6
	s_cbranch_execz .LBB17_82
; %bb.77:
	v_mov_b32_e32 v3, 0
	v_mov_b32_e32 v4, 0x7ff80000
	s_mov_b32 s10, exec_lo
	v_cmpx_gt_u64_e32 0x201, v[20:21]
	s_cbranch_execz .LBB17_81
; %bb.78:
	v_add_f64 v[18:19], v[18:19], v[18:19]
	v_lshlrev_b64 v[20:21], 1, v[20:21]
	v_mov_b32_e32 v22, 0
	v_mov_b32_e32 v23, 0x3ff00000
	s_mov_b64 s[6:7], 2
	s_mov_b32 s11, 0
	s_delay_alu instid0(VALU_DEP_4)
	v_dual_mov_b32 v3, v18 :: v_dual_mov_b32 v4, v19
	.p2align	6
.LBB17_79:                              ; =>This Inner Loop Header: Depth=1
	v_cvt_f64_u32_e32 v[24:25], s7
	v_cvt_f64_u32_e32 v[27:28], s6
	s_add_u32 s6, s6, 2
	s_addc_u32 s7, s7, 0
	s_delay_alu instid0(SALU_CYCLE_1) | instskip(NEXT) | instid1(VALU_DEP_1)
	v_cmp_ge_u64_e64 s0, s[6:7], v[20:21]
	s_or_b32 s11, s0, s11
	s_delay_alu instid0(VALU_DEP_3) | instskip(NEXT) | instid1(VALU_DEP_1)
	v_ldexp_f64 v[24:25], v[24:25], 32
	v_add_f64 v[24:25], v[24:25], v[27:28]
	s_delay_alu instid0(VALU_DEP_1) | instskip(SKIP_1) | instid1(VALU_DEP_1)
	v_mul_f64 v[22:23], v[22:23], v[24:25]
	v_dual_mov_b32 v25, v4 :: v_dual_mov_b32 v24, v3
	v_fma_f64 v[3:4], v[18:19], v[24:25], -v[22:23]
	v_dual_mov_b32 v22, v24 :: v_dual_mov_b32 v23, v25
	s_and_not1_b32 exec_lo, exec_lo, s11
	s_cbranch_execnz .LBB17_79
; %bb.80:
	s_or_b32 exec_lo, exec_lo, s11
.LBB17_81:
	s_delay_alu instid0(SALU_CYCLE_1)
	s_or_b32 exec_lo, exec_lo, s10
                                        ; implicit-def: $vgpr18_vgpr19
.LBB17_82:
	s_and_not1_saveexec_b32 s0, s9
; %bb.83:
	v_add_f64 v[3:4], v[18:19], v[18:19]
; %bb.84:
	s_or_b32 exec_lo, exec_lo, s0
.LBB17_85:
	s_delay_alu instid0(SALU_CYCLE_1)
	s_or_b32 exec_lo, exec_lo, s8
.LBB17_86:
	s_delay_alu instid0(SALU_CYCLE_1)
	s_or_b32 exec_lo, exec_lo, s3
.LBB17_87:
	s_delay_alu instid0(SALU_CYCLE_1) | instskip(SKIP_3) | instid1(VALU_DEP_1)
	s_or_b32 exec_lo, exec_lo, s1
	s_waitcnt vmcnt(1)
	v_or_b32_e32 v18, 0x200, v0
	s_mov_b32 s1, exec_lo
	v_cmpx_gt_i32_e64 s12, v18
	s_cbranch_execz .LBB17_101
; %bb.88:
	s_waitcnt vmcnt(0)
	v_trunc_f64_e32 v[5:6], v[16:17]
	v_cmp_class_f64_e64 s0, v[16:17], 0x1f8
	s_mov_b32 s3, exec_lo
	s_delay_alu instid0(VALU_DEP_2) | instskip(NEXT) | instid1(VALU_DEP_1)
	v_ldexp_f64 v[18:19], v[5:6], 0xffffffe0
	v_floor_f64_e32 v[18:19], v[18:19]
	s_delay_alu instid0(VALU_DEP_1) | instskip(SKIP_1) | instid1(VALU_DEP_2)
	v_fma_f64 v[5:6], 0xc1f00000, v[18:19], v[5:6]
	v_cvt_i32_f64_e32 v18, v[18:19]
	v_cvt_u32_f64_e32 v5, v[5:6]
	s_delay_alu instid0(VALU_DEP_2) | instskip(NEXT) | instid1(VALU_DEP_2)
	v_cndmask_b32_e64 v17, -1, v18, s0
	v_cndmask_b32_e64 v16, -1, v5, s0
	v_mov_b32_e32 v5, 0
	v_mov_b32_e32 v6, 0
	s_delay_alu instid0(VALU_DEP_3)
	v_cmpx_lt_i64_e32 -1, v[16:17]
	s_cbranch_execz .LBB17_100
; %bb.89:
	v_mov_b32_e32 v5, 0
	v_mov_b32_e32 v6, 0x3ff00000
	s_mov_b32 s8, exec_lo
	v_cmpx_lt_i64_e32 0, v[16:17]
	s_cbranch_execz .LBB17_99
; %bb.90:
	s_mov_b32 s6, exec_lo
	v_cmpx_ne_u64_e32 1, v[16:17]
	s_xor_b32 s9, exec_lo, s6
	s_cbranch_execz .LBB17_96
; %bb.91:
	v_mov_b32_e32 v5, 0
	v_mov_b32_e32 v6, 0x7ff80000
	s_mov_b32 s10, exec_lo
	v_cmpx_gt_u64_e32 0x201, v[16:17]
	s_cbranch_execz .LBB17_95
; %bb.92:
	v_add_f64 v[14:15], v[14:15], v[14:15]
	v_lshlrev_b64 v[16:17], 1, v[16:17]
	v_mov_b32_e32 v18, 0
	v_mov_b32_e32 v19, 0x3ff00000
	s_mov_b64 s[6:7], 2
	s_mov_b32 s11, 0
	s_delay_alu instid0(VALU_DEP_4)
	v_dual_mov_b32 v5, v14 :: v_dual_mov_b32 v6, v15
	.p2align	6
.LBB17_93:                              ; =>This Inner Loop Header: Depth=1
	v_cvt_f64_u32_e32 v[20:21], s7
	v_cvt_f64_u32_e32 v[22:23], s6
	s_add_u32 s6, s6, 2
	s_addc_u32 s7, s7, 0
	s_delay_alu instid0(SALU_CYCLE_1) | instskip(NEXT) | instid1(VALU_DEP_1)
	v_cmp_ge_u64_e64 s0, s[6:7], v[16:17]
	s_or_b32 s11, s0, s11
	s_delay_alu instid0(VALU_DEP_3) | instskip(NEXT) | instid1(VALU_DEP_1)
	v_ldexp_f64 v[20:21], v[20:21], 32
	v_add_f64 v[20:21], v[20:21], v[22:23]
	s_delay_alu instid0(VALU_DEP_1) | instskip(SKIP_1) | instid1(VALU_DEP_1)
	v_mul_f64 v[18:19], v[18:19], v[20:21]
	v_dual_mov_b32 v21, v6 :: v_dual_mov_b32 v20, v5
	v_fma_f64 v[5:6], v[14:15], v[20:21], -v[18:19]
	v_dual_mov_b32 v18, v20 :: v_dual_mov_b32 v19, v21
	s_and_not1_b32 exec_lo, exec_lo, s11
	s_cbranch_execnz .LBB17_93
; %bb.94:
	s_or_b32 exec_lo, exec_lo, s11
.LBB17_95:
	s_delay_alu instid0(SALU_CYCLE_1)
	s_or_b32 exec_lo, exec_lo, s10
                                        ; implicit-def: $vgpr14_vgpr15
.LBB17_96:
	s_and_not1_saveexec_b32 s0, s9
; %bb.97:
	v_add_f64 v[5:6], v[14:15], v[14:15]
; %bb.98:
	s_or_b32 exec_lo, exec_lo, s0
.LBB17_99:
	s_delay_alu instid0(SALU_CYCLE_1)
	s_or_b32 exec_lo, exec_lo, s8
.LBB17_100:
	s_delay_alu instid0(SALU_CYCLE_1)
	s_or_b32 exec_lo, exec_lo, s3
.LBB17_101:
	s_delay_alu instid0(SALU_CYCLE_1) | instskip(SKIP_2) | instid1(VALU_DEP_1)
	s_or_b32 exec_lo, exec_lo, s1
	v_or_b32_e32 v14, 0x300, v0
	s_mov_b32 s1, exec_lo
	v_cmpx_gt_i32_e64 s12, v14
	s_cbranch_execnz .LBB17_108
; %bb.102:
	s_or_b32 exec_lo, exec_lo, s1
	s_and_saveexec_b32 s0, vcc_lo
	s_delay_alu instid0(SALU_CYCLE_1)
	s_xor_b32 s0, exec_lo, s0
	s_cbranch_execnz .LBB17_121
.LBB17_103:
	s_or_b32 exec_lo, exec_lo, s0
	s_delay_alu instid0(SALU_CYCLE_1)
	s_mov_b32 s0, exec_lo
	v_cmpx_gt_i32_e64 s12, v0
	s_cbranch_execnz .LBB17_122
.LBB17_104:
	s_or_b32 exec_lo, exec_lo, s0
	s_delay_alu instid0(SALU_CYCLE_1)
	s_mov_b32 s0, exec_lo
	v_cmpx_gt_i32_e64 s12, v0
	s_cbranch_execnz .LBB17_123
.LBB17_105:
	s_or_b32 exec_lo, exec_lo, s0
	s_delay_alu instid0(SALU_CYCLE_1)
	s_mov_b32 s0, exec_lo
	v_cmpx_gt_i32_e64 s12, v0
	s_cbranch_execz .LBB17_107
.LBB17_106:
	v_dual_mov_b32 v1, 0 :: v_dual_add_nc_u32 v0, s2, v0
	s_delay_alu instid0(VALU_DEP_1) | instskip(NEXT) | instid1(VALU_DEP_1)
	v_lshlrev_b64 v[0:1], 3, v[0:1]
	v_add_co_u32 v0, vcc_lo, s4, v0
	s_delay_alu instid0(VALU_DEP_2)
	v_add_co_ci_u32_e32 v1, vcc_lo, s5, v1, vcc_lo
	global_store_b64 v[0:1], v[7:8], off
.LBB17_107:
	s_nop 0
	s_sendmsg sendmsg(MSG_DEALLOC_VGPRS)
	s_endpgm
.LBB17_108:
	s_waitcnt vmcnt(0)
	v_trunc_f64_e32 v[7:8], v[12:13]
	v_cmp_class_f64_e64 s0, v[12:13], 0x1f8
	s_mov_b32 s3, exec_lo
	s_delay_alu instid0(VALU_DEP_2) | instskip(NEXT) | instid1(VALU_DEP_1)
	v_ldexp_f64 v[14:15], v[7:8], 0xffffffe0
	v_floor_f64_e32 v[14:15], v[14:15]
	s_delay_alu instid0(VALU_DEP_1) | instskip(SKIP_1) | instid1(VALU_DEP_2)
	v_fma_f64 v[7:8], 0xc1f00000, v[14:15], v[7:8]
	v_cvt_i32_f64_e32 v14, v[14:15]
	v_cvt_u32_f64_e32 v7, v[7:8]
	s_delay_alu instid0(VALU_DEP_2) | instskip(NEXT) | instid1(VALU_DEP_2)
	v_cndmask_b32_e64 v13, -1, v14, s0
	v_cndmask_b32_e64 v12, -1, v7, s0
	v_mov_b32_e32 v7, 0
	v_mov_b32_e32 v8, 0
	s_delay_alu instid0(VALU_DEP_3)
	v_cmpx_lt_i64_e32 -1, v[12:13]
	s_cbranch_execz .LBB17_120
; %bb.109:
	v_mov_b32_e32 v7, 0
	v_mov_b32_e32 v8, 0x3ff00000
	s_mov_b32 s8, exec_lo
	v_cmpx_lt_i64_e32 0, v[12:13]
	s_cbranch_execz .LBB17_119
; %bb.110:
	s_mov_b32 s6, exec_lo
	v_cmpx_ne_u64_e32 1, v[12:13]
	s_xor_b32 s9, exec_lo, s6
	s_cbranch_execz .LBB17_116
; %bb.111:
	v_mov_b32_e32 v7, 0
	v_mov_b32_e32 v8, 0x7ff80000
	s_mov_b32 s10, exec_lo
	v_cmpx_gt_u64_e32 0x201, v[12:13]
	s_cbranch_execz .LBB17_115
; %bb.112:
	v_add_f64 v[10:11], v[10:11], v[10:11]
	v_lshlrev_b64 v[12:13], 1, v[12:13]
	v_mov_b32_e32 v14, 0
	v_mov_b32_e32 v15, 0x3ff00000
	s_mov_b64 s[6:7], 2
	s_mov_b32 s11, 0
	s_delay_alu instid0(VALU_DEP_4)
	v_dual_mov_b32 v7, v10 :: v_dual_mov_b32 v8, v11
	.p2align	6
.LBB17_113:                             ; =>This Inner Loop Header: Depth=1
	v_cvt_f64_u32_e32 v[16:17], s7
	v_cvt_f64_u32_e32 v[18:19], s6
	s_add_u32 s6, s6, 2
	s_addc_u32 s7, s7, 0
	s_delay_alu instid0(SALU_CYCLE_1) | instskip(NEXT) | instid1(VALU_DEP_1)
	v_cmp_ge_u64_e64 s0, s[6:7], v[12:13]
	s_or_b32 s11, s0, s11
	s_delay_alu instid0(VALU_DEP_3) | instskip(NEXT) | instid1(VALU_DEP_1)
	v_ldexp_f64 v[16:17], v[16:17], 32
	v_add_f64 v[16:17], v[16:17], v[18:19]
	s_delay_alu instid0(VALU_DEP_1) | instskip(SKIP_1) | instid1(VALU_DEP_1)
	v_mul_f64 v[14:15], v[14:15], v[16:17]
	v_dual_mov_b32 v17, v8 :: v_dual_mov_b32 v16, v7
	v_fma_f64 v[7:8], v[10:11], v[16:17], -v[14:15]
	v_dual_mov_b32 v14, v16 :: v_dual_mov_b32 v15, v17
	s_and_not1_b32 exec_lo, exec_lo, s11
	s_cbranch_execnz .LBB17_113
; %bb.114:
	s_or_b32 exec_lo, exec_lo, s11
.LBB17_115:
	s_delay_alu instid0(SALU_CYCLE_1)
	s_or_b32 exec_lo, exec_lo, s10
                                        ; implicit-def: $vgpr10_vgpr11
.LBB17_116:
	s_and_not1_saveexec_b32 s0, s9
; %bb.117:
	v_add_f64 v[7:8], v[10:11], v[10:11]
; %bb.118:
	s_or_b32 exec_lo, exec_lo, s0
.LBB17_119:
	s_delay_alu instid0(SALU_CYCLE_1)
	s_or_b32 exec_lo, exec_lo, s8
.LBB17_120:
	s_delay_alu instid0(SALU_CYCLE_1) | instskip(NEXT) | instid1(SALU_CYCLE_1)
	s_or_b32 exec_lo, exec_lo, s3
	s_or_b32 exec_lo, exec_lo, s1
	s_and_saveexec_b32 s0, vcc_lo
	s_delay_alu instid0(SALU_CYCLE_1)
	s_xor_b32 s0, exec_lo, s0
	s_cbranch_execz .LBB17_103
.LBB17_121:
	v_mov_b32_e32 v10, 0
	v_mov_b32_e32 v0, v26
	s_delay_alu instid0(VALU_DEP_2) | instskip(NEXT) | instid1(VALU_DEP_1)
	v_lshlrev_b64 v[9:10], 3, v[9:10]
	v_add_co_u32 v9, vcc_lo, s4, v9
	s_delay_alu instid0(VALU_DEP_2) | instskip(SKIP_2) | instid1(SALU_CYCLE_1)
	v_add_co_ci_u32_e32 v10, vcc_lo, s5, v10, vcc_lo
	global_store_b64 v[9:10], v[1:2], off
	s_or_b32 exec_lo, exec_lo, s0
	s_mov_b32 s0, exec_lo
	v_cmpx_gt_i32_e64 s12, v0
	s_cbranch_execz .LBB17_104
.LBB17_122:
	v_dual_mov_b32 v2, 0 :: v_dual_add_nc_u32 v1, s2, v0
	v_add_nc_u32_e32 v0, 0x100, v0
	s_delay_alu instid0(VALU_DEP_2) | instskip(NEXT) | instid1(VALU_DEP_1)
	v_lshlrev_b64 v[1:2], 3, v[1:2]
	v_add_co_u32 v1, vcc_lo, s4, v1
	s_delay_alu instid0(VALU_DEP_2) | instskip(SKIP_2) | instid1(SALU_CYCLE_1)
	v_add_co_ci_u32_e32 v2, vcc_lo, s5, v2, vcc_lo
	global_store_b64 v[1:2], v[3:4], off
	s_or_b32 exec_lo, exec_lo, s0
	s_mov_b32 s0, exec_lo
	v_cmpx_gt_i32_e64 s12, v0
	s_cbranch_execz .LBB17_105
.LBB17_123:
	v_dual_mov_b32 v2, 0 :: v_dual_add_nc_u32 v1, s2, v0
	v_add_nc_u32_e32 v0, 0x100, v0
	s_delay_alu instid0(VALU_DEP_2) | instskip(NEXT) | instid1(VALU_DEP_1)
	v_lshlrev_b64 v[1:2], 3, v[1:2]
	v_add_co_u32 v1, vcc_lo, s4, v1
	s_delay_alu instid0(VALU_DEP_2) | instskip(SKIP_2) | instid1(SALU_CYCLE_1)
	v_add_co_ci_u32_e32 v2, vcc_lo, s5, v2, vcc_lo
	global_store_b64 v[1:2], v[5:6], off
	s_or_b32 exec_lo, exec_lo, s0
	s_mov_b32 s0, exec_lo
	v_cmpx_gt_i32_e64 s12, v0
	s_cbranch_execnz .LBB17_106
	s_branch .LBB17_107
	.section	.rodata,"a",@progbits
	.p2align	6, 0x0
	.amdhsa_kernel _ZN2at6native29vectorized_elementwise_kernelILi8ENS0_13BinaryFunctorIdddZZZNS0_12_GLOBAL__N_132hermite_polynomial_h_kernel_cudaERNS_18TensorIteratorBaseEENKUlvE_clEvENKUlvE_clEvEUlddE_EESt5arrayIPcLm3EEEEviT0_T1_
		.amdhsa_group_segment_fixed_size 0
		.amdhsa_private_segment_fixed_size 0
		.amdhsa_kernarg_size 32
		.amdhsa_user_sgpr_count 15
		.amdhsa_user_sgpr_dispatch_ptr 0
		.amdhsa_user_sgpr_queue_ptr 0
		.amdhsa_user_sgpr_kernarg_segment_ptr 1
		.amdhsa_user_sgpr_dispatch_id 0
		.amdhsa_user_sgpr_private_segment_size 0
		.amdhsa_wavefront_size32 1
		.amdhsa_uses_dynamic_stack 0
		.amdhsa_enable_private_segment 0
		.amdhsa_system_sgpr_workgroup_id_x 1
		.amdhsa_system_sgpr_workgroup_id_y 0
		.amdhsa_system_sgpr_workgroup_id_z 0
		.amdhsa_system_sgpr_workgroup_info 0
		.amdhsa_system_vgpr_workitem_id 0
		.amdhsa_next_free_vgpr 29
		.amdhsa_next_free_sgpr 17
		.amdhsa_reserve_vcc 1
		.amdhsa_float_round_mode_32 0
		.amdhsa_float_round_mode_16_64 0
		.amdhsa_float_denorm_mode_32 3
		.amdhsa_float_denorm_mode_16_64 3
		.amdhsa_dx10_clamp 1
		.amdhsa_ieee_mode 1
		.amdhsa_fp16_overflow 0
		.amdhsa_workgroup_processor_mode 1
		.amdhsa_memory_ordered 1
		.amdhsa_forward_progress 0
		.amdhsa_shared_vgpr_count 0
		.amdhsa_exception_fp_ieee_invalid_op 0
		.amdhsa_exception_fp_denorm_src 0
		.amdhsa_exception_fp_ieee_div_zero 0
		.amdhsa_exception_fp_ieee_overflow 0
		.amdhsa_exception_fp_ieee_underflow 0
		.amdhsa_exception_fp_ieee_inexact 0
		.amdhsa_exception_int_div_zero 0
	.end_amdhsa_kernel
	.section	.text._ZN2at6native29vectorized_elementwise_kernelILi8ENS0_13BinaryFunctorIdddZZZNS0_12_GLOBAL__N_132hermite_polynomial_h_kernel_cudaERNS_18TensorIteratorBaseEENKUlvE_clEvENKUlvE_clEvEUlddE_EESt5arrayIPcLm3EEEEviT0_T1_,"axG",@progbits,_ZN2at6native29vectorized_elementwise_kernelILi8ENS0_13BinaryFunctorIdddZZZNS0_12_GLOBAL__N_132hermite_polynomial_h_kernel_cudaERNS_18TensorIteratorBaseEENKUlvE_clEvENKUlvE_clEvEUlddE_EESt5arrayIPcLm3EEEEviT0_T1_,comdat
.Lfunc_end17:
	.size	_ZN2at6native29vectorized_elementwise_kernelILi8ENS0_13BinaryFunctorIdddZZZNS0_12_GLOBAL__N_132hermite_polynomial_h_kernel_cudaERNS_18TensorIteratorBaseEENKUlvE_clEvENKUlvE_clEvEUlddE_EESt5arrayIPcLm3EEEEviT0_T1_, .Lfunc_end17-_ZN2at6native29vectorized_elementwise_kernelILi8ENS0_13BinaryFunctorIdddZZZNS0_12_GLOBAL__N_132hermite_polynomial_h_kernel_cudaERNS_18TensorIteratorBaseEENKUlvE_clEvENKUlvE_clEvEUlddE_EESt5arrayIPcLm3EEEEviT0_T1_
                                        ; -- End function
	.section	.AMDGPU.csdata,"",@progbits
; Kernel info:
; codeLenInByte = 4016
; NumSgprs: 19
; NumVgprs: 29
; ScratchSize: 0
; MemoryBound: 0
; FloatMode: 240
; IeeeMode: 1
; LDSByteSize: 0 bytes/workgroup (compile time only)
; SGPRBlocks: 2
; VGPRBlocks: 3
; NumSGPRsForWavesPerEU: 19
; NumVGPRsForWavesPerEU: 29
; Occupancy: 16
; WaveLimiterHint : 0
; COMPUTE_PGM_RSRC2:SCRATCH_EN: 0
; COMPUTE_PGM_RSRC2:USER_SGPR: 15
; COMPUTE_PGM_RSRC2:TRAP_HANDLER: 0
; COMPUTE_PGM_RSRC2:TGID_X_EN: 1
; COMPUTE_PGM_RSRC2:TGID_Y_EN: 0
; COMPUTE_PGM_RSRC2:TGID_Z_EN: 0
; COMPUTE_PGM_RSRC2:TIDIG_COMP_CNT: 0
	.section	.text._ZN2at6native29vectorized_elementwise_kernelILi4ENS0_13BinaryFunctorIdddZZZNS0_12_GLOBAL__N_132hermite_polynomial_h_kernel_cudaERNS_18TensorIteratorBaseEENKUlvE_clEvENKUlvE_clEvEUlddE_EESt5arrayIPcLm3EEEEviT0_T1_,"axG",@progbits,_ZN2at6native29vectorized_elementwise_kernelILi4ENS0_13BinaryFunctorIdddZZZNS0_12_GLOBAL__N_132hermite_polynomial_h_kernel_cudaERNS_18TensorIteratorBaseEENKUlvE_clEvENKUlvE_clEvEUlddE_EESt5arrayIPcLm3EEEEviT0_T1_,comdat
	.globl	_ZN2at6native29vectorized_elementwise_kernelILi4ENS0_13BinaryFunctorIdddZZZNS0_12_GLOBAL__N_132hermite_polynomial_h_kernel_cudaERNS_18TensorIteratorBaseEENKUlvE_clEvENKUlvE_clEvEUlddE_EESt5arrayIPcLm3EEEEviT0_T1_ ; -- Begin function _ZN2at6native29vectorized_elementwise_kernelILi4ENS0_13BinaryFunctorIdddZZZNS0_12_GLOBAL__N_132hermite_polynomial_h_kernel_cudaERNS_18TensorIteratorBaseEENKUlvE_clEvENKUlvE_clEvEUlddE_EESt5arrayIPcLm3EEEEviT0_T1_
	.p2align	8
	.type	_ZN2at6native29vectorized_elementwise_kernelILi4ENS0_13BinaryFunctorIdddZZZNS0_12_GLOBAL__N_132hermite_polynomial_h_kernel_cudaERNS_18TensorIteratorBaseEENKUlvE_clEvENKUlvE_clEvEUlddE_EESt5arrayIPcLm3EEEEviT0_T1_,@function
_ZN2at6native29vectorized_elementwise_kernelILi4ENS0_13BinaryFunctorIdddZZZNS0_12_GLOBAL__N_132hermite_polynomial_h_kernel_cudaERNS_18TensorIteratorBaseEENKUlvE_clEvENKUlvE_clEvEUlddE_EESt5arrayIPcLm3EEEEviT0_T1_: ; @_ZN2at6native29vectorized_elementwise_kernelILi4ENS0_13BinaryFunctorIdddZZZNS0_12_GLOBAL__N_132hermite_polynomial_h_kernel_cudaERNS_18TensorIteratorBaseEENKUlvE_clEvENKUlvE_clEvEUlddE_EESt5arrayIPcLm3EEEEviT0_T1_
; %bb.0:
	s_clause 0x2
	s_load_b32 s3, s[0:1], 0x0
	s_load_b128 s[4:7], s[0:1], 0x8
	s_load_b64 s[8:9], s[0:1], 0x18
	s_lshl_b32 s2, s15, 10
	s_mov_b32 s0, -1
	s_waitcnt lgkmcnt(0)
	s_sub_i32 s12, s3, s2
	s_delay_alu instid0(SALU_CYCLE_1)
	s_cmpk_gt_i32 s12, 0x3ff
	s_cbranch_scc0 .LBB18_50
; %bb.1:
	s_ashr_i32 s3, s2, 31
	v_lshlrev_b32_e32 v21, 5, v0
	s_lshl_b64 s[0:1], s[2:3], 3
	s_mov_b32 s3, exec_lo
	s_add_u32 s10, s6, s0
	s_addc_u32 s11, s7, s1
	s_add_u32 s14, s8, s0
	s_addc_u32 s15, s9, s1
	s_clause 0x3
	global_load_b128 v[1:4], v21, s[14:15]
	global_load_b128 v[9:12], v21, s[14:15] offset:16
	global_load_b128 v[5:8], v21, s[10:11] offset:16
	global_load_b128 v[13:16], v21, s[10:11]
	s_waitcnt vmcnt(3)
	v_trunc_f64_e32 v[17:18], v[1:2]
	v_cmp_class_f64_e64 vcc_lo, v[1:2], 0x1f8
	v_mov_b32_e32 v1, 0
	v_mov_b32_e32 v2, 0
	s_delay_alu instid0(VALU_DEP_4) | instskip(NEXT) | instid1(VALU_DEP_1)
	v_ldexp_f64 v[19:20], v[17:18], 0xffffffe0
	v_floor_f64_e32 v[19:20], v[19:20]
	s_delay_alu instid0(VALU_DEP_1) | instskip(SKIP_1) | instid1(VALU_DEP_2)
	v_fma_f64 v[17:18], 0xc1f00000, v[19:20], v[17:18]
	v_cvt_i32_f64_e32 v19, v[19:20]
	v_cvt_u32_f64_e32 v17, v[17:18]
	s_delay_alu instid0(VALU_DEP_1) | instskip(NEXT) | instid1(VALU_DEP_1)
	v_dual_cndmask_b32 v18, -1, v19 :: v_dual_cndmask_b32 v17, -1, v17
	v_cmpx_lt_i64_e32 -1, v[17:18]
	s_cbranch_execz .LBB18_13
; %bb.2:
	v_mov_b32_e32 v1, 0
	v_mov_b32_e32 v2, 0x3ff00000
	s_mov_b32 s13, exec_lo
	v_cmpx_lt_i64_e32 0, v[17:18]
	s_cbranch_execz .LBB18_12
; %bb.3:
                                        ; implicit-def: $vgpr1_vgpr2
	s_mov_b32 s10, exec_lo
	v_cmpx_ne_u64_e32 1, v[17:18]
	s_xor_b32 s14, exec_lo, s10
	s_cbranch_execz .LBB18_9
; %bb.4:
	v_mov_b32_e32 v1, 0
	v_mov_b32_e32 v2, 0x7ff80000
	s_mov_b32 s15, exec_lo
	v_cmpx_gt_u64_e32 0x201, v[17:18]
	s_cbranch_execz .LBB18_8
; %bb.5:
	s_waitcnt vmcnt(0)
	v_add_f64 v[13:14], v[13:14], v[13:14]
	v_mov_b32_e32 v19, 0
	v_lshlrev_b64 v[17:18], 1, v[17:18]
	v_mov_b32_e32 v20, 0x3ff00000
	s_mov_b64 s[10:11], 2
	s_mov_b32 s16, 0
	s_delay_alu instid0(VALU_DEP_4)
	v_dual_mov_b32 v1, v13 :: v_dual_mov_b32 v2, v14
	.p2align	6
.LBB18_6:                               ; =>This Inner Loop Header: Depth=1
	v_cvt_f64_u32_e32 v[22:23], s11
	v_cvt_f64_u32_e32 v[24:25], s10
	s_add_u32 s10, s10, 2
	s_addc_u32 s11, s11, 0
	s_delay_alu instid0(SALU_CYCLE_1) | instskip(SKIP_1) | instid1(VALU_DEP_3)
	v_cmp_ge_u64_e32 vcc_lo, s[10:11], v[17:18]
	s_or_b32 s16, vcc_lo, s16
	v_ldexp_f64 v[22:23], v[22:23], 32
	s_delay_alu instid0(VALU_DEP_1) | instskip(NEXT) | instid1(VALU_DEP_1)
	v_add_f64 v[22:23], v[22:23], v[24:25]
	v_mul_f64 v[19:20], v[19:20], v[22:23]
	v_dual_mov_b32 v23, v2 :: v_dual_mov_b32 v22, v1
	s_delay_alu instid0(VALU_DEP_1)
	v_fma_f64 v[1:2], v[13:14], v[22:23], -v[19:20]
	v_dual_mov_b32 v19, v22 :: v_dual_mov_b32 v20, v23
	s_and_not1_b32 exec_lo, exec_lo, s16
	s_cbranch_execnz .LBB18_6
; %bb.7:
	s_or_b32 exec_lo, exec_lo, s16
.LBB18_8:
	s_delay_alu instid0(SALU_CYCLE_1)
	s_or_b32 exec_lo, exec_lo, s15
.LBB18_9:
	s_and_not1_saveexec_b32 s10, s14
	s_cbranch_execz .LBB18_11
; %bb.10:
	s_waitcnt vmcnt(0)
	v_add_f64 v[1:2], v[13:14], v[13:14]
.LBB18_11:
	s_or_b32 exec_lo, exec_lo, s10
.LBB18_12:
	s_delay_alu instid0(SALU_CYCLE_1)
	s_or_b32 exec_lo, exec_lo, s13
.LBB18_13:
	s_delay_alu instid0(SALU_CYCLE_1)
	s_or_b32 exec_lo, exec_lo, s3
	s_waitcnt vmcnt(0)
	v_trunc_f64_e32 v[13:14], v[3:4]
	v_cmp_class_f64_e64 vcc_lo, v[3:4], 0x1f8
	s_mov_b32 s3, exec_lo
	v_mov_b32_e32 v3, 0
	v_mov_b32_e32 v4, 0
	s_delay_alu instid0(VALU_DEP_4) | instskip(NEXT) | instid1(VALU_DEP_1)
	v_ldexp_f64 v[17:18], v[13:14], 0xffffffe0
	v_floor_f64_e32 v[17:18], v[17:18]
	s_delay_alu instid0(VALU_DEP_1) | instskip(SKIP_1) | instid1(VALU_DEP_2)
	v_fma_f64 v[13:14], 0xc1f00000, v[17:18], v[13:14]
	v_cvt_i32_f64_e32 v17, v[17:18]
	v_cvt_u32_f64_e32 v13, v[13:14]
	s_delay_alu instid0(VALU_DEP_2) | instskip(NEXT) | instid1(VALU_DEP_2)
	v_cndmask_b32_e32 v14, -1, v17, vcc_lo
	v_cndmask_b32_e32 v13, -1, v13, vcc_lo
	s_delay_alu instid0(VALU_DEP_1)
	v_cmpx_lt_i64_e32 -1, v[13:14]
	s_cbranch_execz .LBB18_25
; %bb.14:
	v_mov_b32_e32 v3, 0
	v_mov_b32_e32 v4, 0x3ff00000
	s_mov_b32 s13, exec_lo
	v_cmpx_lt_i64_e32 0, v[13:14]
	s_cbranch_execz .LBB18_24
; %bb.15:
	s_mov_b32 s10, exec_lo
	v_cmpx_ne_u64_e32 1, v[13:14]
	s_xor_b32 s14, exec_lo, s10
	s_cbranch_execz .LBB18_21
; %bb.16:
	v_mov_b32_e32 v3, 0
	v_mov_b32_e32 v4, 0x7ff80000
	s_mov_b32 s15, exec_lo
	v_cmpx_gt_u64_e32 0x201, v[13:14]
	s_cbranch_execz .LBB18_20
; %bb.17:
	v_add_f64 v[15:16], v[15:16], v[15:16]
	v_mov_b32_e32 v17, 0
	v_lshlrev_b64 v[13:14], 1, v[13:14]
	v_mov_b32_e32 v18, 0x3ff00000
	s_mov_b64 s[10:11], 2
	s_mov_b32 s16, 0
	s_delay_alu instid0(VALU_DEP_4)
	v_dual_mov_b32 v3, v15 :: v_dual_mov_b32 v4, v16
	.p2align	6
.LBB18_18:                              ; =>This Inner Loop Header: Depth=1
	v_cvt_f64_u32_e32 v[19:20], s11
	v_cvt_f64_u32_e32 v[22:23], s10
	s_add_u32 s10, s10, 2
	s_addc_u32 s11, s11, 0
	s_delay_alu instid0(SALU_CYCLE_1) | instskip(SKIP_1) | instid1(VALU_DEP_3)
	v_cmp_ge_u64_e32 vcc_lo, s[10:11], v[13:14]
	s_or_b32 s16, vcc_lo, s16
	v_ldexp_f64 v[19:20], v[19:20], 32
	s_delay_alu instid0(VALU_DEP_1) | instskip(NEXT) | instid1(VALU_DEP_1)
	v_add_f64 v[19:20], v[19:20], v[22:23]
	v_mul_f64 v[17:18], v[17:18], v[19:20]
	v_dual_mov_b32 v20, v4 :: v_dual_mov_b32 v19, v3
	s_delay_alu instid0(VALU_DEP_1)
	v_fma_f64 v[3:4], v[15:16], v[19:20], -v[17:18]
	v_dual_mov_b32 v17, v19 :: v_dual_mov_b32 v18, v20
	s_and_not1_b32 exec_lo, exec_lo, s16
	s_cbranch_execnz .LBB18_18
; %bb.19:
	s_or_b32 exec_lo, exec_lo, s16
.LBB18_20:
	s_delay_alu instid0(SALU_CYCLE_1)
	s_or_b32 exec_lo, exec_lo, s15
                                        ; implicit-def: $vgpr15_vgpr16
.LBB18_21:
	s_and_not1_saveexec_b32 s10, s14
; %bb.22:
	v_add_f64 v[3:4], v[15:16], v[15:16]
; %bb.23:
	s_or_b32 exec_lo, exec_lo, s10
.LBB18_24:
	s_delay_alu instid0(SALU_CYCLE_1)
	s_or_b32 exec_lo, exec_lo, s13
.LBB18_25:
	s_delay_alu instid0(SALU_CYCLE_1)
	s_or_b32 exec_lo, exec_lo, s3
	v_trunc_f64_e32 v[13:14], v[9:10]
	v_cmp_class_f64_e64 vcc_lo, v[9:10], 0x1f8
	v_mov_b32_e32 v9, 0
	v_mov_b32_e32 v10, 0
	s_mov_b32 s3, exec_lo
	s_delay_alu instid0(VALU_DEP_4) | instskip(NEXT) | instid1(VALU_DEP_1)
	v_ldexp_f64 v[15:16], v[13:14], 0xffffffe0
	v_floor_f64_e32 v[15:16], v[15:16]
	s_delay_alu instid0(VALU_DEP_1) | instskip(SKIP_1) | instid1(VALU_DEP_2)
	v_fma_f64 v[13:14], 0xc1f00000, v[15:16], v[13:14]
	v_cvt_i32_f64_e32 v15, v[15:16]
	v_cvt_u32_f64_e32 v13, v[13:14]
	s_delay_alu instid0(VALU_DEP_1) | instskip(NEXT) | instid1(VALU_DEP_1)
	v_dual_cndmask_b32 v14, -1, v15 :: v_dual_cndmask_b32 v13, -1, v13
	v_cmpx_lt_i64_e32 -1, v[13:14]
	s_cbranch_execz .LBB18_37
; %bb.26:
	v_mov_b32_e32 v9, 0
	v_mov_b32_e32 v10, 0x3ff00000
	s_mov_b32 s13, exec_lo
	v_cmpx_lt_i64_e32 0, v[13:14]
	s_cbranch_execz .LBB18_36
; %bb.27:
                                        ; implicit-def: $vgpr9_vgpr10
	s_mov_b32 s10, exec_lo
	v_cmpx_ne_u64_e32 1, v[13:14]
	s_xor_b32 s14, exec_lo, s10
	s_cbranch_execz .LBB18_33
; %bb.28:
	v_mov_b32_e32 v9, 0
	v_mov_b32_e32 v10, 0x7ff80000
	s_mov_b32 s15, exec_lo
	v_cmpx_gt_u64_e32 0x201, v[13:14]
	s_cbranch_execz .LBB18_32
; %bb.29:
	v_add_f64 v[5:6], v[5:6], v[5:6]
	v_lshlrev_b64 v[13:14], 1, v[13:14]
	v_mov_b32_e32 v15, 0
	v_mov_b32_e32 v16, 0x3ff00000
	s_mov_b64 s[10:11], 2
	s_mov_b32 s16, 0
	s_delay_alu instid0(VALU_DEP_4)
	v_dual_mov_b32 v10, v6 :: v_dual_mov_b32 v9, v5
	.p2align	6
.LBB18_30:                              ; =>This Inner Loop Header: Depth=1
	v_cvt_f64_u32_e32 v[17:18], s11
	v_cvt_f64_u32_e32 v[19:20], s10
	s_add_u32 s10, s10, 2
	s_addc_u32 s11, s11, 0
	s_delay_alu instid0(SALU_CYCLE_1) | instskip(SKIP_1) | instid1(VALU_DEP_3)
	v_cmp_ge_u64_e32 vcc_lo, s[10:11], v[13:14]
	s_or_b32 s16, vcc_lo, s16
	v_ldexp_f64 v[17:18], v[17:18], 32
	s_delay_alu instid0(VALU_DEP_1) | instskip(NEXT) | instid1(VALU_DEP_1)
	v_add_f64 v[17:18], v[17:18], v[19:20]
	v_mul_f64 v[15:16], v[15:16], v[17:18]
	v_dual_mov_b32 v18, v10 :: v_dual_mov_b32 v17, v9
	s_delay_alu instid0(VALU_DEP_1)
	v_fma_f64 v[9:10], v[5:6], v[17:18], -v[15:16]
	v_dual_mov_b32 v15, v17 :: v_dual_mov_b32 v16, v18
	s_and_not1_b32 exec_lo, exec_lo, s16
	s_cbranch_execnz .LBB18_30
; %bb.31:
	s_or_b32 exec_lo, exec_lo, s16
.LBB18_32:
	s_delay_alu instid0(SALU_CYCLE_1)
	s_or_b32 exec_lo, exec_lo, s15
.LBB18_33:
	s_and_not1_saveexec_b32 s10, s14
; %bb.34:
	v_add_f64 v[9:10], v[5:6], v[5:6]
; %bb.35:
	s_or_b32 exec_lo, exec_lo, s10
.LBB18_36:
	s_delay_alu instid0(SALU_CYCLE_1)
	s_or_b32 exec_lo, exec_lo, s13
.LBB18_37:
	s_delay_alu instid0(SALU_CYCLE_1)
	s_or_b32 exec_lo, exec_lo, s3
	v_trunc_f64_e32 v[5:6], v[11:12]
	v_cmp_class_f64_e64 vcc_lo, v[11:12], 0x1f8
	s_mov_b32 s3, exec_lo
	v_mov_b32_e32 v11, 0
	v_mov_b32_e32 v12, 0
	s_delay_alu instid0(VALU_DEP_4) | instskip(NEXT) | instid1(VALU_DEP_1)
	v_ldexp_f64 v[13:14], v[5:6], 0xffffffe0
	v_floor_f64_e32 v[13:14], v[13:14]
	s_delay_alu instid0(VALU_DEP_1) | instskip(SKIP_1) | instid1(VALU_DEP_2)
	v_fma_f64 v[5:6], 0xc1f00000, v[13:14], v[5:6]
	v_cvt_i32_f64_e32 v13, v[13:14]
	v_cvt_u32_f64_e32 v5, v[5:6]
	s_delay_alu instid0(VALU_DEP_2) | instskip(NEXT) | instid1(VALU_DEP_2)
	v_cndmask_b32_e32 v6, -1, v13, vcc_lo
	v_cndmask_b32_e32 v5, -1, v5, vcc_lo
	s_delay_alu instid0(VALU_DEP_1)
	v_cmpx_lt_i64_e32 -1, v[5:6]
	s_cbranch_execz .LBB18_49
; %bb.38:
	v_mov_b32_e32 v11, 0
	v_mov_b32_e32 v12, 0x3ff00000
	s_mov_b32 s13, exec_lo
	v_cmpx_lt_i64_e32 0, v[5:6]
	s_cbranch_execz .LBB18_48
; %bb.39:
	s_mov_b32 s10, exec_lo
	v_cmpx_ne_u64_e32 1, v[5:6]
	s_xor_b32 s14, exec_lo, s10
	s_cbranch_execz .LBB18_45
; %bb.40:
	v_mov_b32_e32 v11, 0
	v_mov_b32_e32 v12, 0x7ff80000
	s_mov_b32 s15, exec_lo
	v_cmpx_gt_u64_e32 0x201, v[5:6]
	s_cbranch_execz .LBB18_44
; %bb.41:
	v_add_f64 v[7:8], v[7:8], v[7:8]
	v_lshlrev_b64 v[5:6], 1, v[5:6]
	v_mov_b32_e32 v13, 0
	v_mov_b32_e32 v14, 0x3ff00000
	s_mov_b64 s[10:11], 2
	s_mov_b32 s16, 0
	s_delay_alu instid0(VALU_DEP_4)
	v_dual_mov_b32 v12, v8 :: v_dual_mov_b32 v11, v7
	.p2align	6
.LBB18_42:                              ; =>This Inner Loop Header: Depth=1
	v_cvt_f64_u32_e32 v[15:16], s11
	v_cvt_f64_u32_e32 v[17:18], s10
	s_add_u32 s10, s10, 2
	s_addc_u32 s11, s11, 0
	s_delay_alu instid0(SALU_CYCLE_1) | instskip(SKIP_1) | instid1(VALU_DEP_3)
	v_cmp_ge_u64_e32 vcc_lo, s[10:11], v[5:6]
	s_or_b32 s16, vcc_lo, s16
	v_ldexp_f64 v[15:16], v[15:16], 32
	s_delay_alu instid0(VALU_DEP_1) | instskip(NEXT) | instid1(VALU_DEP_1)
	v_add_f64 v[15:16], v[15:16], v[17:18]
	v_mul_f64 v[13:14], v[13:14], v[15:16]
	v_dual_mov_b32 v16, v12 :: v_dual_mov_b32 v15, v11
	s_delay_alu instid0(VALU_DEP_1)
	v_fma_f64 v[11:12], v[7:8], v[15:16], -v[13:14]
	v_dual_mov_b32 v13, v15 :: v_dual_mov_b32 v14, v16
	s_and_not1_b32 exec_lo, exec_lo, s16
	s_cbranch_execnz .LBB18_42
; %bb.43:
	s_or_b32 exec_lo, exec_lo, s16
.LBB18_44:
	s_delay_alu instid0(SALU_CYCLE_1)
	s_or_b32 exec_lo, exec_lo, s15
                                        ; implicit-def: $vgpr7_vgpr8
.LBB18_45:
	s_and_not1_saveexec_b32 s10, s14
; %bb.46:
	v_add_f64 v[11:12], v[7:8], v[7:8]
; %bb.47:
	s_or_b32 exec_lo, exec_lo, s10
.LBB18_48:
	s_delay_alu instid0(SALU_CYCLE_1)
	s_or_b32 exec_lo, exec_lo, s13
.LBB18_49:
	s_delay_alu instid0(SALU_CYCLE_1)
	s_or_b32 exec_lo, exec_lo, s3
	s_add_u32 s10, s4, s0
	s_addc_u32 s11, s5, s1
	s_mov_b32 s0, 0
	s_clause 0x1
	global_store_b128 v21, v[1:4], s[10:11]
	global_store_b128 v21, v[9:12], s[10:11] offset:16
.LBB18_50:
	s_and_b32 vcc_lo, exec_lo, s0
	s_cbranch_vccz .LBB18_107
; %bb.51:
	v_dual_mov_b32 v18, 0 :: v_dual_mov_b32 v1, v0
	v_mov_b32_e32 v19, 0
	v_cmp_gt_i32_e32 vcc_lo, s12, v0
	v_or_b32_e32 v9, s2, v0
	v_or_b32_e32 v26, 0x100, v0
	s_delay_alu instid0(VALU_DEP_4)
	v_dual_mov_b32 v23, v19 :: v_dual_mov_b32 v22, v18
	v_dual_mov_b32 v25, v19 :: v_dual_mov_b32 v24, v18
	s_and_saveexec_b32 s1, vcc_lo
	s_cbranch_execz .LBB18_53
; %bb.52:
	v_mov_b32_e32 v10, 0
	s_delay_alu instid0(VALU_DEP_1) | instskip(NEXT) | instid1(VALU_DEP_1)
	v_lshlrev_b64 v[1:2], 3, v[9:10]
	v_add_co_u32 v3, s0, s6, v1
	s_delay_alu instid0(VALU_DEP_1) | instskip(SKIP_1) | instid1(VALU_DEP_1)
	v_add_co_ci_u32_e64 v4, s0, s7, v2, s0
	v_add_co_u32 v1, s0, s8, v1
	v_add_co_ci_u32_e64 v2, s0, s9, v2, s0
	global_load_b64 v[22:23], v[3:4], off
	global_load_b64 v[24:25], v[1:2], off
	v_or_b32_e32 v1, 0x100, v0
.LBB18_53:
	s_or_b32 exec_lo, exec_lo, s1
	v_dual_mov_b32 v21, v19 :: v_dual_mov_b32 v20, v18
	s_mov_b32 s1, exec_lo
	s_delay_alu instid0(VALU_DEP_2)
	v_cmpx_gt_i32_e64 s12, v1
	s_cbranch_execz .LBB18_55
; %bb.54:
	v_dual_mov_b32 v3, 0 :: v_dual_add_nc_u32 v2, s2, v1
	v_add_nc_u32_e32 v1, 0x100, v1
	s_delay_alu instid0(VALU_DEP_2) | instskip(NEXT) | instid1(VALU_DEP_1)
	v_lshlrev_b64 v[2:3], 3, v[2:3]
	v_add_co_u32 v4, s0, s6, v2
	s_delay_alu instid0(VALU_DEP_1) | instskip(SKIP_1) | instid1(VALU_DEP_1)
	v_add_co_ci_u32_e64 v5, s0, s7, v3, s0
	v_add_co_u32 v2, s0, s8, v2
	v_add_co_ci_u32_e64 v3, s0, s9, v3, s0
	global_load_b64 v[18:19], v[4:5], off
	global_load_b64 v[20:21], v[2:3], off
.LBB18_55:
	s_or_b32 exec_lo, exec_lo, s1
	v_mov_b32_e32 v10, 0
	v_mov_b32_e32 v11, 0
	s_mov_b32 s1, exec_lo
	s_delay_alu instid0(VALU_DEP_1)
	v_dual_mov_b32 v15, v11 :: v_dual_mov_b32 v14, v10
	v_dual_mov_b32 v17, v11 :: v_dual_mov_b32 v16, v10
	v_cmpx_gt_i32_e64 s12, v1
	s_cbranch_execz .LBB18_57
; %bb.56:
	v_dual_mov_b32 v3, 0 :: v_dual_add_nc_u32 v2, s2, v1
	v_add_nc_u32_e32 v1, 0x100, v1
	s_delay_alu instid0(VALU_DEP_2) | instskip(NEXT) | instid1(VALU_DEP_1)
	v_lshlrev_b64 v[2:3], 3, v[2:3]
	v_add_co_u32 v4, s0, s6, v2
	s_delay_alu instid0(VALU_DEP_1) | instskip(SKIP_1) | instid1(VALU_DEP_1)
	v_add_co_ci_u32_e64 v5, s0, s7, v3, s0
	v_add_co_u32 v2, s0, s8, v2
	v_add_co_ci_u32_e64 v3, s0, s9, v3, s0
	global_load_b64 v[14:15], v[4:5], off
	global_load_b64 v[16:17], v[2:3], off
.LBB18_57:
	s_or_b32 exec_lo, exec_lo, s1
	v_dual_mov_b32 v13, v11 :: v_dual_mov_b32 v12, v10
	s_mov_b32 s1, exec_lo
	v_cmpx_gt_i32_e64 s12, v1
	s_cbranch_execnz .LBB18_60
; %bb.58:
	s_or_b32 exec_lo, exec_lo, s1
                                        ; implicit-def: $vgpr1_vgpr2_vgpr3_vgpr4_vgpr5_vgpr6_vgpr7_vgpr8
	s_and_saveexec_b32 s1, vcc_lo
	s_cbranch_execnz .LBB18_61
.LBB18_59:
	s_or_b32 exec_lo, exec_lo, s1
	s_delay_alu instid0(SALU_CYCLE_1)
	s_mov_b32 s1, exec_lo
	v_cmpx_gt_i32_e64 s12, v26
	s_cbranch_execnz .LBB18_74
	s_branch .LBB18_87
.LBB18_60:
	v_dual_mov_b32 v2, 0 :: v_dual_add_nc_u32 v1, s2, v1
	s_delay_alu instid0(VALU_DEP_1) | instskip(NEXT) | instid1(VALU_DEP_1)
	v_lshlrev_b64 v[1:2], 3, v[1:2]
	v_add_co_u32 v3, s0, s6, v1
	s_delay_alu instid0(VALU_DEP_1) | instskip(SKIP_1) | instid1(VALU_DEP_1)
	v_add_co_ci_u32_e64 v4, s0, s7, v2, s0
	v_add_co_u32 v1, s0, s8, v1
	v_add_co_ci_u32_e64 v2, s0, s9, v2, s0
	global_load_b64 v[10:11], v[3:4], off
	global_load_b64 v[12:13], v[1:2], off
	s_or_b32 exec_lo, exec_lo, s1
                                        ; implicit-def: $vgpr1_vgpr2_vgpr3_vgpr4_vgpr5_vgpr6_vgpr7_vgpr8
	s_and_saveexec_b32 s1, vcc_lo
	s_cbranch_execz .LBB18_59
.LBB18_61:
	s_waitcnt vmcnt(0)
	v_trunc_f64_e32 v[1:2], v[24:25]
	v_cmp_class_f64_e64 s0, v[24:25], 0x1f8
	s_mov_b32 s3, exec_lo
	s_delay_alu instid0(VALU_DEP_2) | instskip(NEXT) | instid1(VALU_DEP_1)
	v_ldexp_f64 v[3:4], v[1:2], 0xffffffe0
	v_floor_f64_e32 v[3:4], v[3:4]
	s_delay_alu instid0(VALU_DEP_1) | instskip(SKIP_1) | instid1(VALU_DEP_2)
	v_fma_f64 v[1:2], 0xc1f00000, v[3:4], v[1:2]
	v_cvt_i32_f64_e32 v3, v[3:4]
	v_cvt_u32_f64_e32 v1, v[1:2]
	s_delay_alu instid0(VALU_DEP_2) | instskip(NEXT) | instid1(VALU_DEP_2)
	v_cndmask_b32_e64 v4, -1, v3, s0
	v_cndmask_b32_e64 v3, -1, v1, s0
	v_mov_b32_e32 v1, 0
	v_mov_b32_e32 v2, 0
	s_delay_alu instid0(VALU_DEP_3)
	v_cmpx_lt_i64_e32 -1, v[3:4]
	s_cbranch_execz .LBB18_73
; %bb.62:
	v_mov_b32_e32 v1, 0
	v_mov_b32_e32 v2, 0x3ff00000
	s_mov_b32 s8, exec_lo
	v_cmpx_lt_i64_e32 0, v[3:4]
	s_cbranch_execz .LBB18_72
; %bb.63:
                                        ; implicit-def: $vgpr1_vgpr2
	s_mov_b32 s6, exec_lo
	v_cmpx_ne_u64_e32 1, v[3:4]
	s_xor_b32 s9, exec_lo, s6
	s_cbranch_execz .LBB18_69
; %bb.64:
	v_mov_b32_e32 v1, 0
	v_mov_b32_e32 v2, 0x7ff80000
	s_mov_b32 s10, exec_lo
	v_cmpx_gt_u64_e32 0x201, v[3:4]
	s_cbranch_execz .LBB18_68
; %bb.65:
	v_add_f64 v[5:6], v[22:23], v[22:23]
	v_mov_b32_e32 v7, 0
	v_lshlrev_b64 v[3:4], 1, v[3:4]
	v_mov_b32_e32 v8, 0x3ff00000
	s_mov_b64 s[6:7], 2
	s_mov_b32 s11, 0
	s_delay_alu instid0(VALU_DEP_4)
	v_dual_mov_b32 v1, v5 :: v_dual_mov_b32 v2, v6
	.p2align	6
.LBB18_66:                              ; =>This Inner Loop Header: Depth=1
	v_cvt_f64_u32_e32 v[22:23], s7
	v_cvt_f64_u32_e32 v[24:25], s6
	s_add_u32 s6, s6, 2
	s_addc_u32 s7, s7, 0
	s_delay_alu instid0(SALU_CYCLE_1) | instskip(NEXT) | instid1(VALU_DEP_1)
	v_cmp_ge_u64_e64 s0, s[6:7], v[3:4]
	s_or_b32 s11, s0, s11
	s_delay_alu instid0(VALU_DEP_3) | instskip(NEXT) | instid1(VALU_DEP_1)
	v_ldexp_f64 v[22:23], v[22:23], 32
	v_add_f64 v[22:23], v[22:23], v[24:25]
	s_delay_alu instid0(VALU_DEP_1) | instskip(SKIP_1) | instid1(VALU_DEP_1)
	v_mul_f64 v[7:8], v[7:8], v[22:23]
	v_dual_mov_b32 v23, v2 :: v_dual_mov_b32 v22, v1
	v_fma_f64 v[1:2], v[5:6], v[22:23], -v[7:8]
	v_dual_mov_b32 v7, v22 :: v_dual_mov_b32 v8, v23
	s_and_not1_b32 exec_lo, exec_lo, s11
	s_cbranch_execnz .LBB18_66
; %bb.67:
	s_or_b32 exec_lo, exec_lo, s11
.LBB18_68:
	s_delay_alu instid0(SALU_CYCLE_1)
	s_or_b32 exec_lo, exec_lo, s10
                                        ; implicit-def: $vgpr22_vgpr23
.LBB18_69:
	s_and_not1_saveexec_b32 s0, s9
; %bb.70:
	v_add_f64 v[1:2], v[22:23], v[22:23]
; %bb.71:
	s_or_b32 exec_lo, exec_lo, s0
.LBB18_72:
	s_delay_alu instid0(SALU_CYCLE_1)
	s_or_b32 exec_lo, exec_lo, s8
.LBB18_73:
	s_delay_alu instid0(SALU_CYCLE_1) | instskip(NEXT) | instid1(SALU_CYCLE_1)
	s_or_b32 exec_lo, exec_lo, s3
	s_or_b32 exec_lo, exec_lo, s1
	s_delay_alu instid0(SALU_CYCLE_1)
	s_mov_b32 s1, exec_lo
	v_cmpx_gt_i32_e64 s12, v26
	s_cbranch_execz .LBB18_87
.LBB18_74:
	s_waitcnt vmcnt(0)
	v_trunc_f64_e32 v[3:4], v[20:21]
	v_cmp_class_f64_e64 s0, v[20:21], 0x1f8
	s_mov_b32 s3, exec_lo
	s_delay_alu instid0(VALU_DEP_2) | instskip(NEXT) | instid1(VALU_DEP_1)
	v_ldexp_f64 v[22:23], v[3:4], 0xffffffe0
	v_floor_f64_e32 v[22:23], v[22:23]
	s_delay_alu instid0(VALU_DEP_1) | instskip(SKIP_1) | instid1(VALU_DEP_2)
	v_fma_f64 v[3:4], 0xc1f00000, v[22:23], v[3:4]
	v_cvt_i32_f64_e32 v22, v[22:23]
	v_cvt_u32_f64_e32 v3, v[3:4]
	s_delay_alu instid0(VALU_DEP_2) | instskip(NEXT) | instid1(VALU_DEP_2)
	v_cndmask_b32_e64 v21, -1, v22, s0
	v_cndmask_b32_e64 v20, -1, v3, s0
	v_mov_b32_e32 v3, 0
	v_mov_b32_e32 v4, 0
	s_delay_alu instid0(VALU_DEP_3)
	v_cmpx_lt_i64_e32 -1, v[20:21]
	s_cbranch_execz .LBB18_86
; %bb.75:
	v_mov_b32_e32 v3, 0
	v_mov_b32_e32 v4, 0x3ff00000
	s_mov_b32 s8, exec_lo
	v_cmpx_lt_i64_e32 0, v[20:21]
	s_cbranch_execz .LBB18_85
; %bb.76:
	s_mov_b32 s6, exec_lo
	v_cmpx_ne_u64_e32 1, v[20:21]
	s_xor_b32 s9, exec_lo, s6
	s_cbranch_execz .LBB18_82
; %bb.77:
	v_mov_b32_e32 v3, 0
	v_mov_b32_e32 v4, 0x7ff80000
	s_mov_b32 s10, exec_lo
	v_cmpx_gt_u64_e32 0x201, v[20:21]
	s_cbranch_execz .LBB18_81
; %bb.78:
	v_add_f64 v[18:19], v[18:19], v[18:19]
	v_lshlrev_b64 v[20:21], 1, v[20:21]
	v_mov_b32_e32 v22, 0
	v_mov_b32_e32 v23, 0x3ff00000
	s_mov_b64 s[6:7], 2
	s_mov_b32 s11, 0
	s_delay_alu instid0(VALU_DEP_4)
	v_dual_mov_b32 v3, v18 :: v_dual_mov_b32 v4, v19
	.p2align	6
.LBB18_79:                              ; =>This Inner Loop Header: Depth=1
	v_cvt_f64_u32_e32 v[24:25], s7
	v_cvt_f64_u32_e32 v[27:28], s6
	s_add_u32 s6, s6, 2
	s_addc_u32 s7, s7, 0
	s_delay_alu instid0(SALU_CYCLE_1) | instskip(NEXT) | instid1(VALU_DEP_1)
	v_cmp_ge_u64_e64 s0, s[6:7], v[20:21]
	s_or_b32 s11, s0, s11
	s_delay_alu instid0(VALU_DEP_3) | instskip(NEXT) | instid1(VALU_DEP_1)
	v_ldexp_f64 v[24:25], v[24:25], 32
	v_add_f64 v[24:25], v[24:25], v[27:28]
	s_delay_alu instid0(VALU_DEP_1) | instskip(SKIP_1) | instid1(VALU_DEP_1)
	v_mul_f64 v[22:23], v[22:23], v[24:25]
	v_dual_mov_b32 v25, v4 :: v_dual_mov_b32 v24, v3
	v_fma_f64 v[3:4], v[18:19], v[24:25], -v[22:23]
	v_dual_mov_b32 v22, v24 :: v_dual_mov_b32 v23, v25
	s_and_not1_b32 exec_lo, exec_lo, s11
	s_cbranch_execnz .LBB18_79
; %bb.80:
	s_or_b32 exec_lo, exec_lo, s11
.LBB18_81:
	s_delay_alu instid0(SALU_CYCLE_1)
	s_or_b32 exec_lo, exec_lo, s10
                                        ; implicit-def: $vgpr18_vgpr19
.LBB18_82:
	s_and_not1_saveexec_b32 s0, s9
; %bb.83:
	v_add_f64 v[3:4], v[18:19], v[18:19]
; %bb.84:
	s_or_b32 exec_lo, exec_lo, s0
.LBB18_85:
	s_delay_alu instid0(SALU_CYCLE_1)
	s_or_b32 exec_lo, exec_lo, s8
.LBB18_86:
	s_delay_alu instid0(SALU_CYCLE_1)
	s_or_b32 exec_lo, exec_lo, s3
.LBB18_87:
	s_delay_alu instid0(SALU_CYCLE_1) | instskip(SKIP_3) | instid1(VALU_DEP_1)
	s_or_b32 exec_lo, exec_lo, s1
	s_waitcnt vmcnt(1)
	v_or_b32_e32 v18, 0x200, v0
	s_mov_b32 s1, exec_lo
	v_cmpx_gt_i32_e64 s12, v18
	s_cbranch_execz .LBB18_101
; %bb.88:
	s_waitcnt vmcnt(0)
	v_trunc_f64_e32 v[5:6], v[16:17]
	v_cmp_class_f64_e64 s0, v[16:17], 0x1f8
	s_mov_b32 s3, exec_lo
	s_delay_alu instid0(VALU_DEP_2) | instskip(NEXT) | instid1(VALU_DEP_1)
	v_ldexp_f64 v[18:19], v[5:6], 0xffffffe0
	v_floor_f64_e32 v[18:19], v[18:19]
	s_delay_alu instid0(VALU_DEP_1) | instskip(SKIP_1) | instid1(VALU_DEP_2)
	v_fma_f64 v[5:6], 0xc1f00000, v[18:19], v[5:6]
	v_cvt_i32_f64_e32 v18, v[18:19]
	v_cvt_u32_f64_e32 v5, v[5:6]
	s_delay_alu instid0(VALU_DEP_2) | instskip(NEXT) | instid1(VALU_DEP_2)
	v_cndmask_b32_e64 v17, -1, v18, s0
	v_cndmask_b32_e64 v16, -1, v5, s0
	v_mov_b32_e32 v5, 0
	v_mov_b32_e32 v6, 0
	s_delay_alu instid0(VALU_DEP_3)
	v_cmpx_lt_i64_e32 -1, v[16:17]
	s_cbranch_execz .LBB18_100
; %bb.89:
	v_mov_b32_e32 v5, 0
	v_mov_b32_e32 v6, 0x3ff00000
	s_mov_b32 s8, exec_lo
	v_cmpx_lt_i64_e32 0, v[16:17]
	s_cbranch_execz .LBB18_99
; %bb.90:
	s_mov_b32 s6, exec_lo
	v_cmpx_ne_u64_e32 1, v[16:17]
	s_xor_b32 s9, exec_lo, s6
	s_cbranch_execz .LBB18_96
; %bb.91:
	v_mov_b32_e32 v5, 0
	v_mov_b32_e32 v6, 0x7ff80000
	s_mov_b32 s10, exec_lo
	v_cmpx_gt_u64_e32 0x201, v[16:17]
	s_cbranch_execz .LBB18_95
; %bb.92:
	v_add_f64 v[14:15], v[14:15], v[14:15]
	v_lshlrev_b64 v[16:17], 1, v[16:17]
	v_mov_b32_e32 v18, 0
	v_mov_b32_e32 v19, 0x3ff00000
	s_mov_b64 s[6:7], 2
	s_mov_b32 s11, 0
	s_delay_alu instid0(VALU_DEP_4)
	v_dual_mov_b32 v5, v14 :: v_dual_mov_b32 v6, v15
	.p2align	6
.LBB18_93:                              ; =>This Inner Loop Header: Depth=1
	v_cvt_f64_u32_e32 v[20:21], s7
	v_cvt_f64_u32_e32 v[22:23], s6
	s_add_u32 s6, s6, 2
	s_addc_u32 s7, s7, 0
	s_delay_alu instid0(SALU_CYCLE_1) | instskip(NEXT) | instid1(VALU_DEP_1)
	v_cmp_ge_u64_e64 s0, s[6:7], v[16:17]
	s_or_b32 s11, s0, s11
	s_delay_alu instid0(VALU_DEP_3) | instskip(NEXT) | instid1(VALU_DEP_1)
	v_ldexp_f64 v[20:21], v[20:21], 32
	v_add_f64 v[20:21], v[20:21], v[22:23]
	s_delay_alu instid0(VALU_DEP_1) | instskip(SKIP_1) | instid1(VALU_DEP_1)
	v_mul_f64 v[18:19], v[18:19], v[20:21]
	v_dual_mov_b32 v21, v6 :: v_dual_mov_b32 v20, v5
	v_fma_f64 v[5:6], v[14:15], v[20:21], -v[18:19]
	v_dual_mov_b32 v18, v20 :: v_dual_mov_b32 v19, v21
	s_and_not1_b32 exec_lo, exec_lo, s11
	s_cbranch_execnz .LBB18_93
; %bb.94:
	s_or_b32 exec_lo, exec_lo, s11
.LBB18_95:
	s_delay_alu instid0(SALU_CYCLE_1)
	s_or_b32 exec_lo, exec_lo, s10
                                        ; implicit-def: $vgpr14_vgpr15
.LBB18_96:
	s_and_not1_saveexec_b32 s0, s9
; %bb.97:
	v_add_f64 v[5:6], v[14:15], v[14:15]
; %bb.98:
	s_or_b32 exec_lo, exec_lo, s0
.LBB18_99:
	s_delay_alu instid0(SALU_CYCLE_1)
	s_or_b32 exec_lo, exec_lo, s8
.LBB18_100:
	s_delay_alu instid0(SALU_CYCLE_1)
	s_or_b32 exec_lo, exec_lo, s3
.LBB18_101:
	s_delay_alu instid0(SALU_CYCLE_1) | instskip(SKIP_2) | instid1(VALU_DEP_1)
	s_or_b32 exec_lo, exec_lo, s1
	v_or_b32_e32 v14, 0x300, v0
	s_mov_b32 s1, exec_lo
	v_cmpx_gt_i32_e64 s12, v14
	s_cbranch_execnz .LBB18_108
; %bb.102:
	s_or_b32 exec_lo, exec_lo, s1
	s_and_saveexec_b32 s0, vcc_lo
	s_delay_alu instid0(SALU_CYCLE_1)
	s_xor_b32 s0, exec_lo, s0
	s_cbranch_execnz .LBB18_121
.LBB18_103:
	s_or_b32 exec_lo, exec_lo, s0
	s_delay_alu instid0(SALU_CYCLE_1)
	s_mov_b32 s0, exec_lo
	v_cmpx_gt_i32_e64 s12, v0
	s_cbranch_execnz .LBB18_122
.LBB18_104:
	s_or_b32 exec_lo, exec_lo, s0
	s_delay_alu instid0(SALU_CYCLE_1)
	s_mov_b32 s0, exec_lo
	v_cmpx_gt_i32_e64 s12, v0
	s_cbranch_execnz .LBB18_123
.LBB18_105:
	s_or_b32 exec_lo, exec_lo, s0
	s_delay_alu instid0(SALU_CYCLE_1)
	s_mov_b32 s0, exec_lo
	v_cmpx_gt_i32_e64 s12, v0
	s_cbranch_execz .LBB18_107
.LBB18_106:
	v_dual_mov_b32 v1, 0 :: v_dual_add_nc_u32 v0, s2, v0
	s_delay_alu instid0(VALU_DEP_1) | instskip(NEXT) | instid1(VALU_DEP_1)
	v_lshlrev_b64 v[0:1], 3, v[0:1]
	v_add_co_u32 v0, vcc_lo, s4, v0
	s_delay_alu instid0(VALU_DEP_2)
	v_add_co_ci_u32_e32 v1, vcc_lo, s5, v1, vcc_lo
	global_store_b64 v[0:1], v[7:8], off
.LBB18_107:
	s_nop 0
	s_sendmsg sendmsg(MSG_DEALLOC_VGPRS)
	s_endpgm
.LBB18_108:
	s_waitcnt vmcnt(0)
	v_trunc_f64_e32 v[7:8], v[12:13]
	v_cmp_class_f64_e64 s0, v[12:13], 0x1f8
	s_mov_b32 s3, exec_lo
	s_delay_alu instid0(VALU_DEP_2) | instskip(NEXT) | instid1(VALU_DEP_1)
	v_ldexp_f64 v[14:15], v[7:8], 0xffffffe0
	v_floor_f64_e32 v[14:15], v[14:15]
	s_delay_alu instid0(VALU_DEP_1) | instskip(SKIP_1) | instid1(VALU_DEP_2)
	v_fma_f64 v[7:8], 0xc1f00000, v[14:15], v[7:8]
	v_cvt_i32_f64_e32 v14, v[14:15]
	v_cvt_u32_f64_e32 v7, v[7:8]
	s_delay_alu instid0(VALU_DEP_2) | instskip(NEXT) | instid1(VALU_DEP_2)
	v_cndmask_b32_e64 v13, -1, v14, s0
	v_cndmask_b32_e64 v12, -1, v7, s0
	v_mov_b32_e32 v7, 0
	v_mov_b32_e32 v8, 0
	s_delay_alu instid0(VALU_DEP_3)
	v_cmpx_lt_i64_e32 -1, v[12:13]
	s_cbranch_execz .LBB18_120
; %bb.109:
	v_mov_b32_e32 v7, 0
	v_mov_b32_e32 v8, 0x3ff00000
	s_mov_b32 s8, exec_lo
	v_cmpx_lt_i64_e32 0, v[12:13]
	s_cbranch_execz .LBB18_119
; %bb.110:
	s_mov_b32 s6, exec_lo
	v_cmpx_ne_u64_e32 1, v[12:13]
	s_xor_b32 s9, exec_lo, s6
	s_cbranch_execz .LBB18_116
; %bb.111:
	v_mov_b32_e32 v7, 0
	v_mov_b32_e32 v8, 0x7ff80000
	s_mov_b32 s10, exec_lo
	v_cmpx_gt_u64_e32 0x201, v[12:13]
	s_cbranch_execz .LBB18_115
; %bb.112:
	v_add_f64 v[10:11], v[10:11], v[10:11]
	v_lshlrev_b64 v[12:13], 1, v[12:13]
	v_mov_b32_e32 v14, 0
	v_mov_b32_e32 v15, 0x3ff00000
	s_mov_b64 s[6:7], 2
	s_mov_b32 s11, 0
	s_delay_alu instid0(VALU_DEP_4)
	v_dual_mov_b32 v7, v10 :: v_dual_mov_b32 v8, v11
	.p2align	6
.LBB18_113:                             ; =>This Inner Loop Header: Depth=1
	v_cvt_f64_u32_e32 v[16:17], s7
	v_cvt_f64_u32_e32 v[18:19], s6
	s_add_u32 s6, s6, 2
	s_addc_u32 s7, s7, 0
	s_delay_alu instid0(SALU_CYCLE_1) | instskip(NEXT) | instid1(VALU_DEP_1)
	v_cmp_ge_u64_e64 s0, s[6:7], v[12:13]
	s_or_b32 s11, s0, s11
	s_delay_alu instid0(VALU_DEP_3) | instskip(NEXT) | instid1(VALU_DEP_1)
	v_ldexp_f64 v[16:17], v[16:17], 32
	v_add_f64 v[16:17], v[16:17], v[18:19]
	s_delay_alu instid0(VALU_DEP_1) | instskip(SKIP_1) | instid1(VALU_DEP_1)
	v_mul_f64 v[14:15], v[14:15], v[16:17]
	v_dual_mov_b32 v17, v8 :: v_dual_mov_b32 v16, v7
	v_fma_f64 v[7:8], v[10:11], v[16:17], -v[14:15]
	v_dual_mov_b32 v14, v16 :: v_dual_mov_b32 v15, v17
	s_and_not1_b32 exec_lo, exec_lo, s11
	s_cbranch_execnz .LBB18_113
; %bb.114:
	s_or_b32 exec_lo, exec_lo, s11
.LBB18_115:
	s_delay_alu instid0(SALU_CYCLE_1)
	s_or_b32 exec_lo, exec_lo, s10
                                        ; implicit-def: $vgpr10_vgpr11
.LBB18_116:
	s_and_not1_saveexec_b32 s0, s9
; %bb.117:
	v_add_f64 v[7:8], v[10:11], v[10:11]
; %bb.118:
	s_or_b32 exec_lo, exec_lo, s0
.LBB18_119:
	s_delay_alu instid0(SALU_CYCLE_1)
	s_or_b32 exec_lo, exec_lo, s8
.LBB18_120:
	s_delay_alu instid0(SALU_CYCLE_1) | instskip(NEXT) | instid1(SALU_CYCLE_1)
	s_or_b32 exec_lo, exec_lo, s3
	s_or_b32 exec_lo, exec_lo, s1
	s_and_saveexec_b32 s0, vcc_lo
	s_delay_alu instid0(SALU_CYCLE_1)
	s_xor_b32 s0, exec_lo, s0
	s_cbranch_execz .LBB18_103
.LBB18_121:
	v_mov_b32_e32 v10, 0
	v_mov_b32_e32 v0, v26
	s_delay_alu instid0(VALU_DEP_2) | instskip(NEXT) | instid1(VALU_DEP_1)
	v_lshlrev_b64 v[9:10], 3, v[9:10]
	v_add_co_u32 v9, vcc_lo, s4, v9
	s_delay_alu instid0(VALU_DEP_2) | instskip(SKIP_2) | instid1(SALU_CYCLE_1)
	v_add_co_ci_u32_e32 v10, vcc_lo, s5, v10, vcc_lo
	global_store_b64 v[9:10], v[1:2], off
	s_or_b32 exec_lo, exec_lo, s0
	s_mov_b32 s0, exec_lo
	v_cmpx_gt_i32_e64 s12, v0
	s_cbranch_execz .LBB18_104
.LBB18_122:
	v_dual_mov_b32 v2, 0 :: v_dual_add_nc_u32 v1, s2, v0
	v_add_nc_u32_e32 v0, 0x100, v0
	s_delay_alu instid0(VALU_DEP_2) | instskip(NEXT) | instid1(VALU_DEP_1)
	v_lshlrev_b64 v[1:2], 3, v[1:2]
	v_add_co_u32 v1, vcc_lo, s4, v1
	s_delay_alu instid0(VALU_DEP_2) | instskip(SKIP_2) | instid1(SALU_CYCLE_1)
	v_add_co_ci_u32_e32 v2, vcc_lo, s5, v2, vcc_lo
	global_store_b64 v[1:2], v[3:4], off
	s_or_b32 exec_lo, exec_lo, s0
	s_mov_b32 s0, exec_lo
	v_cmpx_gt_i32_e64 s12, v0
	s_cbranch_execz .LBB18_105
.LBB18_123:
	v_dual_mov_b32 v2, 0 :: v_dual_add_nc_u32 v1, s2, v0
	v_add_nc_u32_e32 v0, 0x100, v0
	s_delay_alu instid0(VALU_DEP_2) | instskip(NEXT) | instid1(VALU_DEP_1)
	v_lshlrev_b64 v[1:2], 3, v[1:2]
	v_add_co_u32 v1, vcc_lo, s4, v1
	s_delay_alu instid0(VALU_DEP_2) | instskip(SKIP_2) | instid1(SALU_CYCLE_1)
	v_add_co_ci_u32_e32 v2, vcc_lo, s5, v2, vcc_lo
	global_store_b64 v[1:2], v[5:6], off
	s_or_b32 exec_lo, exec_lo, s0
	s_mov_b32 s0, exec_lo
	v_cmpx_gt_i32_e64 s12, v0
	s_cbranch_execnz .LBB18_106
	s_branch .LBB18_107
	.section	.rodata,"a",@progbits
	.p2align	6, 0x0
	.amdhsa_kernel _ZN2at6native29vectorized_elementwise_kernelILi4ENS0_13BinaryFunctorIdddZZZNS0_12_GLOBAL__N_132hermite_polynomial_h_kernel_cudaERNS_18TensorIteratorBaseEENKUlvE_clEvENKUlvE_clEvEUlddE_EESt5arrayIPcLm3EEEEviT0_T1_
		.amdhsa_group_segment_fixed_size 0
		.amdhsa_private_segment_fixed_size 0
		.amdhsa_kernarg_size 32
		.amdhsa_user_sgpr_count 15
		.amdhsa_user_sgpr_dispatch_ptr 0
		.amdhsa_user_sgpr_queue_ptr 0
		.amdhsa_user_sgpr_kernarg_segment_ptr 1
		.amdhsa_user_sgpr_dispatch_id 0
		.amdhsa_user_sgpr_private_segment_size 0
		.amdhsa_wavefront_size32 1
		.amdhsa_uses_dynamic_stack 0
		.amdhsa_enable_private_segment 0
		.amdhsa_system_sgpr_workgroup_id_x 1
		.amdhsa_system_sgpr_workgroup_id_y 0
		.amdhsa_system_sgpr_workgroup_id_z 0
		.amdhsa_system_sgpr_workgroup_info 0
		.amdhsa_system_vgpr_workitem_id 0
		.amdhsa_next_free_vgpr 29
		.amdhsa_next_free_sgpr 17
		.amdhsa_reserve_vcc 1
		.amdhsa_float_round_mode_32 0
		.amdhsa_float_round_mode_16_64 0
		.amdhsa_float_denorm_mode_32 3
		.amdhsa_float_denorm_mode_16_64 3
		.amdhsa_dx10_clamp 1
		.amdhsa_ieee_mode 1
		.amdhsa_fp16_overflow 0
		.amdhsa_workgroup_processor_mode 1
		.amdhsa_memory_ordered 1
		.amdhsa_forward_progress 0
		.amdhsa_shared_vgpr_count 0
		.amdhsa_exception_fp_ieee_invalid_op 0
		.amdhsa_exception_fp_denorm_src 0
		.amdhsa_exception_fp_ieee_div_zero 0
		.amdhsa_exception_fp_ieee_overflow 0
		.amdhsa_exception_fp_ieee_underflow 0
		.amdhsa_exception_fp_ieee_inexact 0
		.amdhsa_exception_int_div_zero 0
	.end_amdhsa_kernel
	.section	.text._ZN2at6native29vectorized_elementwise_kernelILi4ENS0_13BinaryFunctorIdddZZZNS0_12_GLOBAL__N_132hermite_polynomial_h_kernel_cudaERNS_18TensorIteratorBaseEENKUlvE_clEvENKUlvE_clEvEUlddE_EESt5arrayIPcLm3EEEEviT0_T1_,"axG",@progbits,_ZN2at6native29vectorized_elementwise_kernelILi4ENS0_13BinaryFunctorIdddZZZNS0_12_GLOBAL__N_132hermite_polynomial_h_kernel_cudaERNS_18TensorIteratorBaseEENKUlvE_clEvENKUlvE_clEvEUlddE_EESt5arrayIPcLm3EEEEviT0_T1_,comdat
.Lfunc_end18:
	.size	_ZN2at6native29vectorized_elementwise_kernelILi4ENS0_13BinaryFunctorIdddZZZNS0_12_GLOBAL__N_132hermite_polynomial_h_kernel_cudaERNS_18TensorIteratorBaseEENKUlvE_clEvENKUlvE_clEvEUlddE_EESt5arrayIPcLm3EEEEviT0_T1_, .Lfunc_end18-_ZN2at6native29vectorized_elementwise_kernelILi4ENS0_13BinaryFunctorIdddZZZNS0_12_GLOBAL__N_132hermite_polynomial_h_kernel_cudaERNS_18TensorIteratorBaseEENKUlvE_clEvENKUlvE_clEvEUlddE_EESt5arrayIPcLm3EEEEviT0_T1_
                                        ; -- End function
	.section	.AMDGPU.csdata,"",@progbits
; Kernel info:
; codeLenInByte = 4016
; NumSgprs: 19
; NumVgprs: 29
; ScratchSize: 0
; MemoryBound: 0
; FloatMode: 240
; IeeeMode: 1
; LDSByteSize: 0 bytes/workgroup (compile time only)
; SGPRBlocks: 2
; VGPRBlocks: 3
; NumSGPRsForWavesPerEU: 19
; NumVGPRsForWavesPerEU: 29
; Occupancy: 16
; WaveLimiterHint : 0
; COMPUTE_PGM_RSRC2:SCRATCH_EN: 0
; COMPUTE_PGM_RSRC2:USER_SGPR: 15
; COMPUTE_PGM_RSRC2:TRAP_HANDLER: 0
; COMPUTE_PGM_RSRC2:TGID_X_EN: 1
; COMPUTE_PGM_RSRC2:TGID_Y_EN: 0
; COMPUTE_PGM_RSRC2:TGID_Z_EN: 0
; COMPUTE_PGM_RSRC2:TIDIG_COMP_CNT: 0
	.section	.text._ZN2at6native29vectorized_elementwise_kernelILi2ENS0_13BinaryFunctorIdddZZZNS0_12_GLOBAL__N_132hermite_polynomial_h_kernel_cudaERNS_18TensorIteratorBaseEENKUlvE_clEvENKUlvE_clEvEUlddE_EESt5arrayIPcLm3EEEEviT0_T1_,"axG",@progbits,_ZN2at6native29vectorized_elementwise_kernelILi2ENS0_13BinaryFunctorIdddZZZNS0_12_GLOBAL__N_132hermite_polynomial_h_kernel_cudaERNS_18TensorIteratorBaseEENKUlvE_clEvENKUlvE_clEvEUlddE_EESt5arrayIPcLm3EEEEviT0_T1_,comdat
	.globl	_ZN2at6native29vectorized_elementwise_kernelILi2ENS0_13BinaryFunctorIdddZZZNS0_12_GLOBAL__N_132hermite_polynomial_h_kernel_cudaERNS_18TensorIteratorBaseEENKUlvE_clEvENKUlvE_clEvEUlddE_EESt5arrayIPcLm3EEEEviT0_T1_ ; -- Begin function _ZN2at6native29vectorized_elementwise_kernelILi2ENS0_13BinaryFunctorIdddZZZNS0_12_GLOBAL__N_132hermite_polynomial_h_kernel_cudaERNS_18TensorIteratorBaseEENKUlvE_clEvENKUlvE_clEvEUlddE_EESt5arrayIPcLm3EEEEviT0_T1_
	.p2align	8
	.type	_ZN2at6native29vectorized_elementwise_kernelILi2ENS0_13BinaryFunctorIdddZZZNS0_12_GLOBAL__N_132hermite_polynomial_h_kernel_cudaERNS_18TensorIteratorBaseEENKUlvE_clEvENKUlvE_clEvEUlddE_EESt5arrayIPcLm3EEEEviT0_T1_,@function
_ZN2at6native29vectorized_elementwise_kernelILi2ENS0_13BinaryFunctorIdddZZZNS0_12_GLOBAL__N_132hermite_polynomial_h_kernel_cudaERNS_18TensorIteratorBaseEENKUlvE_clEvENKUlvE_clEvEUlddE_EESt5arrayIPcLm3EEEEviT0_T1_: ; @_ZN2at6native29vectorized_elementwise_kernelILi2ENS0_13BinaryFunctorIdddZZZNS0_12_GLOBAL__N_132hermite_polynomial_h_kernel_cudaERNS_18TensorIteratorBaseEENKUlvE_clEvENKUlvE_clEvEUlddE_EESt5arrayIPcLm3EEEEviT0_T1_
; %bb.0:
	s_clause 0x2
	s_load_b32 s3, s[0:1], 0x0
	s_load_b128 s[4:7], s[0:1], 0x8
	s_load_b64 s[8:9], s[0:1], 0x18
	s_lshl_b32 s2, s15, 10
	s_mov_b32 s0, -1
	s_waitcnt lgkmcnt(0)
	s_sub_i32 s12, s3, s2
	s_delay_alu instid0(SALU_CYCLE_1)
	s_cmpk_gt_i32 s12, 0x3ff
	s_cbranch_scc0 .LBB19_50
; %bb.1:
	s_ashr_i32 s3, s2, 31
	v_lshlrev_b32_e32 v21, 4, v0
	s_lshl_b64 s[0:1], s[2:3], 3
	s_delay_alu instid0(SALU_CYCLE_1)
	s_add_u32 s10, s6, s0
	s_addc_u32 s11, s7, s1
	s_add_u32 s14, s8, s0
	s_addc_u32 s15, s9, s1
	v_add_co_u32 v5, s3, s10, v21
	global_load_b128 v[1:4], v21, s[14:15]
	v_add_co_ci_u32_e64 v6, null, s11, 0, s3
	v_add_co_u32 v7, s3, s14, v21
	s_delay_alu instid0(VALU_DEP_1) | instskip(SKIP_1) | instid1(VALU_DEP_4)
	v_add_co_ci_u32_e64 v8, null, s15, 0, s3
	v_add_co_u32 v5, vcc_lo, 0x1000, v5
	v_add_co_ci_u32_e32 v6, vcc_lo, 0, v6, vcc_lo
	s_delay_alu instid0(VALU_DEP_4) | instskip(NEXT) | instid1(VALU_DEP_4)
	v_add_co_u32 v9, vcc_lo, 0x1000, v7
	v_add_co_ci_u32_e32 v10, vcc_lo, 0, v8, vcc_lo
	s_mov_b32 s3, exec_lo
	s_waitcnt vmcnt(0)
	v_trunc_f64_e32 v[17:18], v[1:2]
	v_cmp_class_f64_e64 vcc_lo, v[1:2], 0x1f8
	v_mov_b32_e32 v1, 0
	v_mov_b32_e32 v2, 0
	s_delay_alu instid0(VALU_DEP_4) | instskip(NEXT) | instid1(VALU_DEP_1)
	v_ldexp_f64 v[19:20], v[17:18], 0xffffffe0
	v_floor_f64_e32 v[19:20], v[19:20]
	s_delay_alu instid0(VALU_DEP_1) | instskip(SKIP_1) | instid1(VALU_DEP_2)
	v_fma_f64 v[17:18], 0xc1f00000, v[19:20], v[17:18]
	v_cvt_i32_f64_e32 v19, v[19:20]
	v_cvt_u32_f64_e32 v17, v[17:18]
	s_delay_alu instid0(VALU_DEP_2)
	v_cndmask_b32_e32 v18, -1, v19, vcc_lo
	s_clause 0x1
	global_load_b128 v[13:16], v21, s[10:11]
	global_load_b128 v[5:8], v[5:6], off
	global_load_b128 v[9:12], v[9:10], off
	v_cndmask_b32_e32 v17, -1, v17, vcc_lo
	s_delay_alu instid0(VALU_DEP_1)
	v_cmpx_lt_i64_e32 -1, v[17:18]
	s_cbranch_execz .LBB19_13
; %bb.2:
	v_mov_b32_e32 v1, 0
	v_mov_b32_e32 v2, 0x3ff00000
	s_mov_b32 s13, exec_lo
	v_cmpx_lt_i64_e32 0, v[17:18]
	s_cbranch_execz .LBB19_12
; %bb.3:
                                        ; implicit-def: $vgpr1_vgpr2
	s_mov_b32 s10, exec_lo
	v_cmpx_ne_u64_e32 1, v[17:18]
	s_xor_b32 s14, exec_lo, s10
	s_cbranch_execz .LBB19_9
; %bb.4:
	v_mov_b32_e32 v1, 0
	v_mov_b32_e32 v2, 0x7ff80000
	s_mov_b32 s15, exec_lo
	v_cmpx_gt_u64_e32 0x201, v[17:18]
	s_cbranch_execz .LBB19_8
; %bb.5:
	s_waitcnt vmcnt(2)
	v_add_f64 v[13:14], v[13:14], v[13:14]
	v_mov_b32_e32 v19, 0
	v_lshlrev_b64 v[17:18], 1, v[17:18]
	v_mov_b32_e32 v20, 0x3ff00000
	s_mov_b64 s[10:11], 2
	s_mov_b32 s16, 0
	s_delay_alu instid0(VALU_DEP_4)
	v_dual_mov_b32 v1, v13 :: v_dual_mov_b32 v2, v14
	.p2align	6
.LBB19_6:                               ; =>This Inner Loop Header: Depth=1
	v_cvt_f64_u32_e32 v[22:23], s11
	v_cvt_f64_u32_e32 v[24:25], s10
	s_add_u32 s10, s10, 2
	s_addc_u32 s11, s11, 0
	s_delay_alu instid0(SALU_CYCLE_1) | instskip(SKIP_1) | instid1(VALU_DEP_3)
	v_cmp_ge_u64_e32 vcc_lo, s[10:11], v[17:18]
	s_or_b32 s16, vcc_lo, s16
	v_ldexp_f64 v[22:23], v[22:23], 32
	s_delay_alu instid0(VALU_DEP_1) | instskip(NEXT) | instid1(VALU_DEP_1)
	v_add_f64 v[22:23], v[22:23], v[24:25]
	v_mul_f64 v[19:20], v[19:20], v[22:23]
	v_dual_mov_b32 v23, v2 :: v_dual_mov_b32 v22, v1
	s_delay_alu instid0(VALU_DEP_1)
	v_fma_f64 v[1:2], v[13:14], v[22:23], -v[19:20]
	v_dual_mov_b32 v19, v22 :: v_dual_mov_b32 v20, v23
	s_and_not1_b32 exec_lo, exec_lo, s16
	s_cbranch_execnz .LBB19_6
; %bb.7:
	s_or_b32 exec_lo, exec_lo, s16
.LBB19_8:
	s_delay_alu instid0(SALU_CYCLE_1)
	s_or_b32 exec_lo, exec_lo, s15
.LBB19_9:
	s_and_not1_saveexec_b32 s10, s14
	s_cbranch_execz .LBB19_11
; %bb.10:
	s_waitcnt vmcnt(2)
	v_add_f64 v[1:2], v[13:14], v[13:14]
.LBB19_11:
	s_or_b32 exec_lo, exec_lo, s10
.LBB19_12:
	s_delay_alu instid0(SALU_CYCLE_1)
	s_or_b32 exec_lo, exec_lo, s13
.LBB19_13:
	s_delay_alu instid0(SALU_CYCLE_1)
	s_or_b32 exec_lo, exec_lo, s3
	s_waitcnt vmcnt(2)
	v_trunc_f64_e32 v[13:14], v[3:4]
	v_cmp_class_f64_e64 vcc_lo, v[3:4], 0x1f8
	s_mov_b32 s3, exec_lo
	v_mov_b32_e32 v3, 0
	v_mov_b32_e32 v4, 0
	s_delay_alu instid0(VALU_DEP_4) | instskip(NEXT) | instid1(VALU_DEP_1)
	v_ldexp_f64 v[17:18], v[13:14], 0xffffffe0
	v_floor_f64_e32 v[17:18], v[17:18]
	s_delay_alu instid0(VALU_DEP_1) | instskip(SKIP_1) | instid1(VALU_DEP_2)
	v_fma_f64 v[13:14], 0xc1f00000, v[17:18], v[13:14]
	v_cvt_i32_f64_e32 v17, v[17:18]
	v_cvt_u32_f64_e32 v13, v[13:14]
	s_delay_alu instid0(VALU_DEP_2) | instskip(NEXT) | instid1(VALU_DEP_2)
	v_cndmask_b32_e32 v14, -1, v17, vcc_lo
	v_cndmask_b32_e32 v13, -1, v13, vcc_lo
	s_delay_alu instid0(VALU_DEP_1)
	v_cmpx_lt_i64_e32 -1, v[13:14]
	s_cbranch_execz .LBB19_25
; %bb.14:
	v_mov_b32_e32 v3, 0
	v_mov_b32_e32 v4, 0x3ff00000
	s_mov_b32 s13, exec_lo
	v_cmpx_lt_i64_e32 0, v[13:14]
	s_cbranch_execz .LBB19_24
; %bb.15:
	s_mov_b32 s10, exec_lo
	v_cmpx_ne_u64_e32 1, v[13:14]
	s_xor_b32 s14, exec_lo, s10
	s_cbranch_execz .LBB19_21
; %bb.16:
	v_mov_b32_e32 v3, 0
	v_mov_b32_e32 v4, 0x7ff80000
	s_mov_b32 s15, exec_lo
	v_cmpx_gt_u64_e32 0x201, v[13:14]
	s_cbranch_execz .LBB19_20
; %bb.17:
	v_add_f64 v[15:16], v[15:16], v[15:16]
	v_mov_b32_e32 v17, 0
	v_lshlrev_b64 v[13:14], 1, v[13:14]
	v_mov_b32_e32 v18, 0x3ff00000
	s_mov_b64 s[10:11], 2
	s_mov_b32 s16, 0
	s_delay_alu instid0(VALU_DEP_4)
	v_dual_mov_b32 v3, v15 :: v_dual_mov_b32 v4, v16
	.p2align	6
.LBB19_18:                              ; =>This Inner Loop Header: Depth=1
	v_cvt_f64_u32_e32 v[19:20], s11
	v_cvt_f64_u32_e32 v[22:23], s10
	s_add_u32 s10, s10, 2
	s_addc_u32 s11, s11, 0
	s_delay_alu instid0(SALU_CYCLE_1) | instskip(SKIP_1) | instid1(VALU_DEP_3)
	v_cmp_ge_u64_e32 vcc_lo, s[10:11], v[13:14]
	s_or_b32 s16, vcc_lo, s16
	v_ldexp_f64 v[19:20], v[19:20], 32
	s_delay_alu instid0(VALU_DEP_1) | instskip(NEXT) | instid1(VALU_DEP_1)
	v_add_f64 v[19:20], v[19:20], v[22:23]
	v_mul_f64 v[17:18], v[17:18], v[19:20]
	v_dual_mov_b32 v20, v4 :: v_dual_mov_b32 v19, v3
	s_delay_alu instid0(VALU_DEP_1)
	v_fma_f64 v[3:4], v[15:16], v[19:20], -v[17:18]
	v_dual_mov_b32 v17, v19 :: v_dual_mov_b32 v18, v20
	s_and_not1_b32 exec_lo, exec_lo, s16
	s_cbranch_execnz .LBB19_18
; %bb.19:
	s_or_b32 exec_lo, exec_lo, s16
.LBB19_20:
	s_delay_alu instid0(SALU_CYCLE_1)
	s_or_b32 exec_lo, exec_lo, s15
                                        ; implicit-def: $vgpr15_vgpr16
.LBB19_21:
	s_and_not1_saveexec_b32 s10, s14
; %bb.22:
	v_add_f64 v[3:4], v[15:16], v[15:16]
; %bb.23:
	s_or_b32 exec_lo, exec_lo, s10
.LBB19_24:
	s_delay_alu instid0(SALU_CYCLE_1)
	s_or_b32 exec_lo, exec_lo, s13
.LBB19_25:
	s_delay_alu instid0(SALU_CYCLE_1)
	s_or_b32 exec_lo, exec_lo, s3
	s_waitcnt vmcnt(0)
	v_trunc_f64_e32 v[13:14], v[9:10]
	v_cmp_class_f64_e64 vcc_lo, v[9:10], 0x1f8
	v_mov_b32_e32 v9, 0
	v_mov_b32_e32 v10, 0
	s_mov_b32 s3, exec_lo
	s_delay_alu instid0(VALU_DEP_4) | instskip(NEXT) | instid1(VALU_DEP_1)
	v_ldexp_f64 v[15:16], v[13:14], 0xffffffe0
	v_floor_f64_e32 v[15:16], v[15:16]
	s_delay_alu instid0(VALU_DEP_1) | instskip(SKIP_1) | instid1(VALU_DEP_2)
	v_fma_f64 v[13:14], 0xc1f00000, v[15:16], v[13:14]
	v_cvt_i32_f64_e32 v15, v[15:16]
	v_cvt_u32_f64_e32 v13, v[13:14]
	s_delay_alu instid0(VALU_DEP_1) | instskip(NEXT) | instid1(VALU_DEP_1)
	v_dual_cndmask_b32 v14, -1, v15 :: v_dual_cndmask_b32 v13, -1, v13
	v_cmpx_lt_i64_e32 -1, v[13:14]
	s_cbranch_execz .LBB19_37
; %bb.26:
	v_mov_b32_e32 v9, 0
	v_mov_b32_e32 v10, 0x3ff00000
	s_mov_b32 s13, exec_lo
	v_cmpx_lt_i64_e32 0, v[13:14]
	s_cbranch_execz .LBB19_36
; %bb.27:
                                        ; implicit-def: $vgpr9_vgpr10
	s_mov_b32 s10, exec_lo
	v_cmpx_ne_u64_e32 1, v[13:14]
	s_xor_b32 s14, exec_lo, s10
	s_cbranch_execz .LBB19_33
; %bb.28:
	v_mov_b32_e32 v9, 0
	v_mov_b32_e32 v10, 0x7ff80000
	s_mov_b32 s15, exec_lo
	v_cmpx_gt_u64_e32 0x201, v[13:14]
	s_cbranch_execz .LBB19_32
; %bb.29:
	v_add_f64 v[5:6], v[5:6], v[5:6]
	v_lshlrev_b64 v[13:14], 1, v[13:14]
	v_mov_b32_e32 v15, 0
	v_mov_b32_e32 v16, 0x3ff00000
	s_mov_b64 s[10:11], 2
	s_mov_b32 s16, 0
	s_delay_alu instid0(VALU_DEP_4)
	v_dual_mov_b32 v10, v6 :: v_dual_mov_b32 v9, v5
	.p2align	6
.LBB19_30:                              ; =>This Inner Loop Header: Depth=1
	v_cvt_f64_u32_e32 v[17:18], s11
	v_cvt_f64_u32_e32 v[19:20], s10
	s_add_u32 s10, s10, 2
	s_addc_u32 s11, s11, 0
	s_delay_alu instid0(SALU_CYCLE_1) | instskip(SKIP_1) | instid1(VALU_DEP_3)
	v_cmp_ge_u64_e32 vcc_lo, s[10:11], v[13:14]
	s_or_b32 s16, vcc_lo, s16
	v_ldexp_f64 v[17:18], v[17:18], 32
	s_delay_alu instid0(VALU_DEP_1) | instskip(NEXT) | instid1(VALU_DEP_1)
	v_add_f64 v[17:18], v[17:18], v[19:20]
	v_mul_f64 v[15:16], v[15:16], v[17:18]
	v_dual_mov_b32 v18, v10 :: v_dual_mov_b32 v17, v9
	s_delay_alu instid0(VALU_DEP_1)
	v_fma_f64 v[9:10], v[5:6], v[17:18], -v[15:16]
	v_dual_mov_b32 v15, v17 :: v_dual_mov_b32 v16, v18
	s_and_not1_b32 exec_lo, exec_lo, s16
	s_cbranch_execnz .LBB19_30
; %bb.31:
	s_or_b32 exec_lo, exec_lo, s16
.LBB19_32:
	s_delay_alu instid0(SALU_CYCLE_1)
	s_or_b32 exec_lo, exec_lo, s15
.LBB19_33:
	s_and_not1_saveexec_b32 s10, s14
; %bb.34:
	v_add_f64 v[9:10], v[5:6], v[5:6]
; %bb.35:
	s_or_b32 exec_lo, exec_lo, s10
.LBB19_36:
	s_delay_alu instid0(SALU_CYCLE_1)
	s_or_b32 exec_lo, exec_lo, s13
.LBB19_37:
	s_delay_alu instid0(SALU_CYCLE_1)
	s_or_b32 exec_lo, exec_lo, s3
	v_trunc_f64_e32 v[5:6], v[11:12]
	v_cmp_class_f64_e64 vcc_lo, v[11:12], 0x1f8
	s_mov_b32 s3, exec_lo
	v_mov_b32_e32 v11, 0
	v_mov_b32_e32 v12, 0
	s_delay_alu instid0(VALU_DEP_4) | instskip(NEXT) | instid1(VALU_DEP_1)
	v_ldexp_f64 v[13:14], v[5:6], 0xffffffe0
	v_floor_f64_e32 v[13:14], v[13:14]
	s_delay_alu instid0(VALU_DEP_1) | instskip(SKIP_1) | instid1(VALU_DEP_2)
	v_fma_f64 v[5:6], 0xc1f00000, v[13:14], v[5:6]
	v_cvt_i32_f64_e32 v13, v[13:14]
	v_cvt_u32_f64_e32 v5, v[5:6]
	s_delay_alu instid0(VALU_DEP_2) | instskip(NEXT) | instid1(VALU_DEP_2)
	v_cndmask_b32_e32 v6, -1, v13, vcc_lo
	v_cndmask_b32_e32 v5, -1, v5, vcc_lo
	s_delay_alu instid0(VALU_DEP_1)
	v_cmpx_lt_i64_e32 -1, v[5:6]
	s_cbranch_execz .LBB19_49
; %bb.38:
	v_mov_b32_e32 v11, 0
	v_mov_b32_e32 v12, 0x3ff00000
	s_mov_b32 s13, exec_lo
	v_cmpx_lt_i64_e32 0, v[5:6]
	s_cbranch_execz .LBB19_48
; %bb.39:
	s_mov_b32 s10, exec_lo
	v_cmpx_ne_u64_e32 1, v[5:6]
	s_xor_b32 s14, exec_lo, s10
	s_cbranch_execz .LBB19_45
; %bb.40:
	v_mov_b32_e32 v11, 0
	v_mov_b32_e32 v12, 0x7ff80000
	s_mov_b32 s15, exec_lo
	v_cmpx_gt_u64_e32 0x201, v[5:6]
	s_cbranch_execz .LBB19_44
; %bb.41:
	v_add_f64 v[7:8], v[7:8], v[7:8]
	v_lshlrev_b64 v[5:6], 1, v[5:6]
	v_mov_b32_e32 v13, 0
	v_mov_b32_e32 v14, 0x3ff00000
	s_mov_b64 s[10:11], 2
	s_mov_b32 s16, 0
	s_delay_alu instid0(VALU_DEP_4)
	v_dual_mov_b32 v12, v8 :: v_dual_mov_b32 v11, v7
	.p2align	6
.LBB19_42:                              ; =>This Inner Loop Header: Depth=1
	v_cvt_f64_u32_e32 v[15:16], s11
	v_cvt_f64_u32_e32 v[17:18], s10
	s_add_u32 s10, s10, 2
	s_addc_u32 s11, s11, 0
	s_delay_alu instid0(SALU_CYCLE_1) | instskip(SKIP_1) | instid1(VALU_DEP_3)
	v_cmp_ge_u64_e32 vcc_lo, s[10:11], v[5:6]
	s_or_b32 s16, vcc_lo, s16
	v_ldexp_f64 v[15:16], v[15:16], 32
	s_delay_alu instid0(VALU_DEP_1) | instskip(NEXT) | instid1(VALU_DEP_1)
	v_add_f64 v[15:16], v[15:16], v[17:18]
	v_mul_f64 v[13:14], v[13:14], v[15:16]
	v_dual_mov_b32 v16, v12 :: v_dual_mov_b32 v15, v11
	s_delay_alu instid0(VALU_DEP_1)
	v_fma_f64 v[11:12], v[7:8], v[15:16], -v[13:14]
	v_dual_mov_b32 v13, v15 :: v_dual_mov_b32 v14, v16
	s_and_not1_b32 exec_lo, exec_lo, s16
	s_cbranch_execnz .LBB19_42
; %bb.43:
	s_or_b32 exec_lo, exec_lo, s16
.LBB19_44:
	s_delay_alu instid0(SALU_CYCLE_1)
	s_or_b32 exec_lo, exec_lo, s15
                                        ; implicit-def: $vgpr7_vgpr8
.LBB19_45:
	s_and_not1_saveexec_b32 s10, s14
; %bb.46:
	v_add_f64 v[11:12], v[7:8], v[7:8]
; %bb.47:
	s_or_b32 exec_lo, exec_lo, s10
.LBB19_48:
	s_delay_alu instid0(SALU_CYCLE_1)
	s_or_b32 exec_lo, exec_lo, s13
.LBB19_49:
	s_delay_alu instid0(SALU_CYCLE_1) | instskip(SKIP_3) | instid1(VALU_DEP_1)
	s_or_b32 exec_lo, exec_lo, s3
	s_add_u32 s10, s4, s0
	s_addc_u32 s11, s5, s1
	v_add_co_u32 v5, s0, s10, v21
	v_add_co_ci_u32_e64 v6, null, s11, 0, s0
	s_mov_b32 s0, 0
	s_delay_alu instid0(VALU_DEP_2) | instskip(NEXT) | instid1(VALU_DEP_2)
	v_add_co_u32 v5, vcc_lo, 0x1000, v5
	v_add_co_ci_u32_e32 v6, vcc_lo, 0, v6, vcc_lo
	s_clause 0x1
	global_store_b128 v21, v[1:4], s[10:11]
	global_store_b128 v[5:6], v[9:12], off
.LBB19_50:
	s_and_b32 vcc_lo, exec_lo, s0
	s_cbranch_vccz .LBB19_107
; %bb.51:
	v_dual_mov_b32 v18, 0 :: v_dual_mov_b32 v1, v0
	v_mov_b32_e32 v19, 0
	v_cmp_gt_i32_e32 vcc_lo, s12, v0
	v_or_b32_e32 v9, s2, v0
	v_or_b32_e32 v26, 0x100, v0
	s_delay_alu instid0(VALU_DEP_4)
	v_dual_mov_b32 v23, v19 :: v_dual_mov_b32 v22, v18
	v_dual_mov_b32 v25, v19 :: v_dual_mov_b32 v24, v18
	s_and_saveexec_b32 s1, vcc_lo
	s_cbranch_execz .LBB19_53
; %bb.52:
	v_mov_b32_e32 v10, 0
	s_delay_alu instid0(VALU_DEP_1) | instskip(NEXT) | instid1(VALU_DEP_1)
	v_lshlrev_b64 v[1:2], 3, v[9:10]
	v_add_co_u32 v3, s0, s6, v1
	s_delay_alu instid0(VALU_DEP_1) | instskip(SKIP_1) | instid1(VALU_DEP_1)
	v_add_co_ci_u32_e64 v4, s0, s7, v2, s0
	v_add_co_u32 v1, s0, s8, v1
	v_add_co_ci_u32_e64 v2, s0, s9, v2, s0
	global_load_b64 v[22:23], v[3:4], off
	global_load_b64 v[24:25], v[1:2], off
	v_or_b32_e32 v1, 0x100, v0
.LBB19_53:
	s_or_b32 exec_lo, exec_lo, s1
	v_dual_mov_b32 v21, v19 :: v_dual_mov_b32 v20, v18
	s_mov_b32 s1, exec_lo
	s_delay_alu instid0(VALU_DEP_2)
	v_cmpx_gt_i32_e64 s12, v1
	s_cbranch_execz .LBB19_55
; %bb.54:
	v_dual_mov_b32 v3, 0 :: v_dual_add_nc_u32 v2, s2, v1
	v_add_nc_u32_e32 v1, 0x100, v1
	s_delay_alu instid0(VALU_DEP_2) | instskip(NEXT) | instid1(VALU_DEP_1)
	v_lshlrev_b64 v[2:3], 3, v[2:3]
	v_add_co_u32 v4, s0, s6, v2
	s_delay_alu instid0(VALU_DEP_1) | instskip(SKIP_1) | instid1(VALU_DEP_1)
	v_add_co_ci_u32_e64 v5, s0, s7, v3, s0
	v_add_co_u32 v2, s0, s8, v2
	v_add_co_ci_u32_e64 v3, s0, s9, v3, s0
	global_load_b64 v[18:19], v[4:5], off
	global_load_b64 v[20:21], v[2:3], off
.LBB19_55:
	s_or_b32 exec_lo, exec_lo, s1
	v_mov_b32_e32 v10, 0
	v_mov_b32_e32 v11, 0
	s_mov_b32 s1, exec_lo
	s_delay_alu instid0(VALU_DEP_1)
	v_dual_mov_b32 v15, v11 :: v_dual_mov_b32 v14, v10
	v_dual_mov_b32 v17, v11 :: v_dual_mov_b32 v16, v10
	v_cmpx_gt_i32_e64 s12, v1
	s_cbranch_execz .LBB19_57
; %bb.56:
	v_dual_mov_b32 v3, 0 :: v_dual_add_nc_u32 v2, s2, v1
	v_add_nc_u32_e32 v1, 0x100, v1
	s_delay_alu instid0(VALU_DEP_2) | instskip(NEXT) | instid1(VALU_DEP_1)
	v_lshlrev_b64 v[2:3], 3, v[2:3]
	v_add_co_u32 v4, s0, s6, v2
	s_delay_alu instid0(VALU_DEP_1) | instskip(SKIP_1) | instid1(VALU_DEP_1)
	v_add_co_ci_u32_e64 v5, s0, s7, v3, s0
	v_add_co_u32 v2, s0, s8, v2
	v_add_co_ci_u32_e64 v3, s0, s9, v3, s0
	global_load_b64 v[14:15], v[4:5], off
	global_load_b64 v[16:17], v[2:3], off
.LBB19_57:
	s_or_b32 exec_lo, exec_lo, s1
	v_dual_mov_b32 v13, v11 :: v_dual_mov_b32 v12, v10
	s_mov_b32 s1, exec_lo
	v_cmpx_gt_i32_e64 s12, v1
	s_cbranch_execnz .LBB19_60
; %bb.58:
	s_or_b32 exec_lo, exec_lo, s1
                                        ; implicit-def: $vgpr1_vgpr2_vgpr3_vgpr4_vgpr5_vgpr6_vgpr7_vgpr8
	s_and_saveexec_b32 s1, vcc_lo
	s_cbranch_execnz .LBB19_61
.LBB19_59:
	s_or_b32 exec_lo, exec_lo, s1
	s_delay_alu instid0(SALU_CYCLE_1)
	s_mov_b32 s1, exec_lo
	v_cmpx_gt_i32_e64 s12, v26
	s_cbranch_execnz .LBB19_74
	s_branch .LBB19_87
.LBB19_60:
	v_dual_mov_b32 v2, 0 :: v_dual_add_nc_u32 v1, s2, v1
	s_delay_alu instid0(VALU_DEP_1) | instskip(NEXT) | instid1(VALU_DEP_1)
	v_lshlrev_b64 v[1:2], 3, v[1:2]
	v_add_co_u32 v3, s0, s6, v1
	s_delay_alu instid0(VALU_DEP_1) | instskip(SKIP_1) | instid1(VALU_DEP_1)
	v_add_co_ci_u32_e64 v4, s0, s7, v2, s0
	v_add_co_u32 v1, s0, s8, v1
	v_add_co_ci_u32_e64 v2, s0, s9, v2, s0
	global_load_b64 v[10:11], v[3:4], off
	global_load_b64 v[12:13], v[1:2], off
	s_or_b32 exec_lo, exec_lo, s1
                                        ; implicit-def: $vgpr1_vgpr2_vgpr3_vgpr4_vgpr5_vgpr6_vgpr7_vgpr8
	s_and_saveexec_b32 s1, vcc_lo
	s_cbranch_execz .LBB19_59
.LBB19_61:
	s_waitcnt vmcnt(0)
	v_trunc_f64_e32 v[1:2], v[24:25]
	v_cmp_class_f64_e64 s0, v[24:25], 0x1f8
	s_mov_b32 s3, exec_lo
	s_delay_alu instid0(VALU_DEP_2) | instskip(NEXT) | instid1(VALU_DEP_1)
	v_ldexp_f64 v[3:4], v[1:2], 0xffffffe0
	v_floor_f64_e32 v[3:4], v[3:4]
	s_delay_alu instid0(VALU_DEP_1) | instskip(SKIP_1) | instid1(VALU_DEP_2)
	v_fma_f64 v[1:2], 0xc1f00000, v[3:4], v[1:2]
	v_cvt_i32_f64_e32 v3, v[3:4]
	v_cvt_u32_f64_e32 v1, v[1:2]
	s_delay_alu instid0(VALU_DEP_2) | instskip(NEXT) | instid1(VALU_DEP_2)
	v_cndmask_b32_e64 v4, -1, v3, s0
	v_cndmask_b32_e64 v3, -1, v1, s0
	v_mov_b32_e32 v1, 0
	v_mov_b32_e32 v2, 0
	s_delay_alu instid0(VALU_DEP_3)
	v_cmpx_lt_i64_e32 -1, v[3:4]
	s_cbranch_execz .LBB19_73
; %bb.62:
	v_mov_b32_e32 v1, 0
	v_mov_b32_e32 v2, 0x3ff00000
	s_mov_b32 s8, exec_lo
	v_cmpx_lt_i64_e32 0, v[3:4]
	s_cbranch_execz .LBB19_72
; %bb.63:
                                        ; implicit-def: $vgpr1_vgpr2
	s_mov_b32 s6, exec_lo
	v_cmpx_ne_u64_e32 1, v[3:4]
	s_xor_b32 s9, exec_lo, s6
	s_cbranch_execz .LBB19_69
; %bb.64:
	v_mov_b32_e32 v1, 0
	v_mov_b32_e32 v2, 0x7ff80000
	s_mov_b32 s10, exec_lo
	v_cmpx_gt_u64_e32 0x201, v[3:4]
	s_cbranch_execz .LBB19_68
; %bb.65:
	v_add_f64 v[5:6], v[22:23], v[22:23]
	v_mov_b32_e32 v7, 0
	v_lshlrev_b64 v[3:4], 1, v[3:4]
	v_mov_b32_e32 v8, 0x3ff00000
	s_mov_b64 s[6:7], 2
	s_mov_b32 s11, 0
	s_delay_alu instid0(VALU_DEP_4)
	v_dual_mov_b32 v1, v5 :: v_dual_mov_b32 v2, v6
	.p2align	6
.LBB19_66:                              ; =>This Inner Loop Header: Depth=1
	v_cvt_f64_u32_e32 v[22:23], s7
	v_cvt_f64_u32_e32 v[24:25], s6
	s_add_u32 s6, s6, 2
	s_addc_u32 s7, s7, 0
	s_delay_alu instid0(SALU_CYCLE_1) | instskip(NEXT) | instid1(VALU_DEP_1)
	v_cmp_ge_u64_e64 s0, s[6:7], v[3:4]
	s_or_b32 s11, s0, s11
	s_delay_alu instid0(VALU_DEP_3) | instskip(NEXT) | instid1(VALU_DEP_1)
	v_ldexp_f64 v[22:23], v[22:23], 32
	v_add_f64 v[22:23], v[22:23], v[24:25]
	s_delay_alu instid0(VALU_DEP_1) | instskip(SKIP_1) | instid1(VALU_DEP_1)
	v_mul_f64 v[7:8], v[7:8], v[22:23]
	v_dual_mov_b32 v23, v2 :: v_dual_mov_b32 v22, v1
	v_fma_f64 v[1:2], v[5:6], v[22:23], -v[7:8]
	v_dual_mov_b32 v7, v22 :: v_dual_mov_b32 v8, v23
	s_and_not1_b32 exec_lo, exec_lo, s11
	s_cbranch_execnz .LBB19_66
; %bb.67:
	s_or_b32 exec_lo, exec_lo, s11
.LBB19_68:
	s_delay_alu instid0(SALU_CYCLE_1)
	s_or_b32 exec_lo, exec_lo, s10
                                        ; implicit-def: $vgpr22_vgpr23
.LBB19_69:
	s_and_not1_saveexec_b32 s0, s9
; %bb.70:
	v_add_f64 v[1:2], v[22:23], v[22:23]
; %bb.71:
	s_or_b32 exec_lo, exec_lo, s0
.LBB19_72:
	s_delay_alu instid0(SALU_CYCLE_1)
	s_or_b32 exec_lo, exec_lo, s8
.LBB19_73:
	s_delay_alu instid0(SALU_CYCLE_1) | instskip(NEXT) | instid1(SALU_CYCLE_1)
	s_or_b32 exec_lo, exec_lo, s3
	s_or_b32 exec_lo, exec_lo, s1
	s_delay_alu instid0(SALU_CYCLE_1)
	s_mov_b32 s1, exec_lo
	v_cmpx_gt_i32_e64 s12, v26
	s_cbranch_execz .LBB19_87
.LBB19_74:
	s_waitcnt vmcnt(0)
	v_trunc_f64_e32 v[3:4], v[20:21]
	v_cmp_class_f64_e64 s0, v[20:21], 0x1f8
	s_mov_b32 s3, exec_lo
	s_delay_alu instid0(VALU_DEP_2) | instskip(NEXT) | instid1(VALU_DEP_1)
	v_ldexp_f64 v[22:23], v[3:4], 0xffffffe0
	v_floor_f64_e32 v[22:23], v[22:23]
	s_delay_alu instid0(VALU_DEP_1) | instskip(SKIP_1) | instid1(VALU_DEP_2)
	v_fma_f64 v[3:4], 0xc1f00000, v[22:23], v[3:4]
	v_cvt_i32_f64_e32 v22, v[22:23]
	v_cvt_u32_f64_e32 v3, v[3:4]
	s_delay_alu instid0(VALU_DEP_2) | instskip(NEXT) | instid1(VALU_DEP_2)
	v_cndmask_b32_e64 v21, -1, v22, s0
	v_cndmask_b32_e64 v20, -1, v3, s0
	v_mov_b32_e32 v3, 0
	v_mov_b32_e32 v4, 0
	s_delay_alu instid0(VALU_DEP_3)
	v_cmpx_lt_i64_e32 -1, v[20:21]
	s_cbranch_execz .LBB19_86
; %bb.75:
	v_mov_b32_e32 v3, 0
	v_mov_b32_e32 v4, 0x3ff00000
	s_mov_b32 s8, exec_lo
	v_cmpx_lt_i64_e32 0, v[20:21]
	s_cbranch_execz .LBB19_85
; %bb.76:
	s_mov_b32 s6, exec_lo
	v_cmpx_ne_u64_e32 1, v[20:21]
	s_xor_b32 s9, exec_lo, s6
	s_cbranch_execz .LBB19_82
; %bb.77:
	v_mov_b32_e32 v3, 0
	v_mov_b32_e32 v4, 0x7ff80000
	s_mov_b32 s10, exec_lo
	v_cmpx_gt_u64_e32 0x201, v[20:21]
	s_cbranch_execz .LBB19_81
; %bb.78:
	v_add_f64 v[18:19], v[18:19], v[18:19]
	v_lshlrev_b64 v[20:21], 1, v[20:21]
	v_mov_b32_e32 v22, 0
	v_mov_b32_e32 v23, 0x3ff00000
	s_mov_b64 s[6:7], 2
	s_mov_b32 s11, 0
	s_delay_alu instid0(VALU_DEP_4)
	v_dual_mov_b32 v3, v18 :: v_dual_mov_b32 v4, v19
	.p2align	6
.LBB19_79:                              ; =>This Inner Loop Header: Depth=1
	v_cvt_f64_u32_e32 v[24:25], s7
	v_cvt_f64_u32_e32 v[27:28], s6
	s_add_u32 s6, s6, 2
	s_addc_u32 s7, s7, 0
	s_delay_alu instid0(SALU_CYCLE_1) | instskip(NEXT) | instid1(VALU_DEP_1)
	v_cmp_ge_u64_e64 s0, s[6:7], v[20:21]
	s_or_b32 s11, s0, s11
	s_delay_alu instid0(VALU_DEP_3) | instskip(NEXT) | instid1(VALU_DEP_1)
	v_ldexp_f64 v[24:25], v[24:25], 32
	v_add_f64 v[24:25], v[24:25], v[27:28]
	s_delay_alu instid0(VALU_DEP_1) | instskip(SKIP_1) | instid1(VALU_DEP_1)
	v_mul_f64 v[22:23], v[22:23], v[24:25]
	v_dual_mov_b32 v25, v4 :: v_dual_mov_b32 v24, v3
	v_fma_f64 v[3:4], v[18:19], v[24:25], -v[22:23]
	v_dual_mov_b32 v22, v24 :: v_dual_mov_b32 v23, v25
	s_and_not1_b32 exec_lo, exec_lo, s11
	s_cbranch_execnz .LBB19_79
; %bb.80:
	s_or_b32 exec_lo, exec_lo, s11
.LBB19_81:
	s_delay_alu instid0(SALU_CYCLE_1)
	s_or_b32 exec_lo, exec_lo, s10
                                        ; implicit-def: $vgpr18_vgpr19
.LBB19_82:
	s_and_not1_saveexec_b32 s0, s9
; %bb.83:
	v_add_f64 v[3:4], v[18:19], v[18:19]
; %bb.84:
	s_or_b32 exec_lo, exec_lo, s0
.LBB19_85:
	s_delay_alu instid0(SALU_CYCLE_1)
	s_or_b32 exec_lo, exec_lo, s8
.LBB19_86:
	s_delay_alu instid0(SALU_CYCLE_1)
	s_or_b32 exec_lo, exec_lo, s3
.LBB19_87:
	s_delay_alu instid0(SALU_CYCLE_1) | instskip(SKIP_3) | instid1(VALU_DEP_1)
	s_or_b32 exec_lo, exec_lo, s1
	s_waitcnt vmcnt(1)
	v_or_b32_e32 v18, 0x200, v0
	s_mov_b32 s1, exec_lo
	v_cmpx_gt_i32_e64 s12, v18
	s_cbranch_execz .LBB19_101
; %bb.88:
	s_waitcnt vmcnt(0)
	v_trunc_f64_e32 v[5:6], v[16:17]
	v_cmp_class_f64_e64 s0, v[16:17], 0x1f8
	s_mov_b32 s3, exec_lo
	s_delay_alu instid0(VALU_DEP_2) | instskip(NEXT) | instid1(VALU_DEP_1)
	v_ldexp_f64 v[18:19], v[5:6], 0xffffffe0
	v_floor_f64_e32 v[18:19], v[18:19]
	s_delay_alu instid0(VALU_DEP_1) | instskip(SKIP_1) | instid1(VALU_DEP_2)
	v_fma_f64 v[5:6], 0xc1f00000, v[18:19], v[5:6]
	v_cvt_i32_f64_e32 v18, v[18:19]
	v_cvt_u32_f64_e32 v5, v[5:6]
	s_delay_alu instid0(VALU_DEP_2) | instskip(NEXT) | instid1(VALU_DEP_2)
	v_cndmask_b32_e64 v17, -1, v18, s0
	v_cndmask_b32_e64 v16, -1, v5, s0
	v_mov_b32_e32 v5, 0
	v_mov_b32_e32 v6, 0
	s_delay_alu instid0(VALU_DEP_3)
	v_cmpx_lt_i64_e32 -1, v[16:17]
	s_cbranch_execz .LBB19_100
; %bb.89:
	v_mov_b32_e32 v5, 0
	v_mov_b32_e32 v6, 0x3ff00000
	s_mov_b32 s8, exec_lo
	v_cmpx_lt_i64_e32 0, v[16:17]
	s_cbranch_execz .LBB19_99
; %bb.90:
	s_mov_b32 s6, exec_lo
	v_cmpx_ne_u64_e32 1, v[16:17]
	s_xor_b32 s9, exec_lo, s6
	s_cbranch_execz .LBB19_96
; %bb.91:
	v_mov_b32_e32 v5, 0
	v_mov_b32_e32 v6, 0x7ff80000
	s_mov_b32 s10, exec_lo
	v_cmpx_gt_u64_e32 0x201, v[16:17]
	s_cbranch_execz .LBB19_95
; %bb.92:
	v_add_f64 v[14:15], v[14:15], v[14:15]
	v_lshlrev_b64 v[16:17], 1, v[16:17]
	v_mov_b32_e32 v18, 0
	v_mov_b32_e32 v19, 0x3ff00000
	s_mov_b64 s[6:7], 2
	s_mov_b32 s11, 0
	s_delay_alu instid0(VALU_DEP_4)
	v_dual_mov_b32 v5, v14 :: v_dual_mov_b32 v6, v15
	.p2align	6
.LBB19_93:                              ; =>This Inner Loop Header: Depth=1
	v_cvt_f64_u32_e32 v[20:21], s7
	v_cvt_f64_u32_e32 v[22:23], s6
	s_add_u32 s6, s6, 2
	s_addc_u32 s7, s7, 0
	s_delay_alu instid0(SALU_CYCLE_1) | instskip(NEXT) | instid1(VALU_DEP_1)
	v_cmp_ge_u64_e64 s0, s[6:7], v[16:17]
	s_or_b32 s11, s0, s11
	s_delay_alu instid0(VALU_DEP_3) | instskip(NEXT) | instid1(VALU_DEP_1)
	v_ldexp_f64 v[20:21], v[20:21], 32
	v_add_f64 v[20:21], v[20:21], v[22:23]
	s_delay_alu instid0(VALU_DEP_1) | instskip(SKIP_1) | instid1(VALU_DEP_1)
	v_mul_f64 v[18:19], v[18:19], v[20:21]
	v_dual_mov_b32 v21, v6 :: v_dual_mov_b32 v20, v5
	v_fma_f64 v[5:6], v[14:15], v[20:21], -v[18:19]
	v_dual_mov_b32 v18, v20 :: v_dual_mov_b32 v19, v21
	s_and_not1_b32 exec_lo, exec_lo, s11
	s_cbranch_execnz .LBB19_93
; %bb.94:
	s_or_b32 exec_lo, exec_lo, s11
.LBB19_95:
	s_delay_alu instid0(SALU_CYCLE_1)
	s_or_b32 exec_lo, exec_lo, s10
                                        ; implicit-def: $vgpr14_vgpr15
.LBB19_96:
	s_and_not1_saveexec_b32 s0, s9
; %bb.97:
	v_add_f64 v[5:6], v[14:15], v[14:15]
; %bb.98:
	s_or_b32 exec_lo, exec_lo, s0
.LBB19_99:
	s_delay_alu instid0(SALU_CYCLE_1)
	s_or_b32 exec_lo, exec_lo, s8
.LBB19_100:
	s_delay_alu instid0(SALU_CYCLE_1)
	s_or_b32 exec_lo, exec_lo, s3
.LBB19_101:
	s_delay_alu instid0(SALU_CYCLE_1) | instskip(SKIP_2) | instid1(VALU_DEP_1)
	s_or_b32 exec_lo, exec_lo, s1
	v_or_b32_e32 v14, 0x300, v0
	s_mov_b32 s1, exec_lo
	v_cmpx_gt_i32_e64 s12, v14
	s_cbranch_execnz .LBB19_108
; %bb.102:
	s_or_b32 exec_lo, exec_lo, s1
	s_and_saveexec_b32 s0, vcc_lo
	s_delay_alu instid0(SALU_CYCLE_1)
	s_xor_b32 s0, exec_lo, s0
	s_cbranch_execnz .LBB19_121
.LBB19_103:
	s_or_b32 exec_lo, exec_lo, s0
	s_delay_alu instid0(SALU_CYCLE_1)
	s_mov_b32 s0, exec_lo
	v_cmpx_gt_i32_e64 s12, v0
	s_cbranch_execnz .LBB19_122
.LBB19_104:
	s_or_b32 exec_lo, exec_lo, s0
	s_delay_alu instid0(SALU_CYCLE_1)
	s_mov_b32 s0, exec_lo
	v_cmpx_gt_i32_e64 s12, v0
	s_cbranch_execnz .LBB19_123
.LBB19_105:
	s_or_b32 exec_lo, exec_lo, s0
	s_delay_alu instid0(SALU_CYCLE_1)
	s_mov_b32 s0, exec_lo
	v_cmpx_gt_i32_e64 s12, v0
	s_cbranch_execz .LBB19_107
.LBB19_106:
	v_dual_mov_b32 v1, 0 :: v_dual_add_nc_u32 v0, s2, v0
	s_delay_alu instid0(VALU_DEP_1) | instskip(NEXT) | instid1(VALU_DEP_1)
	v_lshlrev_b64 v[0:1], 3, v[0:1]
	v_add_co_u32 v0, vcc_lo, s4, v0
	s_delay_alu instid0(VALU_DEP_2)
	v_add_co_ci_u32_e32 v1, vcc_lo, s5, v1, vcc_lo
	global_store_b64 v[0:1], v[7:8], off
.LBB19_107:
	s_nop 0
	s_sendmsg sendmsg(MSG_DEALLOC_VGPRS)
	s_endpgm
.LBB19_108:
	s_waitcnt vmcnt(0)
	v_trunc_f64_e32 v[7:8], v[12:13]
	v_cmp_class_f64_e64 s0, v[12:13], 0x1f8
	s_mov_b32 s3, exec_lo
	s_delay_alu instid0(VALU_DEP_2) | instskip(NEXT) | instid1(VALU_DEP_1)
	v_ldexp_f64 v[14:15], v[7:8], 0xffffffe0
	v_floor_f64_e32 v[14:15], v[14:15]
	s_delay_alu instid0(VALU_DEP_1) | instskip(SKIP_1) | instid1(VALU_DEP_2)
	v_fma_f64 v[7:8], 0xc1f00000, v[14:15], v[7:8]
	v_cvt_i32_f64_e32 v14, v[14:15]
	v_cvt_u32_f64_e32 v7, v[7:8]
	s_delay_alu instid0(VALU_DEP_2) | instskip(NEXT) | instid1(VALU_DEP_2)
	v_cndmask_b32_e64 v13, -1, v14, s0
	v_cndmask_b32_e64 v12, -1, v7, s0
	v_mov_b32_e32 v7, 0
	v_mov_b32_e32 v8, 0
	s_delay_alu instid0(VALU_DEP_3)
	v_cmpx_lt_i64_e32 -1, v[12:13]
	s_cbranch_execz .LBB19_120
; %bb.109:
	v_mov_b32_e32 v7, 0
	v_mov_b32_e32 v8, 0x3ff00000
	s_mov_b32 s8, exec_lo
	v_cmpx_lt_i64_e32 0, v[12:13]
	s_cbranch_execz .LBB19_119
; %bb.110:
	s_mov_b32 s6, exec_lo
	v_cmpx_ne_u64_e32 1, v[12:13]
	s_xor_b32 s9, exec_lo, s6
	s_cbranch_execz .LBB19_116
; %bb.111:
	v_mov_b32_e32 v7, 0
	v_mov_b32_e32 v8, 0x7ff80000
	s_mov_b32 s10, exec_lo
	v_cmpx_gt_u64_e32 0x201, v[12:13]
	s_cbranch_execz .LBB19_115
; %bb.112:
	v_add_f64 v[10:11], v[10:11], v[10:11]
	v_lshlrev_b64 v[12:13], 1, v[12:13]
	v_mov_b32_e32 v14, 0
	v_mov_b32_e32 v15, 0x3ff00000
	s_mov_b64 s[6:7], 2
	s_mov_b32 s11, 0
	s_delay_alu instid0(VALU_DEP_4)
	v_dual_mov_b32 v7, v10 :: v_dual_mov_b32 v8, v11
	.p2align	6
.LBB19_113:                             ; =>This Inner Loop Header: Depth=1
	v_cvt_f64_u32_e32 v[16:17], s7
	v_cvt_f64_u32_e32 v[18:19], s6
	s_add_u32 s6, s6, 2
	s_addc_u32 s7, s7, 0
	s_delay_alu instid0(SALU_CYCLE_1) | instskip(NEXT) | instid1(VALU_DEP_1)
	v_cmp_ge_u64_e64 s0, s[6:7], v[12:13]
	s_or_b32 s11, s0, s11
	s_delay_alu instid0(VALU_DEP_3) | instskip(NEXT) | instid1(VALU_DEP_1)
	v_ldexp_f64 v[16:17], v[16:17], 32
	v_add_f64 v[16:17], v[16:17], v[18:19]
	s_delay_alu instid0(VALU_DEP_1) | instskip(SKIP_1) | instid1(VALU_DEP_1)
	v_mul_f64 v[14:15], v[14:15], v[16:17]
	v_dual_mov_b32 v17, v8 :: v_dual_mov_b32 v16, v7
	v_fma_f64 v[7:8], v[10:11], v[16:17], -v[14:15]
	v_dual_mov_b32 v14, v16 :: v_dual_mov_b32 v15, v17
	s_and_not1_b32 exec_lo, exec_lo, s11
	s_cbranch_execnz .LBB19_113
; %bb.114:
	s_or_b32 exec_lo, exec_lo, s11
.LBB19_115:
	s_delay_alu instid0(SALU_CYCLE_1)
	s_or_b32 exec_lo, exec_lo, s10
                                        ; implicit-def: $vgpr10_vgpr11
.LBB19_116:
	s_and_not1_saveexec_b32 s0, s9
; %bb.117:
	v_add_f64 v[7:8], v[10:11], v[10:11]
; %bb.118:
	s_or_b32 exec_lo, exec_lo, s0
.LBB19_119:
	s_delay_alu instid0(SALU_CYCLE_1)
	s_or_b32 exec_lo, exec_lo, s8
.LBB19_120:
	s_delay_alu instid0(SALU_CYCLE_1) | instskip(NEXT) | instid1(SALU_CYCLE_1)
	s_or_b32 exec_lo, exec_lo, s3
	s_or_b32 exec_lo, exec_lo, s1
	s_and_saveexec_b32 s0, vcc_lo
	s_delay_alu instid0(SALU_CYCLE_1)
	s_xor_b32 s0, exec_lo, s0
	s_cbranch_execz .LBB19_103
.LBB19_121:
	v_mov_b32_e32 v10, 0
	v_mov_b32_e32 v0, v26
	s_delay_alu instid0(VALU_DEP_2) | instskip(NEXT) | instid1(VALU_DEP_1)
	v_lshlrev_b64 v[9:10], 3, v[9:10]
	v_add_co_u32 v9, vcc_lo, s4, v9
	s_delay_alu instid0(VALU_DEP_2) | instskip(SKIP_2) | instid1(SALU_CYCLE_1)
	v_add_co_ci_u32_e32 v10, vcc_lo, s5, v10, vcc_lo
	global_store_b64 v[9:10], v[1:2], off
	s_or_b32 exec_lo, exec_lo, s0
	s_mov_b32 s0, exec_lo
	v_cmpx_gt_i32_e64 s12, v0
	s_cbranch_execz .LBB19_104
.LBB19_122:
	v_dual_mov_b32 v2, 0 :: v_dual_add_nc_u32 v1, s2, v0
	v_add_nc_u32_e32 v0, 0x100, v0
	s_delay_alu instid0(VALU_DEP_2) | instskip(NEXT) | instid1(VALU_DEP_1)
	v_lshlrev_b64 v[1:2], 3, v[1:2]
	v_add_co_u32 v1, vcc_lo, s4, v1
	s_delay_alu instid0(VALU_DEP_2) | instskip(SKIP_2) | instid1(SALU_CYCLE_1)
	v_add_co_ci_u32_e32 v2, vcc_lo, s5, v2, vcc_lo
	global_store_b64 v[1:2], v[3:4], off
	s_or_b32 exec_lo, exec_lo, s0
	s_mov_b32 s0, exec_lo
	v_cmpx_gt_i32_e64 s12, v0
	s_cbranch_execz .LBB19_105
.LBB19_123:
	v_dual_mov_b32 v2, 0 :: v_dual_add_nc_u32 v1, s2, v0
	v_add_nc_u32_e32 v0, 0x100, v0
	s_delay_alu instid0(VALU_DEP_2) | instskip(NEXT) | instid1(VALU_DEP_1)
	v_lshlrev_b64 v[1:2], 3, v[1:2]
	v_add_co_u32 v1, vcc_lo, s4, v1
	s_delay_alu instid0(VALU_DEP_2) | instskip(SKIP_2) | instid1(SALU_CYCLE_1)
	v_add_co_ci_u32_e32 v2, vcc_lo, s5, v2, vcc_lo
	global_store_b64 v[1:2], v[5:6], off
	s_or_b32 exec_lo, exec_lo, s0
	s_mov_b32 s0, exec_lo
	v_cmpx_gt_i32_e64 s12, v0
	s_cbranch_execnz .LBB19_106
	s_branch .LBB19_107
	.section	.rodata,"a",@progbits
	.p2align	6, 0x0
	.amdhsa_kernel _ZN2at6native29vectorized_elementwise_kernelILi2ENS0_13BinaryFunctorIdddZZZNS0_12_GLOBAL__N_132hermite_polynomial_h_kernel_cudaERNS_18TensorIteratorBaseEENKUlvE_clEvENKUlvE_clEvEUlddE_EESt5arrayIPcLm3EEEEviT0_T1_
		.amdhsa_group_segment_fixed_size 0
		.amdhsa_private_segment_fixed_size 0
		.amdhsa_kernarg_size 32
		.amdhsa_user_sgpr_count 15
		.amdhsa_user_sgpr_dispatch_ptr 0
		.amdhsa_user_sgpr_queue_ptr 0
		.amdhsa_user_sgpr_kernarg_segment_ptr 1
		.amdhsa_user_sgpr_dispatch_id 0
		.amdhsa_user_sgpr_private_segment_size 0
		.amdhsa_wavefront_size32 1
		.amdhsa_uses_dynamic_stack 0
		.amdhsa_enable_private_segment 0
		.amdhsa_system_sgpr_workgroup_id_x 1
		.amdhsa_system_sgpr_workgroup_id_y 0
		.amdhsa_system_sgpr_workgroup_id_z 0
		.amdhsa_system_sgpr_workgroup_info 0
		.amdhsa_system_vgpr_workitem_id 0
		.amdhsa_next_free_vgpr 29
		.amdhsa_next_free_sgpr 17
		.amdhsa_reserve_vcc 1
		.amdhsa_float_round_mode_32 0
		.amdhsa_float_round_mode_16_64 0
		.amdhsa_float_denorm_mode_32 3
		.amdhsa_float_denorm_mode_16_64 3
		.amdhsa_dx10_clamp 1
		.amdhsa_ieee_mode 1
		.amdhsa_fp16_overflow 0
		.amdhsa_workgroup_processor_mode 1
		.amdhsa_memory_ordered 1
		.amdhsa_forward_progress 0
		.amdhsa_shared_vgpr_count 0
		.amdhsa_exception_fp_ieee_invalid_op 0
		.amdhsa_exception_fp_denorm_src 0
		.amdhsa_exception_fp_ieee_div_zero 0
		.amdhsa_exception_fp_ieee_overflow 0
		.amdhsa_exception_fp_ieee_underflow 0
		.amdhsa_exception_fp_ieee_inexact 0
		.amdhsa_exception_int_div_zero 0
	.end_amdhsa_kernel
	.section	.text._ZN2at6native29vectorized_elementwise_kernelILi2ENS0_13BinaryFunctorIdddZZZNS0_12_GLOBAL__N_132hermite_polynomial_h_kernel_cudaERNS_18TensorIteratorBaseEENKUlvE_clEvENKUlvE_clEvEUlddE_EESt5arrayIPcLm3EEEEviT0_T1_,"axG",@progbits,_ZN2at6native29vectorized_elementwise_kernelILi2ENS0_13BinaryFunctorIdddZZZNS0_12_GLOBAL__N_132hermite_polynomial_h_kernel_cudaERNS_18TensorIteratorBaseEENKUlvE_clEvENKUlvE_clEvEUlddE_EESt5arrayIPcLm3EEEEviT0_T1_,comdat
.Lfunc_end19:
	.size	_ZN2at6native29vectorized_elementwise_kernelILi2ENS0_13BinaryFunctorIdddZZZNS0_12_GLOBAL__N_132hermite_polynomial_h_kernel_cudaERNS_18TensorIteratorBaseEENKUlvE_clEvENKUlvE_clEvEUlddE_EESt5arrayIPcLm3EEEEviT0_T1_, .Lfunc_end19-_ZN2at6native29vectorized_elementwise_kernelILi2ENS0_13BinaryFunctorIdddZZZNS0_12_GLOBAL__N_132hermite_polynomial_h_kernel_cudaERNS_18TensorIteratorBaseEENKUlvE_clEvENKUlvE_clEvEUlddE_EESt5arrayIPcLm3EEEEviT0_T1_
                                        ; -- End function
	.section	.AMDGPU.csdata,"",@progbits
; Kernel info:
; codeLenInByte = 4136
; NumSgprs: 19
; NumVgprs: 29
; ScratchSize: 0
; MemoryBound: 0
; FloatMode: 240
; IeeeMode: 1
; LDSByteSize: 0 bytes/workgroup (compile time only)
; SGPRBlocks: 2
; VGPRBlocks: 3
; NumSGPRsForWavesPerEU: 19
; NumVGPRsForWavesPerEU: 29
; Occupancy: 16
; WaveLimiterHint : 1
; COMPUTE_PGM_RSRC2:SCRATCH_EN: 0
; COMPUTE_PGM_RSRC2:USER_SGPR: 15
; COMPUTE_PGM_RSRC2:TRAP_HANDLER: 0
; COMPUTE_PGM_RSRC2:TGID_X_EN: 1
; COMPUTE_PGM_RSRC2:TGID_Y_EN: 0
; COMPUTE_PGM_RSRC2:TGID_Z_EN: 0
; COMPUTE_PGM_RSRC2:TIDIG_COMP_CNT: 0
	.section	.text._ZN2at6native27unrolled_elementwise_kernelINS0_13BinaryFunctorIdddZZZNS0_12_GLOBAL__N_132hermite_polynomial_h_kernel_cudaERNS_18TensorIteratorBaseEENKUlvE_clEvENKUlvE_clEvEUlddE_EESt5arrayIPcLm3EELi4E23TrivialOffsetCalculatorILi2EjESD_ILi1EjENS0_6memory15LoadWithoutCastENSG_16StoreWithoutCastEEEviT_T0_T2_T3_T4_T5_,"axG",@progbits,_ZN2at6native27unrolled_elementwise_kernelINS0_13BinaryFunctorIdddZZZNS0_12_GLOBAL__N_132hermite_polynomial_h_kernel_cudaERNS_18TensorIteratorBaseEENKUlvE_clEvENKUlvE_clEvEUlddE_EESt5arrayIPcLm3EELi4E23TrivialOffsetCalculatorILi2EjESD_ILi1EjENS0_6memory15LoadWithoutCastENSG_16StoreWithoutCastEEEviT_T0_T2_T3_T4_T5_,comdat
	.globl	_ZN2at6native27unrolled_elementwise_kernelINS0_13BinaryFunctorIdddZZZNS0_12_GLOBAL__N_132hermite_polynomial_h_kernel_cudaERNS_18TensorIteratorBaseEENKUlvE_clEvENKUlvE_clEvEUlddE_EESt5arrayIPcLm3EELi4E23TrivialOffsetCalculatorILi2EjESD_ILi1EjENS0_6memory15LoadWithoutCastENSG_16StoreWithoutCastEEEviT_T0_T2_T3_T4_T5_ ; -- Begin function _ZN2at6native27unrolled_elementwise_kernelINS0_13BinaryFunctorIdddZZZNS0_12_GLOBAL__N_132hermite_polynomial_h_kernel_cudaERNS_18TensorIteratorBaseEENKUlvE_clEvENKUlvE_clEvEUlddE_EESt5arrayIPcLm3EELi4E23TrivialOffsetCalculatorILi2EjESD_ILi1EjENS0_6memory15LoadWithoutCastENSG_16StoreWithoutCastEEEviT_T0_T2_T3_T4_T5_
	.p2align	8
	.type	_ZN2at6native27unrolled_elementwise_kernelINS0_13BinaryFunctorIdddZZZNS0_12_GLOBAL__N_132hermite_polynomial_h_kernel_cudaERNS_18TensorIteratorBaseEENKUlvE_clEvENKUlvE_clEvEUlddE_EESt5arrayIPcLm3EELi4E23TrivialOffsetCalculatorILi2EjESD_ILi1EjENS0_6memory15LoadWithoutCastENSG_16StoreWithoutCastEEEviT_T0_T2_T3_T4_T5_,@function
_ZN2at6native27unrolled_elementwise_kernelINS0_13BinaryFunctorIdddZZZNS0_12_GLOBAL__N_132hermite_polynomial_h_kernel_cudaERNS_18TensorIteratorBaseEENKUlvE_clEvENKUlvE_clEvEUlddE_EESt5arrayIPcLm3EELi4E23TrivialOffsetCalculatorILi2EjESD_ILi1EjENS0_6memory15LoadWithoutCastENSG_16StoreWithoutCastEEEviT_T0_T2_T3_T4_T5_: ; @_ZN2at6native27unrolled_elementwise_kernelINS0_13BinaryFunctorIdddZZZNS0_12_GLOBAL__N_132hermite_polynomial_h_kernel_cudaERNS_18TensorIteratorBaseEENKUlvE_clEvENKUlvE_clEvEUlddE_EESt5arrayIPcLm3EELi4E23TrivialOffsetCalculatorILi2EjESD_ILi1EjENS0_6memory15LoadWithoutCastENSG_16StoreWithoutCastEEEviT_T0_T2_T3_T4_T5_
; %bb.0:
	s_clause 0x2
	s_load_b32 s8, s[0:1], 0x0
	s_load_b128 s[4:7], s[0:1], 0x8
	s_load_b64 s[2:3], s[0:1], 0x18
	v_dual_mov_b32 v18, 0 :: v_dual_mov_b32 v1, v0
	v_mov_b32_e32 v19, 0
	s_lshl_b32 s1, s15, 10
	v_or_b32_e32 v26, 0x100, v0
	v_or_b32_e32 v9, s1, v0
	s_delay_alu instid0(VALU_DEP_3) | instskip(SKIP_3) | instid1(SALU_CYCLE_1)
	v_dual_mov_b32 v23, v19 :: v_dual_mov_b32 v22, v18
	v_dual_mov_b32 v25, v19 :: v_dual_mov_b32 v24, v18
	s_waitcnt lgkmcnt(0)
	s_sub_i32 s8, s8, s1
	v_cmp_gt_i32_e32 vcc_lo, s8, v0
	s_and_saveexec_b32 s9, vcc_lo
	s_cbranch_execz .LBB20_2
; %bb.1:
	v_mov_b32_e32 v10, 0
	s_delay_alu instid0(VALU_DEP_1) | instskip(NEXT) | instid1(VALU_DEP_1)
	v_lshlrev_b64 v[1:2], 3, v[9:10]
	v_add_co_u32 v3, s0, s6, v1
	s_delay_alu instid0(VALU_DEP_1) | instskip(SKIP_1) | instid1(VALU_DEP_1)
	v_add_co_ci_u32_e64 v4, s0, s7, v2, s0
	v_add_co_u32 v1, s0, s2, v1
	v_add_co_ci_u32_e64 v2, s0, s3, v2, s0
	global_load_b64 v[22:23], v[3:4], off
	global_load_b64 v[24:25], v[1:2], off
	v_or_b32_e32 v1, 0x100, v0
.LBB20_2:
	s_or_b32 exec_lo, exec_lo, s9
	v_dual_mov_b32 v21, v19 :: v_dual_mov_b32 v20, v18
	s_mov_b32 s9, exec_lo
	s_delay_alu instid0(VALU_DEP_2)
	v_cmpx_gt_i32_e64 s8, v1
	s_cbranch_execz .LBB20_4
; %bb.3:
	v_dual_mov_b32 v3, 0 :: v_dual_add_nc_u32 v2, s1, v1
	v_add_nc_u32_e32 v1, 0x100, v1
	s_delay_alu instid0(VALU_DEP_2) | instskip(NEXT) | instid1(VALU_DEP_1)
	v_lshlrev_b64 v[2:3], 3, v[2:3]
	v_add_co_u32 v4, s0, s6, v2
	s_delay_alu instid0(VALU_DEP_1) | instskip(SKIP_1) | instid1(VALU_DEP_1)
	v_add_co_ci_u32_e64 v5, s0, s7, v3, s0
	v_add_co_u32 v2, s0, s2, v2
	v_add_co_ci_u32_e64 v3, s0, s3, v3, s0
	global_load_b64 v[18:19], v[4:5], off
	global_load_b64 v[20:21], v[2:3], off
.LBB20_4:
	s_or_b32 exec_lo, exec_lo, s9
	v_mov_b32_e32 v10, 0
	v_mov_b32_e32 v11, 0
	s_mov_b32 s9, exec_lo
	s_delay_alu instid0(VALU_DEP_1)
	v_dual_mov_b32 v15, v11 :: v_dual_mov_b32 v14, v10
	v_dual_mov_b32 v17, v11 :: v_dual_mov_b32 v16, v10
	v_cmpx_gt_i32_e64 s8, v1
	s_cbranch_execz .LBB20_6
; %bb.5:
	v_dual_mov_b32 v3, 0 :: v_dual_add_nc_u32 v2, s1, v1
	v_add_nc_u32_e32 v1, 0x100, v1
	s_delay_alu instid0(VALU_DEP_2) | instskip(NEXT) | instid1(VALU_DEP_1)
	v_lshlrev_b64 v[2:3], 3, v[2:3]
	v_add_co_u32 v4, s0, s6, v2
	s_delay_alu instid0(VALU_DEP_1) | instskip(SKIP_1) | instid1(VALU_DEP_1)
	v_add_co_ci_u32_e64 v5, s0, s7, v3, s0
	v_add_co_u32 v2, s0, s2, v2
	v_add_co_ci_u32_e64 v3, s0, s3, v3, s0
	global_load_b64 v[14:15], v[4:5], off
	global_load_b64 v[16:17], v[2:3], off
.LBB20_6:
	s_or_b32 exec_lo, exec_lo, s9
	v_dual_mov_b32 v13, v11 :: v_dual_mov_b32 v12, v10
	s_mov_b32 s9, exec_lo
	v_cmpx_gt_i32_e64 s8, v1
	s_cbranch_execnz .LBB20_9
; %bb.7:
	s_or_b32 exec_lo, exec_lo, s9
                                        ; implicit-def: $vgpr1_vgpr2_vgpr3_vgpr4_vgpr5_vgpr6_vgpr7_vgpr8
	s_and_saveexec_b32 s6, vcc_lo
	s_cbranch_execnz .LBB20_10
.LBB20_8:
	s_or_b32 exec_lo, exec_lo, s6
	s_delay_alu instid0(SALU_CYCLE_1)
	s_mov_b32 s6, exec_lo
	v_cmpx_gt_i32_e64 s8, v26
	s_cbranch_execnz .LBB20_23
	s_branch .LBB20_36
.LBB20_9:
	v_dual_mov_b32 v2, 0 :: v_dual_add_nc_u32 v1, s1, v1
	s_delay_alu instid0(VALU_DEP_1) | instskip(NEXT) | instid1(VALU_DEP_1)
	v_lshlrev_b64 v[1:2], 3, v[1:2]
	v_add_co_u32 v3, s0, s6, v1
	s_delay_alu instid0(VALU_DEP_1) | instskip(SKIP_1) | instid1(VALU_DEP_1)
	v_add_co_ci_u32_e64 v4, s0, s7, v2, s0
	v_add_co_u32 v1, s0, s2, v1
	v_add_co_ci_u32_e64 v2, s0, s3, v2, s0
	global_load_b64 v[10:11], v[3:4], off
	global_load_b64 v[12:13], v[1:2], off
	s_or_b32 exec_lo, exec_lo, s9
                                        ; implicit-def: $vgpr1_vgpr2_vgpr3_vgpr4_vgpr5_vgpr6_vgpr7_vgpr8
	s_and_saveexec_b32 s6, vcc_lo
	s_cbranch_execz .LBB20_8
.LBB20_10:
	s_waitcnt vmcnt(0)
	v_trunc_f64_e32 v[1:2], v[24:25]
	v_cmp_class_f64_e64 s0, v[24:25], 0x1f8
	s_mov_b32 s7, exec_lo
	s_delay_alu instid0(VALU_DEP_2) | instskip(NEXT) | instid1(VALU_DEP_1)
	v_ldexp_f64 v[3:4], v[1:2], 0xffffffe0
	v_floor_f64_e32 v[3:4], v[3:4]
	s_delay_alu instid0(VALU_DEP_1) | instskip(SKIP_1) | instid1(VALU_DEP_2)
	v_fma_f64 v[1:2], 0xc1f00000, v[3:4], v[1:2]
	v_cvt_i32_f64_e32 v3, v[3:4]
	v_cvt_u32_f64_e32 v1, v[1:2]
	s_delay_alu instid0(VALU_DEP_2) | instskip(NEXT) | instid1(VALU_DEP_2)
	v_cndmask_b32_e64 v4, -1, v3, s0
	v_cndmask_b32_e64 v3, -1, v1, s0
	v_mov_b32_e32 v1, 0
	v_mov_b32_e32 v2, 0
	s_delay_alu instid0(VALU_DEP_3)
	v_cmpx_lt_i64_e32 -1, v[3:4]
	s_cbranch_execz .LBB20_22
; %bb.11:
	v_mov_b32_e32 v1, 0
	v_mov_b32_e32 v2, 0x3ff00000
	s_mov_b32 s9, exec_lo
	v_cmpx_lt_i64_e32 0, v[3:4]
	s_cbranch_execz .LBB20_21
; %bb.12:
                                        ; implicit-def: $vgpr1_vgpr2
	s_mov_b32 s2, exec_lo
	v_cmpx_ne_u64_e32 1, v[3:4]
	s_xor_b32 s10, exec_lo, s2
	s_cbranch_execz .LBB20_18
; %bb.13:
	v_mov_b32_e32 v1, 0
	v_mov_b32_e32 v2, 0x7ff80000
	s_mov_b32 s11, exec_lo
	v_cmpx_gt_u64_e32 0x201, v[3:4]
	s_cbranch_execz .LBB20_17
; %bb.14:
	v_add_f64 v[5:6], v[22:23], v[22:23]
	v_mov_b32_e32 v7, 0
	v_lshlrev_b64 v[3:4], 1, v[3:4]
	v_mov_b32_e32 v8, 0x3ff00000
	s_mov_b64 s[2:3], 2
	s_mov_b32 s12, 0
	s_delay_alu instid0(VALU_DEP_4)
	v_dual_mov_b32 v1, v5 :: v_dual_mov_b32 v2, v6
	.p2align	6
.LBB20_15:                              ; =>This Inner Loop Header: Depth=1
	v_cvt_f64_u32_e32 v[22:23], s3
	v_cvt_f64_u32_e32 v[24:25], s2
	s_add_u32 s2, s2, 2
	s_addc_u32 s3, s3, 0
	s_delay_alu instid0(SALU_CYCLE_1) | instskip(NEXT) | instid1(VALU_DEP_1)
	v_cmp_ge_u64_e64 s0, s[2:3], v[3:4]
	s_or_b32 s12, s0, s12
	s_delay_alu instid0(VALU_DEP_3) | instskip(NEXT) | instid1(VALU_DEP_1)
	v_ldexp_f64 v[22:23], v[22:23], 32
	v_add_f64 v[22:23], v[22:23], v[24:25]
	s_delay_alu instid0(VALU_DEP_1) | instskip(SKIP_1) | instid1(VALU_DEP_1)
	v_mul_f64 v[7:8], v[7:8], v[22:23]
	v_dual_mov_b32 v23, v2 :: v_dual_mov_b32 v22, v1
	v_fma_f64 v[1:2], v[5:6], v[22:23], -v[7:8]
	v_dual_mov_b32 v7, v22 :: v_dual_mov_b32 v8, v23
	s_and_not1_b32 exec_lo, exec_lo, s12
	s_cbranch_execnz .LBB20_15
; %bb.16:
	s_or_b32 exec_lo, exec_lo, s12
.LBB20_17:
	s_delay_alu instid0(SALU_CYCLE_1)
	s_or_b32 exec_lo, exec_lo, s11
                                        ; implicit-def: $vgpr22_vgpr23
.LBB20_18:
	s_and_not1_saveexec_b32 s0, s10
; %bb.19:
	v_add_f64 v[1:2], v[22:23], v[22:23]
; %bb.20:
	s_or_b32 exec_lo, exec_lo, s0
.LBB20_21:
	s_delay_alu instid0(SALU_CYCLE_1)
	s_or_b32 exec_lo, exec_lo, s9
.LBB20_22:
	s_delay_alu instid0(SALU_CYCLE_1) | instskip(NEXT) | instid1(SALU_CYCLE_1)
	s_or_b32 exec_lo, exec_lo, s7
	s_or_b32 exec_lo, exec_lo, s6
	s_delay_alu instid0(SALU_CYCLE_1)
	s_mov_b32 s6, exec_lo
	v_cmpx_gt_i32_e64 s8, v26
	s_cbranch_execz .LBB20_36
.LBB20_23:
	s_waitcnt vmcnt(0)
	v_trunc_f64_e32 v[3:4], v[20:21]
	v_cmp_class_f64_e64 s0, v[20:21], 0x1f8
	s_mov_b32 s7, exec_lo
	s_delay_alu instid0(VALU_DEP_2) | instskip(NEXT) | instid1(VALU_DEP_1)
	v_ldexp_f64 v[22:23], v[3:4], 0xffffffe0
	v_floor_f64_e32 v[22:23], v[22:23]
	s_delay_alu instid0(VALU_DEP_1) | instskip(SKIP_1) | instid1(VALU_DEP_2)
	v_fma_f64 v[3:4], 0xc1f00000, v[22:23], v[3:4]
	v_cvt_i32_f64_e32 v22, v[22:23]
	v_cvt_u32_f64_e32 v3, v[3:4]
	s_delay_alu instid0(VALU_DEP_2) | instskip(NEXT) | instid1(VALU_DEP_2)
	v_cndmask_b32_e64 v21, -1, v22, s0
	v_cndmask_b32_e64 v20, -1, v3, s0
	v_mov_b32_e32 v3, 0
	v_mov_b32_e32 v4, 0
	s_delay_alu instid0(VALU_DEP_3)
	v_cmpx_lt_i64_e32 -1, v[20:21]
	s_cbranch_execz .LBB20_35
; %bb.24:
	v_mov_b32_e32 v3, 0
	v_mov_b32_e32 v4, 0x3ff00000
	s_mov_b32 s9, exec_lo
	v_cmpx_lt_i64_e32 0, v[20:21]
	s_cbranch_execz .LBB20_34
; %bb.25:
	s_mov_b32 s2, exec_lo
	v_cmpx_ne_u64_e32 1, v[20:21]
	s_xor_b32 s10, exec_lo, s2
	s_cbranch_execz .LBB20_31
; %bb.26:
	v_mov_b32_e32 v3, 0
	v_mov_b32_e32 v4, 0x7ff80000
	s_mov_b32 s11, exec_lo
	v_cmpx_gt_u64_e32 0x201, v[20:21]
	s_cbranch_execz .LBB20_30
; %bb.27:
	v_add_f64 v[18:19], v[18:19], v[18:19]
	v_lshlrev_b64 v[20:21], 1, v[20:21]
	v_mov_b32_e32 v22, 0
	v_mov_b32_e32 v23, 0x3ff00000
	s_mov_b64 s[2:3], 2
	s_mov_b32 s12, 0
	s_delay_alu instid0(VALU_DEP_4)
	v_dual_mov_b32 v3, v18 :: v_dual_mov_b32 v4, v19
	.p2align	6
.LBB20_28:                              ; =>This Inner Loop Header: Depth=1
	v_cvt_f64_u32_e32 v[24:25], s3
	v_cvt_f64_u32_e32 v[27:28], s2
	s_add_u32 s2, s2, 2
	s_addc_u32 s3, s3, 0
	s_delay_alu instid0(SALU_CYCLE_1) | instskip(NEXT) | instid1(VALU_DEP_1)
	v_cmp_ge_u64_e64 s0, s[2:3], v[20:21]
	s_or_b32 s12, s0, s12
	s_delay_alu instid0(VALU_DEP_3) | instskip(NEXT) | instid1(VALU_DEP_1)
	v_ldexp_f64 v[24:25], v[24:25], 32
	v_add_f64 v[24:25], v[24:25], v[27:28]
	s_delay_alu instid0(VALU_DEP_1) | instskip(SKIP_1) | instid1(VALU_DEP_1)
	v_mul_f64 v[22:23], v[22:23], v[24:25]
	v_dual_mov_b32 v25, v4 :: v_dual_mov_b32 v24, v3
	v_fma_f64 v[3:4], v[18:19], v[24:25], -v[22:23]
	v_dual_mov_b32 v22, v24 :: v_dual_mov_b32 v23, v25
	s_and_not1_b32 exec_lo, exec_lo, s12
	s_cbranch_execnz .LBB20_28
; %bb.29:
	s_or_b32 exec_lo, exec_lo, s12
.LBB20_30:
	s_delay_alu instid0(SALU_CYCLE_1)
	s_or_b32 exec_lo, exec_lo, s11
                                        ; implicit-def: $vgpr18_vgpr19
.LBB20_31:
	s_and_not1_saveexec_b32 s0, s10
; %bb.32:
	v_add_f64 v[3:4], v[18:19], v[18:19]
; %bb.33:
	s_or_b32 exec_lo, exec_lo, s0
.LBB20_34:
	s_delay_alu instid0(SALU_CYCLE_1)
	s_or_b32 exec_lo, exec_lo, s9
.LBB20_35:
	s_delay_alu instid0(SALU_CYCLE_1)
	s_or_b32 exec_lo, exec_lo, s7
.LBB20_36:
	s_delay_alu instid0(SALU_CYCLE_1) | instskip(SKIP_3) | instid1(VALU_DEP_1)
	s_or_b32 exec_lo, exec_lo, s6
	s_waitcnt vmcnt(1)
	v_or_b32_e32 v18, 0x200, v0
	s_mov_b32 s6, exec_lo
	v_cmpx_gt_i32_e64 s8, v18
	s_cbranch_execz .LBB20_50
; %bb.37:
	s_waitcnt vmcnt(0)
	v_trunc_f64_e32 v[5:6], v[16:17]
	v_cmp_class_f64_e64 s0, v[16:17], 0x1f8
	s_mov_b32 s7, exec_lo
	s_delay_alu instid0(VALU_DEP_2) | instskip(NEXT) | instid1(VALU_DEP_1)
	v_ldexp_f64 v[18:19], v[5:6], 0xffffffe0
	v_floor_f64_e32 v[18:19], v[18:19]
	s_delay_alu instid0(VALU_DEP_1) | instskip(SKIP_1) | instid1(VALU_DEP_2)
	v_fma_f64 v[5:6], 0xc1f00000, v[18:19], v[5:6]
	v_cvt_i32_f64_e32 v18, v[18:19]
	v_cvt_u32_f64_e32 v5, v[5:6]
	s_delay_alu instid0(VALU_DEP_2) | instskip(NEXT) | instid1(VALU_DEP_2)
	v_cndmask_b32_e64 v17, -1, v18, s0
	v_cndmask_b32_e64 v16, -1, v5, s0
	v_mov_b32_e32 v5, 0
	v_mov_b32_e32 v6, 0
	s_delay_alu instid0(VALU_DEP_3)
	v_cmpx_lt_i64_e32 -1, v[16:17]
	s_cbranch_execz .LBB20_49
; %bb.38:
	v_mov_b32_e32 v5, 0
	v_mov_b32_e32 v6, 0x3ff00000
	s_mov_b32 s9, exec_lo
	v_cmpx_lt_i64_e32 0, v[16:17]
	s_cbranch_execz .LBB20_48
; %bb.39:
	s_mov_b32 s2, exec_lo
	v_cmpx_ne_u64_e32 1, v[16:17]
	s_xor_b32 s10, exec_lo, s2
	s_cbranch_execz .LBB20_45
; %bb.40:
	v_mov_b32_e32 v5, 0
	v_mov_b32_e32 v6, 0x7ff80000
	s_mov_b32 s11, exec_lo
	v_cmpx_gt_u64_e32 0x201, v[16:17]
	s_cbranch_execz .LBB20_44
; %bb.41:
	v_add_f64 v[14:15], v[14:15], v[14:15]
	v_lshlrev_b64 v[16:17], 1, v[16:17]
	v_mov_b32_e32 v18, 0
	v_mov_b32_e32 v19, 0x3ff00000
	s_mov_b64 s[2:3], 2
	s_mov_b32 s12, 0
	s_delay_alu instid0(VALU_DEP_4)
	v_dual_mov_b32 v5, v14 :: v_dual_mov_b32 v6, v15
	.p2align	6
.LBB20_42:                              ; =>This Inner Loop Header: Depth=1
	v_cvt_f64_u32_e32 v[20:21], s3
	v_cvt_f64_u32_e32 v[22:23], s2
	s_add_u32 s2, s2, 2
	s_addc_u32 s3, s3, 0
	s_delay_alu instid0(SALU_CYCLE_1) | instskip(NEXT) | instid1(VALU_DEP_1)
	v_cmp_ge_u64_e64 s0, s[2:3], v[16:17]
	s_or_b32 s12, s0, s12
	s_delay_alu instid0(VALU_DEP_3) | instskip(NEXT) | instid1(VALU_DEP_1)
	v_ldexp_f64 v[20:21], v[20:21], 32
	v_add_f64 v[20:21], v[20:21], v[22:23]
	s_delay_alu instid0(VALU_DEP_1) | instskip(SKIP_1) | instid1(VALU_DEP_1)
	v_mul_f64 v[18:19], v[18:19], v[20:21]
	v_dual_mov_b32 v21, v6 :: v_dual_mov_b32 v20, v5
	v_fma_f64 v[5:6], v[14:15], v[20:21], -v[18:19]
	v_dual_mov_b32 v18, v20 :: v_dual_mov_b32 v19, v21
	s_and_not1_b32 exec_lo, exec_lo, s12
	s_cbranch_execnz .LBB20_42
; %bb.43:
	s_or_b32 exec_lo, exec_lo, s12
.LBB20_44:
	s_delay_alu instid0(SALU_CYCLE_1)
	s_or_b32 exec_lo, exec_lo, s11
                                        ; implicit-def: $vgpr14_vgpr15
.LBB20_45:
	s_and_not1_saveexec_b32 s0, s10
; %bb.46:
	v_add_f64 v[5:6], v[14:15], v[14:15]
; %bb.47:
	s_or_b32 exec_lo, exec_lo, s0
.LBB20_48:
	s_delay_alu instid0(SALU_CYCLE_1)
	s_or_b32 exec_lo, exec_lo, s9
.LBB20_49:
	s_delay_alu instid0(SALU_CYCLE_1)
	s_or_b32 exec_lo, exec_lo, s7
.LBB20_50:
	s_delay_alu instid0(SALU_CYCLE_1) | instskip(SKIP_2) | instid1(VALU_DEP_1)
	s_or_b32 exec_lo, exec_lo, s6
	v_or_b32_e32 v14, 0x300, v0
	s_mov_b32 s6, exec_lo
	v_cmpx_gt_i32_e64 s8, v14
	s_cbranch_execnz .LBB20_56
; %bb.51:
	s_or_b32 exec_lo, exec_lo, s6
	s_and_saveexec_b32 s0, vcc_lo
	s_delay_alu instid0(SALU_CYCLE_1)
	s_xor_b32 s0, exec_lo, s0
	s_cbranch_execnz .LBB20_69
.LBB20_52:
	s_or_b32 exec_lo, exec_lo, s0
	s_delay_alu instid0(SALU_CYCLE_1)
	s_mov_b32 s0, exec_lo
	v_cmpx_gt_i32_e64 s8, v0
	s_cbranch_execnz .LBB20_70
.LBB20_53:
	s_or_b32 exec_lo, exec_lo, s0
	s_delay_alu instid0(SALU_CYCLE_1)
	s_mov_b32 s0, exec_lo
	v_cmpx_gt_i32_e64 s8, v0
	s_cbranch_execnz .LBB20_71
.LBB20_54:
	s_or_b32 exec_lo, exec_lo, s0
	s_delay_alu instid0(SALU_CYCLE_1)
	s_mov_b32 s0, exec_lo
	v_cmpx_gt_i32_e64 s8, v0
	s_cbranch_execnz .LBB20_72
.LBB20_55:
	s_nop 0
	s_sendmsg sendmsg(MSG_DEALLOC_VGPRS)
	s_endpgm
.LBB20_56:
	s_waitcnt vmcnt(0)
	v_trunc_f64_e32 v[7:8], v[12:13]
	v_cmp_class_f64_e64 s0, v[12:13], 0x1f8
	s_mov_b32 s7, exec_lo
	s_delay_alu instid0(VALU_DEP_2) | instskip(NEXT) | instid1(VALU_DEP_1)
	v_ldexp_f64 v[14:15], v[7:8], 0xffffffe0
	v_floor_f64_e32 v[14:15], v[14:15]
	s_delay_alu instid0(VALU_DEP_1) | instskip(SKIP_1) | instid1(VALU_DEP_2)
	v_fma_f64 v[7:8], 0xc1f00000, v[14:15], v[7:8]
	v_cvt_i32_f64_e32 v14, v[14:15]
	v_cvt_u32_f64_e32 v7, v[7:8]
	s_delay_alu instid0(VALU_DEP_2) | instskip(NEXT) | instid1(VALU_DEP_2)
	v_cndmask_b32_e64 v13, -1, v14, s0
	v_cndmask_b32_e64 v12, -1, v7, s0
	v_mov_b32_e32 v7, 0
	v_mov_b32_e32 v8, 0
	s_delay_alu instid0(VALU_DEP_3)
	v_cmpx_lt_i64_e32 -1, v[12:13]
	s_cbranch_execz .LBB20_68
; %bb.57:
	v_mov_b32_e32 v7, 0
	v_mov_b32_e32 v8, 0x3ff00000
	s_mov_b32 s9, exec_lo
	v_cmpx_lt_i64_e32 0, v[12:13]
	s_cbranch_execz .LBB20_67
; %bb.58:
	s_mov_b32 s2, exec_lo
	v_cmpx_ne_u64_e32 1, v[12:13]
	s_xor_b32 s10, exec_lo, s2
	s_cbranch_execz .LBB20_64
; %bb.59:
	v_mov_b32_e32 v7, 0
	v_mov_b32_e32 v8, 0x7ff80000
	s_mov_b32 s11, exec_lo
	v_cmpx_gt_u64_e32 0x201, v[12:13]
	s_cbranch_execz .LBB20_63
; %bb.60:
	v_add_f64 v[10:11], v[10:11], v[10:11]
	v_lshlrev_b64 v[12:13], 1, v[12:13]
	v_mov_b32_e32 v14, 0
	v_mov_b32_e32 v15, 0x3ff00000
	s_mov_b64 s[2:3], 2
	s_mov_b32 s12, 0
	s_delay_alu instid0(VALU_DEP_4)
	v_dual_mov_b32 v7, v10 :: v_dual_mov_b32 v8, v11
	.p2align	6
.LBB20_61:                              ; =>This Inner Loop Header: Depth=1
	v_cvt_f64_u32_e32 v[16:17], s3
	v_cvt_f64_u32_e32 v[18:19], s2
	s_add_u32 s2, s2, 2
	s_addc_u32 s3, s3, 0
	s_delay_alu instid0(SALU_CYCLE_1) | instskip(NEXT) | instid1(VALU_DEP_1)
	v_cmp_ge_u64_e64 s0, s[2:3], v[12:13]
	s_or_b32 s12, s0, s12
	s_delay_alu instid0(VALU_DEP_3) | instskip(NEXT) | instid1(VALU_DEP_1)
	v_ldexp_f64 v[16:17], v[16:17], 32
	v_add_f64 v[16:17], v[16:17], v[18:19]
	s_delay_alu instid0(VALU_DEP_1) | instskip(SKIP_1) | instid1(VALU_DEP_1)
	v_mul_f64 v[14:15], v[14:15], v[16:17]
	v_dual_mov_b32 v17, v8 :: v_dual_mov_b32 v16, v7
	v_fma_f64 v[7:8], v[10:11], v[16:17], -v[14:15]
	v_dual_mov_b32 v14, v16 :: v_dual_mov_b32 v15, v17
	s_and_not1_b32 exec_lo, exec_lo, s12
	s_cbranch_execnz .LBB20_61
; %bb.62:
	s_or_b32 exec_lo, exec_lo, s12
.LBB20_63:
	s_delay_alu instid0(SALU_CYCLE_1)
	s_or_b32 exec_lo, exec_lo, s11
                                        ; implicit-def: $vgpr10_vgpr11
.LBB20_64:
	s_and_not1_saveexec_b32 s0, s10
; %bb.65:
	v_add_f64 v[7:8], v[10:11], v[10:11]
; %bb.66:
	s_or_b32 exec_lo, exec_lo, s0
.LBB20_67:
	s_delay_alu instid0(SALU_CYCLE_1)
	s_or_b32 exec_lo, exec_lo, s9
.LBB20_68:
	s_delay_alu instid0(SALU_CYCLE_1) | instskip(NEXT) | instid1(SALU_CYCLE_1)
	s_or_b32 exec_lo, exec_lo, s7
	s_or_b32 exec_lo, exec_lo, s6
	s_and_saveexec_b32 s0, vcc_lo
	s_delay_alu instid0(SALU_CYCLE_1)
	s_xor_b32 s0, exec_lo, s0
	s_cbranch_execz .LBB20_52
.LBB20_69:
	v_mov_b32_e32 v10, 0
	v_mov_b32_e32 v0, v26
	s_delay_alu instid0(VALU_DEP_2) | instskip(NEXT) | instid1(VALU_DEP_1)
	v_lshlrev_b64 v[9:10], 3, v[9:10]
	v_add_co_u32 v9, vcc_lo, s4, v9
	s_delay_alu instid0(VALU_DEP_2) | instskip(SKIP_2) | instid1(SALU_CYCLE_1)
	v_add_co_ci_u32_e32 v10, vcc_lo, s5, v10, vcc_lo
	global_store_b64 v[9:10], v[1:2], off
	s_or_b32 exec_lo, exec_lo, s0
	s_mov_b32 s0, exec_lo
	v_cmpx_gt_i32_e64 s8, v0
	s_cbranch_execz .LBB20_53
.LBB20_70:
	v_dual_mov_b32 v2, 0 :: v_dual_add_nc_u32 v1, s1, v0
	v_add_nc_u32_e32 v0, 0x100, v0
	s_delay_alu instid0(VALU_DEP_2) | instskip(NEXT) | instid1(VALU_DEP_1)
	v_lshlrev_b64 v[1:2], 3, v[1:2]
	v_add_co_u32 v1, vcc_lo, s4, v1
	s_delay_alu instid0(VALU_DEP_2) | instskip(SKIP_2) | instid1(SALU_CYCLE_1)
	v_add_co_ci_u32_e32 v2, vcc_lo, s5, v2, vcc_lo
	global_store_b64 v[1:2], v[3:4], off
	s_or_b32 exec_lo, exec_lo, s0
	s_mov_b32 s0, exec_lo
	v_cmpx_gt_i32_e64 s8, v0
	s_cbranch_execz .LBB20_54
.LBB20_71:
	v_dual_mov_b32 v2, 0 :: v_dual_add_nc_u32 v1, s1, v0
	v_add_nc_u32_e32 v0, 0x100, v0
	s_delay_alu instid0(VALU_DEP_2) | instskip(NEXT) | instid1(VALU_DEP_1)
	v_lshlrev_b64 v[1:2], 3, v[1:2]
	v_add_co_u32 v1, vcc_lo, s4, v1
	s_delay_alu instid0(VALU_DEP_2) | instskip(SKIP_2) | instid1(SALU_CYCLE_1)
	v_add_co_ci_u32_e32 v2, vcc_lo, s5, v2, vcc_lo
	global_store_b64 v[1:2], v[5:6], off
	s_or_b32 exec_lo, exec_lo, s0
	s_mov_b32 s0, exec_lo
	v_cmpx_gt_i32_e64 s8, v0
	s_cbranch_execz .LBB20_55
.LBB20_72:
	v_dual_mov_b32 v1, 0 :: v_dual_add_nc_u32 v0, s1, v0
	s_delay_alu instid0(VALU_DEP_1) | instskip(NEXT) | instid1(VALU_DEP_1)
	v_lshlrev_b64 v[0:1], 3, v[0:1]
	v_add_co_u32 v0, vcc_lo, s4, v0
	s_delay_alu instid0(VALU_DEP_2)
	v_add_co_ci_u32_e32 v1, vcc_lo, s5, v1, vcc_lo
	global_store_b64 v[0:1], v[7:8], off
	s_nop 0
	s_sendmsg sendmsg(MSG_DEALLOC_VGPRS)
	s_endpgm
	.section	.rodata,"a",@progbits
	.p2align	6, 0x0
	.amdhsa_kernel _ZN2at6native27unrolled_elementwise_kernelINS0_13BinaryFunctorIdddZZZNS0_12_GLOBAL__N_132hermite_polynomial_h_kernel_cudaERNS_18TensorIteratorBaseEENKUlvE_clEvENKUlvE_clEvEUlddE_EESt5arrayIPcLm3EELi4E23TrivialOffsetCalculatorILi2EjESD_ILi1EjENS0_6memory15LoadWithoutCastENSG_16StoreWithoutCastEEEviT_T0_T2_T3_T4_T5_
		.amdhsa_group_segment_fixed_size 0
		.amdhsa_private_segment_fixed_size 0
		.amdhsa_kernarg_size 36
		.amdhsa_user_sgpr_count 15
		.amdhsa_user_sgpr_dispatch_ptr 0
		.amdhsa_user_sgpr_queue_ptr 0
		.amdhsa_user_sgpr_kernarg_segment_ptr 1
		.amdhsa_user_sgpr_dispatch_id 0
		.amdhsa_user_sgpr_private_segment_size 0
		.amdhsa_wavefront_size32 1
		.amdhsa_uses_dynamic_stack 0
		.amdhsa_enable_private_segment 0
		.amdhsa_system_sgpr_workgroup_id_x 1
		.amdhsa_system_sgpr_workgroup_id_y 0
		.amdhsa_system_sgpr_workgroup_id_z 0
		.amdhsa_system_sgpr_workgroup_info 0
		.amdhsa_system_vgpr_workitem_id 0
		.amdhsa_next_free_vgpr 29
		.amdhsa_next_free_sgpr 16
		.amdhsa_reserve_vcc 1
		.amdhsa_float_round_mode_32 0
		.amdhsa_float_round_mode_16_64 0
		.amdhsa_float_denorm_mode_32 3
		.amdhsa_float_denorm_mode_16_64 3
		.amdhsa_dx10_clamp 1
		.amdhsa_ieee_mode 1
		.amdhsa_fp16_overflow 0
		.amdhsa_workgroup_processor_mode 1
		.amdhsa_memory_ordered 1
		.amdhsa_forward_progress 0
		.amdhsa_shared_vgpr_count 0
		.amdhsa_exception_fp_ieee_invalid_op 0
		.amdhsa_exception_fp_denorm_src 0
		.amdhsa_exception_fp_ieee_div_zero 0
		.amdhsa_exception_fp_ieee_overflow 0
		.amdhsa_exception_fp_ieee_underflow 0
		.amdhsa_exception_fp_ieee_inexact 0
		.amdhsa_exception_int_div_zero 0
	.end_amdhsa_kernel
	.section	.text._ZN2at6native27unrolled_elementwise_kernelINS0_13BinaryFunctorIdddZZZNS0_12_GLOBAL__N_132hermite_polynomial_h_kernel_cudaERNS_18TensorIteratorBaseEENKUlvE_clEvENKUlvE_clEvEUlddE_EESt5arrayIPcLm3EELi4E23TrivialOffsetCalculatorILi2EjESD_ILi1EjENS0_6memory15LoadWithoutCastENSG_16StoreWithoutCastEEEviT_T0_T2_T3_T4_T5_,"axG",@progbits,_ZN2at6native27unrolled_elementwise_kernelINS0_13BinaryFunctorIdddZZZNS0_12_GLOBAL__N_132hermite_polynomial_h_kernel_cudaERNS_18TensorIteratorBaseEENKUlvE_clEvENKUlvE_clEvEUlddE_EESt5arrayIPcLm3EELi4E23TrivialOffsetCalculatorILi2EjESD_ILi1EjENS0_6memory15LoadWithoutCastENSG_16StoreWithoutCastEEEviT_T0_T2_T3_T4_T5_,comdat
.Lfunc_end20:
	.size	_ZN2at6native27unrolled_elementwise_kernelINS0_13BinaryFunctorIdddZZZNS0_12_GLOBAL__N_132hermite_polynomial_h_kernel_cudaERNS_18TensorIteratorBaseEENKUlvE_clEvENKUlvE_clEvEUlddE_EESt5arrayIPcLm3EELi4E23TrivialOffsetCalculatorILi2EjESD_ILi1EjENS0_6memory15LoadWithoutCastENSG_16StoreWithoutCastEEEviT_T0_T2_T3_T4_T5_, .Lfunc_end20-_ZN2at6native27unrolled_elementwise_kernelINS0_13BinaryFunctorIdddZZZNS0_12_GLOBAL__N_132hermite_polynomial_h_kernel_cudaERNS_18TensorIteratorBaseEENKUlvE_clEvENKUlvE_clEvEUlddE_EESt5arrayIPcLm3EELi4E23TrivialOffsetCalculatorILi2EjESD_ILi1EjENS0_6memory15LoadWithoutCastENSG_16StoreWithoutCastEEEviT_T0_T2_T3_T4_T5_
                                        ; -- End function
	.section	.AMDGPU.csdata,"",@progbits
; Kernel info:
; codeLenInByte = 2500
; NumSgprs: 18
; NumVgprs: 29
; ScratchSize: 0
; MemoryBound: 0
; FloatMode: 240
; IeeeMode: 1
; LDSByteSize: 0 bytes/workgroup (compile time only)
; SGPRBlocks: 2
; VGPRBlocks: 3
; NumSGPRsForWavesPerEU: 18
; NumVGPRsForWavesPerEU: 29
; Occupancy: 16
; WaveLimiterHint : 0
; COMPUTE_PGM_RSRC2:SCRATCH_EN: 0
; COMPUTE_PGM_RSRC2:USER_SGPR: 15
; COMPUTE_PGM_RSRC2:TRAP_HANDLER: 0
; COMPUTE_PGM_RSRC2:TGID_X_EN: 1
; COMPUTE_PGM_RSRC2:TGID_Y_EN: 0
; COMPUTE_PGM_RSRC2:TGID_Z_EN: 0
; COMPUTE_PGM_RSRC2:TIDIG_COMP_CNT: 0
	.section	.text._ZN2at6native32elementwise_kernel_manual_unrollILi128ELi4EZNS0_22gpu_kernel_impl_nocastINS0_13BinaryFunctorIdddZZZNS0_12_GLOBAL__N_132hermite_polynomial_h_kernel_cudaERNS_18TensorIteratorBaseEENKUlvE_clEvENKUlvE_clEvEUlddE_EEEEvS6_RKT_EUlibE_EEviT1_,"axG",@progbits,_ZN2at6native32elementwise_kernel_manual_unrollILi128ELi4EZNS0_22gpu_kernel_impl_nocastINS0_13BinaryFunctorIdddZZZNS0_12_GLOBAL__N_132hermite_polynomial_h_kernel_cudaERNS_18TensorIteratorBaseEENKUlvE_clEvENKUlvE_clEvEUlddE_EEEEvS6_RKT_EUlibE_EEviT1_,comdat
	.globl	_ZN2at6native32elementwise_kernel_manual_unrollILi128ELi4EZNS0_22gpu_kernel_impl_nocastINS0_13BinaryFunctorIdddZZZNS0_12_GLOBAL__N_132hermite_polynomial_h_kernel_cudaERNS_18TensorIteratorBaseEENKUlvE_clEvENKUlvE_clEvEUlddE_EEEEvS6_RKT_EUlibE_EEviT1_ ; -- Begin function _ZN2at6native32elementwise_kernel_manual_unrollILi128ELi4EZNS0_22gpu_kernel_impl_nocastINS0_13BinaryFunctorIdddZZZNS0_12_GLOBAL__N_132hermite_polynomial_h_kernel_cudaERNS_18TensorIteratorBaseEENKUlvE_clEvENKUlvE_clEvEUlddE_EEEEvS6_RKT_EUlibE_EEviT1_
	.p2align	8
	.type	_ZN2at6native32elementwise_kernel_manual_unrollILi128ELi4EZNS0_22gpu_kernel_impl_nocastINS0_13BinaryFunctorIdddZZZNS0_12_GLOBAL__N_132hermite_polynomial_h_kernel_cudaERNS_18TensorIteratorBaseEENKUlvE_clEvENKUlvE_clEvEUlddE_EEEEvS6_RKT_EUlibE_EEviT1_,@function
_ZN2at6native32elementwise_kernel_manual_unrollILi128ELi4EZNS0_22gpu_kernel_impl_nocastINS0_13BinaryFunctorIdddZZZNS0_12_GLOBAL__N_132hermite_polynomial_h_kernel_cudaERNS_18TensorIteratorBaseEENKUlvE_clEvENKUlvE_clEvEUlddE_EEEEvS6_RKT_EUlibE_EEviT1_: ; @_ZN2at6native32elementwise_kernel_manual_unrollILi128ELi4EZNS0_22gpu_kernel_impl_nocastINS0_13BinaryFunctorIdddZZZNS0_12_GLOBAL__N_132hermite_polynomial_h_kernel_cudaERNS_18TensorIteratorBaseEENKUlvE_clEvENKUlvE_clEvEUlddE_EEEEvS6_RKT_EUlibE_EEviT1_
; %bb.0:
	s_clause 0x1
	s_load_b32 s22, s[0:1], 0x8
	s_load_b32 s28, s[0:1], 0x0
	v_lshl_or_b32 v10, s15, 9, v0
	s_or_b32 s0, s0, 8
	s_mov_b32 s2, exec_lo
	s_delay_alu instid0(VALU_DEP_1) | instskip(SKIP_2) | instid1(SALU_CYCLE_1)
	v_or_b32_e32 v12, 0x180, v10
	s_waitcnt lgkmcnt(0)
	s_add_i32 s23, s22, -1
	s_cmp_gt_u32 s23, 1
	s_cselect_b32 s24, -1, 0
	v_cmpx_le_i32_e64 s28, v12
	s_xor_b32 s25, exec_lo, s2
	s_cbranch_execz .LBB21_8
; %bb.1:
	s_clause 0x5
	s_load_b128 s[12:15], s[0:1], 0x4
	s_load_b64 s[18:19], s[0:1], 0x14
	s_load_b128 s[8:11], s[0:1], 0xc4
	s_load_b64 s[16:17], s[0:1], 0xd4
	s_load_b64 s[2:3], s[0:1], 0x198
	s_load_b128 s[4:7], s[0:1], 0x188
	s_cmp_lg_u32 s22, 0
	s_mov_b32 s30, exec_lo
	s_cselect_b32 s29, -1, 0
	s_min_u32 s27, s23, 15
	s_cmp_gt_u32 s22, 1
	s_cselect_b32 s26, -1, 0
	v_cmpx_gt_i32_e64 s28, v10
	s_cbranch_execz .LBB21_15
; %bb.2:
	s_and_not1_b32 vcc_lo, exec_lo, s24
	s_cbranch_vccnz .LBB21_105
; %bb.3:
	v_dual_mov_b32 v0, 0 :: v_dual_mov_b32 v1, 0
	v_mov_b32_e32 v2, 0
	s_and_not1_b32 vcc_lo, exec_lo, s29
	s_mov_b32 s31, 0
	s_cbranch_vccnz .LBB21_106
; %bb.4:
	s_add_i32 s20, s27, 1
	v_dual_mov_b32 v2, 0 :: v_dual_mov_b32 v1, 0
	v_dual_mov_b32 v0, 0 :: v_dual_mov_b32 v3, v10
	s_and_b32 s33, s20, 30
	s_add_u32 s20, s0, 0xffffffec
	s_addc_u32 s21, s1, -1
	s_set_inst_prefetch_distance 0x1
	.p2align	6
.LBB21_5:                               ; =>This Inner Loop Header: Depth=1
	s_clause 0x2
	s_load_b128 s[36:39], s[20:21], 0x18
	s_load_b64 s[34:35], s[20:21], 0x28
	s_load_b128 s[40:43], s[20:21], 0xd8
	s_waitcnt lgkmcnt(0)
	v_mul_hi_u32 v4, s37, v3
	s_delay_alu instid0(VALU_DEP_1) | instskip(NEXT) | instid1(VALU_DEP_1)
	v_add_nc_u32_e32 v4, v3, v4
	v_lshrrev_b32_e32 v4, s38, v4
	s_delay_alu instid0(VALU_DEP_1)
	v_mul_hi_u32 v5, s34, v4
	v_mul_lo_u32 v6, v4, s36
	s_load_b64 s[36:37], s[20:21], 0xe8
	s_add_u32 s20, s20, 24
	s_addc_u32 s21, s21, 0
	s_add_i32 s33, s33, -2
	s_delay_alu instid0(SALU_CYCLE_1) | instskip(NEXT) | instid1(VALU_DEP_2)
	s_cmp_lg_u32 s33, 0
	v_add_nc_u32_e32 v5, v4, v5
	s_delay_alu instid0(VALU_DEP_2) | instskip(NEXT) | instid1(VALU_DEP_2)
	v_sub_nc_u32_e32 v6, v3, v6
	v_lshrrev_b32_e32 v3, s35, v5
	s_delay_alu instid0(VALU_DEP_2) | instskip(NEXT) | instid1(VALU_DEP_2)
	v_mul_lo_u32 v7, v6, s40
	v_mul_lo_u32 v5, v3, s39
	s_delay_alu instid0(VALU_DEP_1) | instskip(SKIP_2) | instid1(VALU_DEP_3)
	v_sub_nc_u32_e32 v4, v4, v5
	v_mul_lo_u32 v5, v6, s41
	v_mul_lo_u32 v6, v6, s42
	;; [unrolled: 1-line block ×3, first 2 shown]
	s_waitcnt lgkmcnt(0)
	v_mul_lo_u32 v9, v4, s36
	v_mul_lo_u32 v4, v4, s37
	s_delay_alu instid0(VALU_DEP_3) | instskip(NEXT) | instid1(VALU_DEP_3)
	v_add3_u32 v0, v7, v0, v8
	v_add3_u32 v1, v5, v1, v9
	s_delay_alu instid0(VALU_DEP_3)
	v_add3_u32 v2, v6, v2, v4
	s_cbranch_scc1 .LBB21_5
; %bb.6:
	s_set_inst_prefetch_distance 0x2
	s_bitcmp1_b32 s27, 0
	s_cselect_b32 s33, -1, 0
	s_delay_alu instid0(SALU_CYCLE_1)
	s_and_b32 vcc_lo, exec_lo, s33
	s_cbranch_vccnz .LBB21_106
; %bb.7:
	s_clause 0x3
	s_load_b64 s[34:35], s[20:21], 0x18
	s_load_b32 s33, s[20:21], 0x20
	s_load_b64 s[36:37], s[20:21], 0xd8
	s_load_b32 s20, s[20:21], 0xe0
	s_waitcnt lgkmcnt(0)
	v_mul_hi_u32 v4, s35, v3
	s_delay_alu instid0(VALU_DEP_1) | instskip(NEXT) | instid1(VALU_DEP_1)
	v_add_nc_u32_e32 v4, v3, v4
	v_lshrrev_b32_e32 v4, s33, v4
	s_delay_alu instid0(VALU_DEP_1) | instskip(NEXT) | instid1(VALU_DEP_1)
	v_mul_lo_u32 v4, v4, s34
	v_sub_nc_u32_e32 v7, v3, v4
	s_delay_alu instid0(VALU_DEP_1) | instskip(SKIP_1) | instid1(VALU_DEP_2)
	v_mad_u64_u32 v[3:4], null, v7, s36, v[0:1]
	v_mad_u64_u32 v[4:5], null, v7, s37, v[1:2]
	;; [unrolled: 1-line block ×3, first 2 shown]
	s_delay_alu instid0(VALU_DEP_2) | instskip(NEXT) | instid1(VALU_DEP_2)
	v_dual_mov_b32 v0, v3 :: v_dual_mov_b32 v1, v4
	v_mov_b32_e32 v2, v5
	s_branch .LBB21_106
.LBB21_8:
	s_and_not1_saveexec_b32 s2, s25
	s_cbranch_execz .LBB21_148
.LBB21_9:
	s_waitcnt vmcnt(0)
	v_cndmask_b32_e64 v7, 0, 1, s24
	s_and_not1_b32 vcc_lo, exec_lo, s24
	s_cbranch_vccnz .LBB21_22
; %bb.10:
	v_dual_mov_b32 v0, 0 :: v_dual_mov_b32 v3, 0
	v_mov_b32_e32 v4, 0
	s_cmp_lg_u32 s22, 0
	s_mov_b32 s4, 0
	s_cbranch_scc0 .LBB21_23
; %bb.11:
	s_min_u32 s5, s23, 15
	v_dual_mov_b32 v4, 0 :: v_dual_mov_b32 v3, 0
	s_add_i32 s2, s5, 1
	v_dual_mov_b32 v0, 0 :: v_dual_mov_b32 v1, v10
	s_and_b32 s6, s2, 30
	s_add_u32 s2, s0, 0xffffffec
	s_addc_u32 s3, s1, -1
	s_set_inst_prefetch_distance 0x1
	.p2align	6
.LBB21_12:                              ; =>This Inner Loop Header: Depth=1
	s_clause 0x2
	s_load_b128 s[8:11], s[2:3], 0x18
	s_load_b64 s[16:17], s[2:3], 0x28
	s_load_b128 s[12:15], s[2:3], 0xd8
	s_waitcnt lgkmcnt(0)
	v_mul_hi_u32 v2, s9, v1
	s_delay_alu instid0(VALU_DEP_1) | instskip(NEXT) | instid1(VALU_DEP_1)
	v_add_nc_u32_e32 v2, v1, v2
	v_lshrrev_b32_e32 v2, s10, v2
	s_delay_alu instid0(VALU_DEP_1)
	v_mul_hi_u32 v5, s16, v2
	v_mul_lo_u32 v6, v2, s8
	s_load_b64 s[8:9], s[2:3], 0xe8
	s_add_u32 s2, s2, 24
	s_addc_u32 s3, s3, 0
	s_add_i32 s6, s6, -2
	s_delay_alu instid0(SALU_CYCLE_1) | instskip(NEXT) | instid1(VALU_DEP_2)
	s_cmp_lg_u32 s6, 0
	v_add_nc_u32_e32 v5, v2, v5
	s_delay_alu instid0(VALU_DEP_2) | instskip(NEXT) | instid1(VALU_DEP_2)
	v_sub_nc_u32_e32 v6, v1, v6
	v_lshrrev_b32_e32 v1, s17, v5
	s_delay_alu instid0(VALU_DEP_2) | instskip(NEXT) | instid1(VALU_DEP_2)
	v_mul_lo_u32 v8, v6, s12
	v_mul_lo_u32 v5, v1, s11
	s_delay_alu instid0(VALU_DEP_1) | instskip(SKIP_2) | instid1(VALU_DEP_3)
	v_sub_nc_u32_e32 v2, v2, v5
	v_mul_lo_u32 v5, v6, s13
	v_mul_lo_u32 v6, v6, s14
	;; [unrolled: 1-line block ×3, first 2 shown]
	s_waitcnt lgkmcnt(0)
	v_mul_lo_u32 v11, v2, s8
	v_mul_lo_u32 v2, v2, s9
	s_delay_alu instid0(VALU_DEP_3) | instskip(NEXT) | instid1(VALU_DEP_3)
	v_add3_u32 v0, v8, v0, v9
	v_add3_u32 v3, v5, v3, v11
	s_delay_alu instid0(VALU_DEP_3)
	v_add3_u32 v4, v6, v4, v2
	s_cbranch_scc1 .LBB21_12
; %bb.13:
	s_set_inst_prefetch_distance 0x2
	s_bitcmp1_b32 s5, 0
	s_cselect_b32 s5, -1, 0
	s_delay_alu instid0(SALU_CYCLE_1)
	s_and_b32 vcc_lo, exec_lo, s5
	s_cbranch_vccnz .LBB21_23
; %bb.14:
	s_clause 0x3
	s_load_b64 s[6:7], s[2:3], 0x18
	s_load_b32 s5, s[2:3], 0x20
	s_load_b64 s[8:9], s[2:3], 0xd8
	s_load_b32 s2, s[2:3], 0xe0
	s_waitcnt lgkmcnt(0)
	v_mul_hi_u32 v2, s7, v1
	s_delay_alu instid0(VALU_DEP_1) | instskip(NEXT) | instid1(VALU_DEP_1)
	v_add_nc_u32_e32 v2, v1, v2
	v_lshrrev_b32_e32 v2, s5, v2
	s_delay_alu instid0(VALU_DEP_1) | instskip(NEXT) | instid1(VALU_DEP_1)
	v_mul_lo_u32 v2, v2, s6
	v_sub_nc_u32_e32 v8, v1, v2
	s_delay_alu instid0(VALU_DEP_1) | instskip(SKIP_1) | instid1(VALU_DEP_2)
	v_mad_u64_u32 v[5:6], null, v8, s9, v[3:4]
	v_mad_u64_u32 v[1:2], null, v8, s8, v[0:1]
	;; [unrolled: 1-line block ×3, first 2 shown]
	s_delay_alu instid0(VALU_DEP_2) | instskip(NEXT) | instid1(VALU_DEP_2)
	v_mov_b32_e32 v0, v1
	v_dual_mov_b32 v3, v5 :: v_dual_mov_b32 v4, v2
	s_branch .LBB21_23
.LBB21_15:
	s_or_b32 exec_lo, exec_lo, s30
	s_delay_alu instid0(SALU_CYCLE_1)
	s_mov_b32 s30, exec_lo
	v_cmpx_gt_i32_e64 s28, v10
	s_cbranch_execz .LBB21_122
.LBB21_16:
	s_and_not1_b32 vcc_lo, exec_lo, s24
	s_cbranch_vccnz .LBB21_129
; %bb.17:
	v_dual_mov_b32 v0, 0 :: v_dual_mov_b32 v1, 0
	v_mov_b32_e32 v2, 0
	s_and_not1_b32 vcc_lo, exec_lo, s29
	s_mov_b32 s31, 0
	s_cbranch_vccnz .LBB21_130
; %bb.18:
	s_add_i32 s20, s27, 1
	v_dual_mov_b32 v2, 0 :: v_dual_mov_b32 v1, 0
	v_dual_mov_b32 v0, 0 :: v_dual_mov_b32 v3, v10
	s_and_b32 s33, s20, 30
	s_add_u32 s20, s0, 0xffffffec
	s_addc_u32 s21, s1, -1
	s_set_inst_prefetch_distance 0x1
	.p2align	6
.LBB21_19:                              ; =>This Inner Loop Header: Depth=1
	s_clause 0x2
	s_load_b128 s[36:39], s[20:21], 0x18
	s_load_b64 s[34:35], s[20:21], 0x28
	s_load_b128 s[40:43], s[20:21], 0xd8
	s_waitcnt lgkmcnt(0)
	v_mul_hi_u32 v4, s37, v3
	s_delay_alu instid0(VALU_DEP_1) | instskip(NEXT) | instid1(VALU_DEP_1)
	v_add_nc_u32_e32 v4, v3, v4
	v_lshrrev_b32_e32 v4, s38, v4
	s_delay_alu instid0(VALU_DEP_1)
	v_mul_hi_u32 v5, s34, v4
	s_waitcnt vmcnt(0)
	v_mul_lo_u32 v6, v4, s36
	s_load_b64 s[36:37], s[20:21], 0xe8
	s_add_u32 s20, s20, 24
	s_addc_u32 s21, s21, 0
	s_add_i32 s33, s33, -2
	s_delay_alu instid0(SALU_CYCLE_1) | instskip(SKIP_1) | instid1(VALU_DEP_2)
	s_cmp_eq_u32 s33, 0
	v_add_nc_u32_e32 v5, v4, v5
	v_sub_nc_u32_e32 v6, v3, v6
	s_delay_alu instid0(VALU_DEP_2) | instskip(NEXT) | instid1(VALU_DEP_2)
	v_lshrrev_b32_e32 v3, s35, v5
	v_mul_lo_u32 v7, v6, s40
	s_delay_alu instid0(VALU_DEP_2) | instskip(NEXT) | instid1(VALU_DEP_1)
	v_mul_lo_u32 v5, v3, s39
	v_sub_nc_u32_e32 v4, v4, v5
	v_mul_lo_u32 v5, v6, s41
	v_mul_lo_u32 v6, v6, s42
	s_delay_alu instid0(VALU_DEP_3) | instskip(SKIP_3) | instid1(VALU_DEP_3)
	v_mul_lo_u32 v8, v4, s43
	s_waitcnt lgkmcnt(0)
	v_mul_lo_u32 v9, v4, s36
	v_mul_lo_u32 v4, v4, s37
	v_add3_u32 v0, v7, v0, v8
	s_delay_alu instid0(VALU_DEP_3) | instskip(NEXT) | instid1(VALU_DEP_3)
	v_add3_u32 v1, v5, v1, v9
	v_add3_u32 v2, v6, v2, v4
	s_cbranch_scc0 .LBB21_19
; %bb.20:
	s_set_inst_prefetch_distance 0x2
	s_bitcmp1_b32 s27, 0
	s_cselect_b32 s33, -1, 0
	s_delay_alu instid0(SALU_CYCLE_1)
	s_and_b32 vcc_lo, exec_lo, s33
	s_cbranch_vccnz .LBB21_130
; %bb.21:
	s_clause 0x3
	s_load_b64 s[34:35], s[20:21], 0x18
	s_load_b32 s33, s[20:21], 0x20
	s_load_b64 s[36:37], s[20:21], 0xd8
	s_load_b32 s20, s[20:21], 0xe0
	s_waitcnt lgkmcnt(0)
	v_mul_hi_u32 v4, s35, v3
	s_delay_alu instid0(VALU_DEP_1) | instskip(NEXT) | instid1(VALU_DEP_1)
	v_add_nc_u32_e32 v4, v3, v4
	v_lshrrev_b32_e32 v4, s33, v4
	s_delay_alu instid0(VALU_DEP_1) | instskip(NEXT) | instid1(VALU_DEP_1)
	v_mul_lo_u32 v4, v4, s34
	v_sub_nc_u32_e32 v7, v3, v4
	s_delay_alu instid0(VALU_DEP_1) | instskip(SKIP_1) | instid1(VALU_DEP_2)
	v_mad_u64_u32 v[3:4], null, v7, s36, v[0:1]
	v_mad_u64_u32 v[4:5], null, v7, s37, v[1:2]
	v_mad_u64_u32 v[5:6], null, v7, s20, v[2:3]
	s_delay_alu instid0(VALU_DEP_2) | instskip(NEXT) | instid1(VALU_DEP_2)
	v_dual_mov_b32 v0, v3 :: v_dual_mov_b32 v1, v4
	v_mov_b32_e32 v2, v5
	s_branch .LBB21_130
.LBB21_22:
	s_mov_b32 s4, -1
                                        ; implicit-def: $vgpr0
                                        ; implicit-def: $vgpr3
                                        ; implicit-def: $vgpr4
.LBB21_23:
	s_delay_alu instid0(SALU_CYCLE_1)
	s_and_not1_b32 vcc_lo, exec_lo, s4
	s_cbranch_vccnz .LBB21_26
; %bb.24:
	s_clause 0x1
	s_load_b128 s[4:7], s[0:1], 0x4
	s_load_b128 s[8:11], s[0:1], 0xc4
	s_cmp_lt_u32 s22, 2
	s_waitcnt lgkmcnt(0)
	v_mul_hi_u32 v0, s5, v10
	s_delay_alu instid0(VALU_DEP_1) | instskip(NEXT) | instid1(VALU_DEP_1)
	v_add_nc_u32_e32 v0, v10, v0
	v_lshrrev_b32_e32 v1, s6, v0
	s_delay_alu instid0(VALU_DEP_1) | instskip(NEXT) | instid1(VALU_DEP_1)
	v_mul_lo_u32 v0, v1, s4
	v_sub_nc_u32_e32 v2, v10, v0
	s_delay_alu instid0(VALU_DEP_1)
	v_mul_lo_u32 v0, v2, s8
	v_mul_lo_u32 v3, v2, s9
	;; [unrolled: 1-line block ×3, first 2 shown]
	s_cbranch_scc1 .LBB21_26
; %bb.25:
	s_clause 0x1
	s_load_b128 s[4:7], s[0:1], 0x10
	s_load_b128 s[8:11], s[0:1], 0xd0
	s_waitcnt lgkmcnt(0)
	v_mul_hi_u32 v2, s5, v1
	s_delay_alu instid0(VALU_DEP_1) | instskip(NEXT) | instid1(VALU_DEP_1)
	v_add_nc_u32_e32 v2, v1, v2
	v_lshrrev_b32_e32 v2, s6, v2
	s_delay_alu instid0(VALU_DEP_1) | instskip(NEXT) | instid1(VALU_DEP_1)
	v_mul_lo_u32 v2, v2, s4
	v_sub_nc_u32_e32 v8, v1, v2
	s_delay_alu instid0(VALU_DEP_1) | instskip(SKIP_1) | instid1(VALU_DEP_2)
	v_mad_u64_u32 v[5:6], null, v8, s9, v[3:4]
	v_mad_u64_u32 v[1:2], null, v8, s8, v[0:1]
	;; [unrolled: 1-line block ×3, first 2 shown]
	s_delay_alu instid0(VALU_DEP_2) | instskip(NEXT) | instid1(VALU_DEP_2)
	v_mov_b32_e32 v0, v1
	v_dual_mov_b32 v3, v5 :: v_dual_mov_b32 v4, v2
.LBB21_26:
	v_cmp_ne_u32_e32 vcc_lo, 1, v7
	v_add_nc_u32_e32 v2, 0x80, v10
	s_cbranch_vccnz .LBB21_32
; %bb.27:
	v_dual_mov_b32 v1, 0 :: v_dual_mov_b32 v6, 0
	v_mov_b32_e32 v5, 0
	s_cmp_lg_u32 s22, 0
	s_mov_b32 s4, 0
	s_cbranch_scc0 .LBB21_33
; %bb.28:
	s_min_u32 s5, s23, 15
	v_dual_mov_b32 v6, 0 :: v_dual_mov_b32 v5, 0
	s_add_i32 s2, s5, 1
	v_dual_mov_b32 v1, 0 :: v_dual_mov_b32 v8, v2
	s_and_b32 s6, s2, 30
	s_add_u32 s2, s0, 0xffffffec
	s_addc_u32 s3, s1, -1
	s_set_inst_prefetch_distance 0x1
	.p2align	6
.LBB21_29:                              ; =>This Inner Loop Header: Depth=1
	s_clause 0x2
	s_load_b128 s[8:11], s[2:3], 0x18
	s_load_b64 s[16:17], s[2:3], 0x28
	s_load_b128 s[12:15], s[2:3], 0xd8
	s_waitcnt lgkmcnt(0)
	v_mul_hi_u32 v9, s9, v8
	s_delay_alu instid0(VALU_DEP_1) | instskip(NEXT) | instid1(VALU_DEP_1)
	v_add_nc_u32_e32 v9, v8, v9
	v_lshrrev_b32_e32 v9, s10, v9
	s_delay_alu instid0(VALU_DEP_1)
	v_mul_hi_u32 v11, s16, v9
	v_mul_lo_u32 v13, v9, s8
	s_load_b64 s[8:9], s[2:3], 0xe8
	s_add_u32 s2, s2, 24
	s_addc_u32 s3, s3, 0
	s_add_i32 s6, s6, -2
	s_delay_alu instid0(SALU_CYCLE_1) | instskip(NEXT) | instid1(VALU_DEP_2)
	s_cmp_lg_u32 s6, 0
	v_add_nc_u32_e32 v11, v9, v11
	s_delay_alu instid0(VALU_DEP_2) | instskip(NEXT) | instid1(VALU_DEP_2)
	v_sub_nc_u32_e32 v13, v8, v13
	v_lshrrev_b32_e32 v8, s17, v11
	s_delay_alu instid0(VALU_DEP_2) | instskip(NEXT) | instid1(VALU_DEP_2)
	v_mul_lo_u32 v14, v13, s12
	v_mul_lo_u32 v11, v8, s11
	s_delay_alu instid0(VALU_DEP_1) | instskip(SKIP_2) | instid1(VALU_DEP_3)
	v_sub_nc_u32_e32 v9, v9, v11
	v_mul_lo_u32 v11, v13, s13
	v_mul_lo_u32 v13, v13, s14
	;; [unrolled: 1-line block ×3, first 2 shown]
	s_waitcnt lgkmcnt(0)
	v_mul_lo_u32 v16, v9, s8
	v_mul_lo_u32 v9, v9, s9
	s_delay_alu instid0(VALU_DEP_3) | instskip(NEXT) | instid1(VALU_DEP_3)
	v_add3_u32 v1, v14, v1, v15
	v_add3_u32 v5, v11, v5, v16
	s_delay_alu instid0(VALU_DEP_3)
	v_add3_u32 v6, v13, v6, v9
	s_cbranch_scc1 .LBB21_29
; %bb.30:
	s_set_inst_prefetch_distance 0x2
	s_bitcmp1_b32 s5, 0
	s_cselect_b32 s5, -1, 0
	s_delay_alu instid0(SALU_CYCLE_1)
	s_and_b32 vcc_lo, exec_lo, s5
	s_cbranch_vccnz .LBB21_33
; %bb.31:
	s_clause 0x3
	s_load_b64 s[6:7], s[2:3], 0x18
	s_load_b32 s5, s[2:3], 0x20
	s_load_b64 s[8:9], s[2:3], 0xd8
	s_load_b32 s2, s[2:3], 0xe0
	s_waitcnt lgkmcnt(0)
	v_mul_hi_u32 v9, s7, v8
	s_delay_alu instid0(VALU_DEP_1) | instskip(NEXT) | instid1(VALU_DEP_1)
	v_add_nc_u32_e32 v9, v8, v9
	v_lshrrev_b32_e32 v9, s5, v9
	s_delay_alu instid0(VALU_DEP_1) | instskip(NEXT) | instid1(VALU_DEP_1)
	v_mul_lo_u32 v9, v9, s6
	v_sub_nc_u32_e32 v11, v8, v9
	s_delay_alu instid0(VALU_DEP_1) | instskip(SKIP_2) | instid1(VALU_DEP_3)
	v_mad_u64_u32 v[13:14], null, v11, s9, v[5:6]
	v_mad_u64_u32 v[8:9], null, v11, s8, v[1:2]
	v_mad_u64_u32 v[14:15], null, v11, s2, v[6:7]
	v_mov_b32_e32 v5, v13
	s_delay_alu instid0(VALU_DEP_2)
	v_dual_mov_b32 v1, v8 :: v_dual_mov_b32 v6, v14
	s_branch .LBB21_33
.LBB21_32:
	s_mov_b32 s4, -1
                                        ; implicit-def: $vgpr1
                                        ; implicit-def: $vgpr5
                                        ; implicit-def: $vgpr6
.LBB21_33:
	s_delay_alu instid0(SALU_CYCLE_1)
	s_and_not1_b32 vcc_lo, exec_lo, s4
	s_cbranch_vccnz .LBB21_36
; %bb.34:
	s_clause 0x1
	s_load_b128 s[4:7], s[0:1], 0x4
	s_load_b128 s[8:11], s[0:1], 0xc4
	s_cmp_lt_u32 s22, 2
	s_waitcnt lgkmcnt(0)
	v_mul_hi_u32 v1, s5, v2
	s_delay_alu instid0(VALU_DEP_1) | instskip(NEXT) | instid1(VALU_DEP_1)
	v_add_nc_u32_e32 v1, v2, v1
	v_lshrrev_b32_e32 v8, s6, v1
	s_delay_alu instid0(VALU_DEP_1) | instskip(NEXT) | instid1(VALU_DEP_1)
	v_mul_lo_u32 v1, v8, s4
	v_sub_nc_u32_e32 v2, v2, v1
	s_delay_alu instid0(VALU_DEP_1)
	v_mul_lo_u32 v1, v2, s8
	v_mul_lo_u32 v5, v2, s9
	;; [unrolled: 1-line block ×3, first 2 shown]
	s_cbranch_scc1 .LBB21_36
; %bb.35:
	s_clause 0x1
	s_load_b128 s[4:7], s[0:1], 0x10
	s_load_b128 s[8:11], s[0:1], 0xd0
	s_waitcnt lgkmcnt(0)
	v_mul_hi_u32 v2, s5, v8
	s_delay_alu instid0(VALU_DEP_1) | instskip(NEXT) | instid1(VALU_DEP_1)
	v_add_nc_u32_e32 v2, v8, v2
	v_lshrrev_b32_e32 v2, s6, v2
	s_delay_alu instid0(VALU_DEP_1) | instskip(NEXT) | instid1(VALU_DEP_1)
	v_mul_lo_u32 v2, v2, s4
	v_sub_nc_u32_e32 v2, v8, v2
	s_delay_alu instid0(VALU_DEP_1) | instskip(SKIP_2) | instid1(VALU_DEP_3)
	v_mad_u64_u32 v[13:14], null, v2, s9, v[5:6]
	v_mad_u64_u32 v[8:9], null, v2, s8, v[1:2]
	;; [unrolled: 1-line block ×3, first 2 shown]
	v_mov_b32_e32 v5, v13
	s_delay_alu instid0(VALU_DEP_2)
	v_dual_mov_b32 v1, v8 :: v_dual_mov_b32 v6, v14
.LBB21_36:
	v_cmp_ne_u32_e32 vcc_lo, 1, v7
	v_add_nc_u32_e32 v10, 0x100, v10
	s_cbranch_vccnz .LBB21_42
; %bb.37:
	v_dual_mov_b32 v2, 0 :: v_dual_mov_b32 v9, 0
	v_mov_b32_e32 v8, 0
	s_cmp_lg_u32 s22, 0
	s_mov_b32 s4, 0
	s_cbranch_scc0 .LBB21_43
; %bb.38:
	s_min_u32 s5, s23, 15
	v_dual_mov_b32 v9, 0 :: v_dual_mov_b32 v8, 0
	s_add_i32 s2, s5, 1
	v_dual_mov_b32 v2, 0 :: v_dual_mov_b32 v11, v10
	s_and_b32 s6, s2, 30
	s_add_u32 s2, s0, 0xffffffec
	s_addc_u32 s3, s1, -1
	s_set_inst_prefetch_distance 0x1
	.p2align	6
.LBB21_39:                              ; =>This Inner Loop Header: Depth=1
	s_clause 0x2
	s_load_b128 s[8:11], s[2:3], 0x18
	s_load_b64 s[16:17], s[2:3], 0x28
	s_load_b128 s[12:15], s[2:3], 0xd8
	s_waitcnt lgkmcnt(0)
	v_mul_hi_u32 v13, s9, v11
	s_delay_alu instid0(VALU_DEP_1) | instskip(NEXT) | instid1(VALU_DEP_1)
	v_add_nc_u32_e32 v13, v11, v13
	v_lshrrev_b32_e32 v13, s10, v13
	s_delay_alu instid0(VALU_DEP_1)
	v_mul_hi_u32 v14, s16, v13
	v_mul_lo_u32 v15, v13, s8
	s_load_b64 s[8:9], s[2:3], 0xe8
	s_add_u32 s2, s2, 24
	s_addc_u32 s3, s3, 0
	s_add_i32 s6, s6, -2
	s_delay_alu instid0(SALU_CYCLE_1) | instskip(NEXT) | instid1(VALU_DEP_2)
	s_cmp_lg_u32 s6, 0
	v_add_nc_u32_e32 v14, v13, v14
	s_delay_alu instid0(VALU_DEP_2) | instskip(NEXT) | instid1(VALU_DEP_2)
	v_sub_nc_u32_e32 v15, v11, v15
	v_lshrrev_b32_e32 v11, s17, v14
	s_delay_alu instid0(VALU_DEP_2) | instskip(NEXT) | instid1(VALU_DEP_2)
	v_mul_lo_u32 v16, v15, s12
	v_mul_lo_u32 v14, v11, s11
	s_delay_alu instid0(VALU_DEP_1) | instskip(SKIP_2) | instid1(VALU_DEP_3)
	v_sub_nc_u32_e32 v13, v13, v14
	v_mul_lo_u32 v14, v15, s13
	v_mul_lo_u32 v15, v15, s14
	;; [unrolled: 1-line block ×3, first 2 shown]
	s_waitcnt lgkmcnt(0)
	v_mul_lo_u32 v18, v13, s8
	v_mul_lo_u32 v13, v13, s9
	s_delay_alu instid0(VALU_DEP_3) | instskip(NEXT) | instid1(VALU_DEP_3)
	v_add3_u32 v2, v16, v2, v17
	v_add3_u32 v8, v14, v8, v18
	s_delay_alu instid0(VALU_DEP_3)
	v_add3_u32 v9, v15, v9, v13
	s_cbranch_scc1 .LBB21_39
; %bb.40:
	s_set_inst_prefetch_distance 0x2
	s_bitcmp1_b32 s5, 0
	s_cselect_b32 s5, -1, 0
	s_delay_alu instid0(SALU_CYCLE_1)
	s_and_b32 vcc_lo, exec_lo, s5
	s_cbranch_vccnz .LBB21_43
; %bb.41:
	s_clause 0x3
	s_load_b64 s[6:7], s[2:3], 0x18
	s_load_b32 s5, s[2:3], 0x20
	s_load_b64 s[8:9], s[2:3], 0xd8
	s_load_b32 s2, s[2:3], 0xe0
	s_waitcnt lgkmcnt(0)
	v_mul_hi_u32 v13, s7, v11
	s_delay_alu instid0(VALU_DEP_1) | instskip(NEXT) | instid1(VALU_DEP_1)
	v_add_nc_u32_e32 v13, v11, v13
	v_lshrrev_b32_e32 v13, s5, v13
	s_delay_alu instid0(VALU_DEP_1) | instskip(NEXT) | instid1(VALU_DEP_1)
	v_mul_lo_u32 v13, v13, s6
	v_sub_nc_u32_e32 v11, v11, v13
	s_delay_alu instid0(VALU_DEP_1) | instskip(SKIP_2) | instid1(VALU_DEP_3)
	v_mad_u64_u32 v[13:14], null, v11, s8, v[2:3]
	v_mad_u64_u32 v[14:15], null, v11, s9, v[8:9]
	;; [unrolled: 1-line block ×3, first 2 shown]
	v_mov_b32_e32 v2, v13
	s_delay_alu instid0(VALU_DEP_2)
	v_dual_mov_b32 v8, v14 :: v_dual_mov_b32 v9, v15
	s_branch .LBB21_43
.LBB21_42:
	s_mov_b32 s4, -1
                                        ; implicit-def: $vgpr2
                                        ; implicit-def: $vgpr8
                                        ; implicit-def: $vgpr9
.LBB21_43:
	s_delay_alu instid0(SALU_CYCLE_1)
	s_and_not1_b32 vcc_lo, exec_lo, s4
	s_cbranch_vccnz .LBB21_46
; %bb.44:
	s_clause 0x1
	s_load_b128 s[4:7], s[0:1], 0x4
	s_load_b128 s[8:11], s[0:1], 0xc4
	s_cmp_lt_u32 s22, 2
	s_waitcnt lgkmcnt(0)
	v_mul_hi_u32 v2, s5, v10
	s_delay_alu instid0(VALU_DEP_1) | instskip(NEXT) | instid1(VALU_DEP_1)
	v_add_nc_u32_e32 v2, v10, v2
	v_lshrrev_b32_e32 v11, s6, v2
	s_delay_alu instid0(VALU_DEP_1) | instskip(NEXT) | instid1(VALU_DEP_1)
	v_mul_lo_u32 v2, v11, s4
	v_sub_nc_u32_e32 v9, v10, v2
	s_delay_alu instid0(VALU_DEP_1)
	v_mul_lo_u32 v2, v9, s8
	v_mul_lo_u32 v8, v9, s9
	;; [unrolled: 1-line block ×3, first 2 shown]
	s_cbranch_scc1 .LBB21_46
; %bb.45:
	s_clause 0x1
	s_load_b128 s[4:7], s[0:1], 0x10
	s_load_b128 s[8:11], s[0:1], 0xd0
	s_waitcnt lgkmcnt(0)
	v_mul_hi_u32 v10, s5, v11
	s_delay_alu instid0(VALU_DEP_1) | instskip(NEXT) | instid1(VALU_DEP_1)
	v_add_nc_u32_e32 v10, v11, v10
	v_lshrrev_b32_e32 v10, s6, v10
	s_delay_alu instid0(VALU_DEP_1) | instskip(NEXT) | instid1(VALU_DEP_1)
	v_mul_lo_u32 v10, v10, s4
	v_sub_nc_u32_e32 v16, v11, v10
	s_delay_alu instid0(VALU_DEP_1) | instskip(SKIP_1) | instid1(VALU_DEP_2)
	v_mad_u64_u32 v[10:11], null, v16, s8, v[2:3]
	v_mad_u64_u32 v[13:14], null, v16, s9, v[8:9]
	;; [unrolled: 1-line block ×3, first 2 shown]
	v_mov_b32_e32 v2, v10
	s_delay_alu instid0(VALU_DEP_2)
	v_dual_mov_b32 v8, v13 :: v_dual_mov_b32 v9, v14
.LBB21_46:
	v_cmp_ne_u32_e32 vcc_lo, 1, v7
	s_cbranch_vccnz .LBB21_52
; %bb.47:
	v_dual_mov_b32 v7, 0 :: v_dual_mov_b32 v10, 0
	v_mov_b32_e32 v11, 0
	s_cmp_lg_u32 s22, 0
	s_mov_b32 s4, 0
	s_cbranch_scc0 .LBB21_53
; %bb.48:
	s_min_u32 s5, s23, 15
	v_dual_mov_b32 v11, 0 :: v_dual_mov_b32 v10, 0
	s_add_i32 s2, s5, 1
	v_mov_b32_e32 v7, 0
	v_mov_b32_e32 v13, v12
	s_and_b32 s6, s2, 30
	s_add_u32 s2, s0, 0xffffffec
	s_addc_u32 s3, s1, -1
	s_set_inst_prefetch_distance 0x1
	.p2align	6
.LBB21_49:                              ; =>This Inner Loop Header: Depth=1
	s_clause 0x2
	s_load_b128 s[8:11], s[2:3], 0x18
	s_load_b64 s[16:17], s[2:3], 0x28
	s_load_b128 s[12:15], s[2:3], 0xd8
	s_waitcnt lgkmcnt(0)
	v_mul_hi_u32 v14, s9, v13
	s_delay_alu instid0(VALU_DEP_1) | instskip(NEXT) | instid1(VALU_DEP_1)
	v_add_nc_u32_e32 v14, v13, v14
	v_lshrrev_b32_e32 v14, s10, v14
	s_delay_alu instid0(VALU_DEP_1)
	v_mul_hi_u32 v15, s16, v14
	v_mul_lo_u32 v16, v14, s8
	s_load_b64 s[8:9], s[2:3], 0xe8
	s_add_u32 s2, s2, 24
	s_addc_u32 s3, s3, 0
	s_add_i32 s6, s6, -2
	s_delay_alu instid0(SALU_CYCLE_1) | instskip(NEXT) | instid1(VALU_DEP_2)
	s_cmp_lg_u32 s6, 0
	v_add_nc_u32_e32 v15, v14, v15
	s_delay_alu instid0(VALU_DEP_2) | instskip(NEXT) | instid1(VALU_DEP_2)
	v_sub_nc_u32_e32 v16, v13, v16
	v_lshrrev_b32_e32 v13, s17, v15
	s_delay_alu instid0(VALU_DEP_2) | instskip(NEXT) | instid1(VALU_DEP_2)
	v_mul_lo_u32 v17, v16, s12
	v_mul_lo_u32 v15, v13, s11
	s_delay_alu instid0(VALU_DEP_1) | instskip(SKIP_2) | instid1(VALU_DEP_3)
	v_sub_nc_u32_e32 v14, v14, v15
	v_mul_lo_u32 v15, v16, s13
	v_mul_lo_u32 v16, v16, s14
	v_mul_lo_u32 v18, v14, s15
	s_waitcnt lgkmcnt(0)
	v_mul_lo_u32 v19, v14, s8
	v_mul_lo_u32 v14, v14, s9
	s_delay_alu instid0(VALU_DEP_3) | instskip(NEXT) | instid1(VALU_DEP_3)
	v_add3_u32 v7, v17, v7, v18
	v_add3_u32 v10, v15, v10, v19
	s_delay_alu instid0(VALU_DEP_3)
	v_add3_u32 v11, v16, v11, v14
	s_cbranch_scc1 .LBB21_49
; %bb.50:
	s_set_inst_prefetch_distance 0x2
	s_bitcmp1_b32 s5, 0
	s_cselect_b32 s5, -1, 0
	s_delay_alu instid0(SALU_CYCLE_1)
	s_and_b32 vcc_lo, exec_lo, s5
	s_cbranch_vccnz .LBB21_53
; %bb.51:
	s_clause 0x3
	s_load_b64 s[6:7], s[2:3], 0x18
	s_load_b32 s5, s[2:3], 0x20
	s_load_b64 s[8:9], s[2:3], 0xd8
	s_load_b32 s2, s[2:3], 0xe0
	s_waitcnt lgkmcnt(0)
	v_mul_hi_u32 v14, s7, v13
	s_delay_alu instid0(VALU_DEP_1) | instskip(NEXT) | instid1(VALU_DEP_1)
	v_add_nc_u32_e32 v14, v13, v14
	v_lshrrev_b32_e32 v14, s5, v14
	s_delay_alu instid0(VALU_DEP_1) | instskip(NEXT) | instid1(VALU_DEP_1)
	v_mul_lo_u32 v14, v14, s6
	v_sub_nc_u32_e32 v17, v13, v14
	s_delay_alu instid0(VALU_DEP_1) | instskip(SKIP_2) | instid1(VALU_DEP_2)
	v_mad_u64_u32 v[13:14], null, v17, s8, v[7:8]
	v_mad_u64_u32 v[14:15], null, v17, s9, v[10:11]
	;; [unrolled: 1-line block ×3, first 2 shown]
	v_dual_mov_b32 v7, v13 :: v_dual_mov_b32 v10, v14
	s_delay_alu instid0(VALU_DEP_2)
	v_mov_b32_e32 v11, v15
	s_branch .LBB21_53
.LBB21_52:
	s_mov_b32 s4, -1
                                        ; implicit-def: $vgpr7
                                        ; implicit-def: $vgpr10
                                        ; implicit-def: $vgpr11
.LBB21_53:
	s_delay_alu instid0(SALU_CYCLE_1)
	s_and_not1_b32 vcc_lo, exec_lo, s4
	s_cbranch_vccnz .LBB21_56
; %bb.54:
	s_clause 0x1
	s_load_b128 s[4:7], s[0:1], 0x4
	s_load_b128 s[8:11], s[0:1], 0xc4
	s_cmp_lt_u32 s22, 2
	s_waitcnt lgkmcnt(0)
	v_mul_hi_u32 v7, s5, v12
	s_delay_alu instid0(VALU_DEP_1) | instskip(NEXT) | instid1(VALU_DEP_1)
	v_add_nc_u32_e32 v7, v12, v7
	v_lshrrev_b32_e32 v13, s6, v7
	s_delay_alu instid0(VALU_DEP_1) | instskip(NEXT) | instid1(VALU_DEP_1)
	v_mul_lo_u32 v7, v13, s4
	v_sub_nc_u32_e32 v11, v12, v7
	s_delay_alu instid0(VALU_DEP_1)
	v_mul_lo_u32 v7, v11, s8
	v_mul_lo_u32 v10, v11, s9
	;; [unrolled: 1-line block ×3, first 2 shown]
	s_cbranch_scc1 .LBB21_56
; %bb.55:
	s_clause 0x1
	s_load_b128 s[4:7], s[0:1], 0x10
	s_load_b128 s[8:11], s[0:1], 0xd0
	s_waitcnt lgkmcnt(0)
	v_mul_hi_u32 v12, s5, v13
	s_delay_alu instid0(VALU_DEP_1) | instskip(NEXT) | instid1(VALU_DEP_1)
	v_add_nc_u32_e32 v12, v13, v12
	v_lshrrev_b32_e32 v12, s6, v12
	s_delay_alu instid0(VALU_DEP_1) | instskip(NEXT) | instid1(VALU_DEP_1)
	v_mul_lo_u32 v12, v12, s4
	v_sub_nc_u32_e32 v16, v13, v12
	s_delay_alu instid0(VALU_DEP_1) | instskip(SKIP_1) | instid1(VALU_DEP_2)
	v_mad_u64_u32 v[12:13], null, v16, s8, v[7:8]
	v_mad_u64_u32 v[13:14], null, v16, s9, v[10:11]
	;; [unrolled: 1-line block ×3, first 2 shown]
	s_delay_alu instid0(VALU_DEP_2) | instskip(NEXT) | instid1(VALU_DEP_2)
	v_dual_mov_b32 v7, v12 :: v_dual_mov_b32 v10, v13
	v_mov_b32_e32 v11, v14
.LBB21_56:
	s_clause 0x1
	s_load_b64 s[4:5], s[0:1], 0x198
	s_load_b128 s[0:3], s[0:1], 0x188
	s_mov_b32 s8, exec_lo
	s_waitcnt lgkmcnt(0)
	global_load_b64 v[12:13], v4, s[4:5]
	s_waitcnt vmcnt(0)
	v_trunc_f64_e32 v[14:15], v[12:13]
	v_cmp_class_f64_e64 vcc_lo, v[12:13], 0x1f8
	v_mov_b32_e32 v12, 0
	v_mov_b32_e32 v13, 0
	s_delay_alu instid0(VALU_DEP_4) | instskip(NEXT) | instid1(VALU_DEP_1)
	v_ldexp_f64 v[16:17], v[14:15], 0xffffffe0
	v_floor_f64_e32 v[16:17], v[16:17]
	s_delay_alu instid0(VALU_DEP_1) | instskip(SKIP_1) | instid1(VALU_DEP_2)
	v_fma_f64 v[14:15], 0xc1f00000, v[16:17], v[14:15]
	v_cvt_i32_f64_e32 v4, v[16:17]
	v_cvt_u32_f64_e32 v14, v[14:15]
	s_delay_alu instid0(VALU_DEP_1) | instskip(NEXT) | instid1(VALU_DEP_1)
	v_dual_cndmask_b32 v15, -1, v4 :: v_dual_cndmask_b32 v14, -1, v14
	v_cmpx_lt_i64_e32 -1, v[14:15]
	s_cbranch_execz .LBB21_68
; %bb.57:
	v_mov_b32_e32 v12, 0
	v_mov_b32_e32 v13, 0x3ff00000
	s_mov_b32 s9, exec_lo
	v_cmpx_lt_i64_e32 0, v[14:15]
	s_cbranch_execz .LBB21_67
; %bb.58:
	global_load_b64 v[3:4], v3, s[2:3]
                                        ; implicit-def: $vgpr12_vgpr13
	s_mov_b32 s6, exec_lo
	v_cmpx_ne_u64_e32 1, v[14:15]
	s_xor_b32 s10, exec_lo, s6
	s_cbranch_execz .LBB21_64
; %bb.59:
	v_mov_b32_e32 v12, 0
	v_mov_b32_e32 v13, 0x7ff80000
	s_mov_b32 s11, exec_lo
	v_cmpx_gt_u64_e32 0x201, v[14:15]
	s_cbranch_execz .LBB21_63
; %bb.60:
	s_waitcnt vmcnt(0)
	v_add_f64 v[3:4], v[3:4], v[3:4]
	v_lshlrev_b64 v[14:15], 1, v[14:15]
	v_mov_b32_e32 v16, 0
	v_mov_b32_e32 v17, 0x3ff00000
	s_mov_b64 s[6:7], 2
	s_mov_b32 s12, 0
	s_delay_alu instid0(VALU_DEP_4)
	v_dual_mov_b32 v13, v4 :: v_dual_mov_b32 v12, v3
	.p2align	6
.LBB21_61:                              ; =>This Inner Loop Header: Depth=1
	v_cvt_f64_u32_e32 v[18:19], s7
	v_cvt_f64_u32_e32 v[20:21], s6
	s_add_u32 s6, s6, 2
	s_addc_u32 s7, s7, 0
	s_delay_alu instid0(SALU_CYCLE_1) | instskip(SKIP_1) | instid1(VALU_DEP_3)
	v_cmp_ge_u64_e32 vcc_lo, s[6:7], v[14:15]
	s_or_b32 s12, vcc_lo, s12
	v_ldexp_f64 v[18:19], v[18:19], 32
	s_delay_alu instid0(VALU_DEP_1) | instskip(NEXT) | instid1(VALU_DEP_1)
	v_add_f64 v[18:19], v[18:19], v[20:21]
	v_mul_f64 v[16:17], v[16:17], v[18:19]
	v_dual_mov_b32 v19, v13 :: v_dual_mov_b32 v18, v12
	s_delay_alu instid0(VALU_DEP_1)
	v_fma_f64 v[12:13], v[3:4], v[18:19], -v[16:17]
	v_dual_mov_b32 v16, v18 :: v_dual_mov_b32 v17, v19
	s_and_not1_b32 exec_lo, exec_lo, s12
	s_cbranch_execnz .LBB21_61
; %bb.62:
	s_or_b32 exec_lo, exec_lo, s12
.LBB21_63:
	s_delay_alu instid0(SALU_CYCLE_1)
	s_or_b32 exec_lo, exec_lo, s11
                                        ; implicit-def: $vgpr3_vgpr4
.LBB21_64:
	s_and_not1_saveexec_b32 s6, s10
	s_cbranch_execz .LBB21_66
; %bb.65:
	s_waitcnt vmcnt(0)
	v_add_f64 v[12:13], v[3:4], v[3:4]
.LBB21_66:
	s_or_b32 exec_lo, exec_lo, s6
.LBB21_67:
	s_delay_alu instid0(SALU_CYCLE_1)
	s_or_b32 exec_lo, exec_lo, s9
.LBB21_68:
	s_delay_alu instid0(SALU_CYCLE_1)
	s_or_b32 exec_lo, exec_lo, s8
	global_load_b64 v[3:4], v6, s[4:5]
	s_mov_b32 s8, exec_lo
	s_waitcnt vmcnt(0)
	v_trunc_f64_e32 v[14:15], v[3:4]
	v_cmp_class_f64_e64 vcc_lo, v[3:4], 0x1f8
	v_mov_b32_e32 v3, 0
	v_mov_b32_e32 v4, 0
	s_delay_alu instid0(VALU_DEP_4) | instskip(NEXT) | instid1(VALU_DEP_1)
	v_ldexp_f64 v[16:17], v[14:15], 0xffffffe0
	v_floor_f64_e32 v[16:17], v[16:17]
	s_delay_alu instid0(VALU_DEP_1) | instskip(SKIP_1) | instid1(VALU_DEP_2)
	v_fma_f64 v[14:15], 0xc1f00000, v[16:17], v[14:15]
	v_cvt_i32_f64_e32 v6, v[16:17]
	v_cvt_u32_f64_e32 v14, v[14:15]
	s_delay_alu instid0(VALU_DEP_2) | instskip(NEXT) | instid1(VALU_DEP_2)
	v_cndmask_b32_e32 v15, -1, v6, vcc_lo
	v_cndmask_b32_e32 v14, -1, v14, vcc_lo
	s_delay_alu instid0(VALU_DEP_1)
	v_cmpx_lt_i64_e32 -1, v[14:15]
	s_cbranch_execz .LBB21_80
; %bb.69:
	v_mov_b32_e32 v3, 0
	v_mov_b32_e32 v4, 0x3ff00000
	s_mov_b32 s9, exec_lo
	v_cmpx_lt_i64_e32 0, v[14:15]
	s_cbranch_execz .LBB21_79
; %bb.70:
	global_load_b64 v[5:6], v5, s[2:3]
                                        ; implicit-def: $vgpr3_vgpr4
	s_mov_b32 s6, exec_lo
	v_cmpx_ne_u64_e32 1, v[14:15]
	s_xor_b32 s10, exec_lo, s6
	s_cbranch_execz .LBB21_76
; %bb.71:
	v_mov_b32_e32 v3, 0
	v_mov_b32_e32 v4, 0x7ff80000
	s_mov_b32 s11, exec_lo
	v_cmpx_gt_u64_e32 0x201, v[14:15]
	s_cbranch_execz .LBB21_75
; %bb.72:
	s_waitcnt vmcnt(0)
	v_add_f64 v[5:6], v[5:6], v[5:6]
	v_lshlrev_b64 v[14:15], 1, v[14:15]
	v_mov_b32_e32 v16, 0
	v_mov_b32_e32 v17, 0x3ff00000
	s_mov_b64 s[6:7], 2
	s_mov_b32 s12, 0
	s_delay_alu instid0(VALU_DEP_4)
	v_dual_mov_b32 v3, v5 :: v_dual_mov_b32 v4, v6
	.p2align	6
.LBB21_73:                              ; =>This Inner Loop Header: Depth=1
	v_cvt_f64_u32_e32 v[18:19], s7
	v_cvt_f64_u32_e32 v[20:21], s6
	s_add_u32 s6, s6, 2
	s_addc_u32 s7, s7, 0
	s_delay_alu instid0(SALU_CYCLE_1) | instskip(SKIP_1) | instid1(VALU_DEP_3)
	v_cmp_ge_u64_e32 vcc_lo, s[6:7], v[14:15]
	s_or_b32 s12, vcc_lo, s12
	v_ldexp_f64 v[18:19], v[18:19], 32
	s_delay_alu instid0(VALU_DEP_1) | instskip(NEXT) | instid1(VALU_DEP_1)
	v_add_f64 v[18:19], v[18:19], v[20:21]
	v_mul_f64 v[16:17], v[16:17], v[18:19]
	v_dual_mov_b32 v19, v4 :: v_dual_mov_b32 v18, v3
	s_delay_alu instid0(VALU_DEP_1)
	v_fma_f64 v[3:4], v[5:6], v[18:19], -v[16:17]
	v_dual_mov_b32 v16, v18 :: v_dual_mov_b32 v17, v19
	s_and_not1_b32 exec_lo, exec_lo, s12
	s_cbranch_execnz .LBB21_73
; %bb.74:
	s_or_b32 exec_lo, exec_lo, s12
.LBB21_75:
	s_delay_alu instid0(SALU_CYCLE_1)
	s_or_b32 exec_lo, exec_lo, s11
                                        ; implicit-def: $vgpr5_vgpr6
.LBB21_76:
	s_and_not1_saveexec_b32 s6, s10
	s_cbranch_execz .LBB21_78
; %bb.77:
	s_waitcnt vmcnt(0)
	v_add_f64 v[3:4], v[5:6], v[5:6]
.LBB21_78:
	s_or_b32 exec_lo, exec_lo, s6
.LBB21_79:
	s_delay_alu instid0(SALU_CYCLE_1)
	s_or_b32 exec_lo, exec_lo, s9
.LBB21_80:
	s_delay_alu instid0(SALU_CYCLE_1)
	s_or_b32 exec_lo, exec_lo, s8
	global_load_b64 v[5:6], v9, s[4:5]
	s_mov_b32 s8, exec_lo
	s_waitcnt vmcnt(0)
	v_trunc_f64_e32 v[14:15], v[5:6]
	v_cmp_class_f64_e64 vcc_lo, v[5:6], 0x1f8
	v_mov_b32_e32 v5, 0
	v_mov_b32_e32 v6, 0
	s_delay_alu instid0(VALU_DEP_4) | instskip(NEXT) | instid1(VALU_DEP_1)
	v_ldexp_f64 v[16:17], v[14:15], 0xffffffe0
	v_floor_f64_e32 v[16:17], v[16:17]
	s_delay_alu instid0(VALU_DEP_1) | instskip(SKIP_1) | instid1(VALU_DEP_2)
	v_fma_f64 v[14:15], 0xc1f00000, v[16:17], v[14:15]
	v_cvt_i32_f64_e32 v9, v[16:17]
	v_cvt_u32_f64_e32 v14, v[14:15]
	s_delay_alu instid0(VALU_DEP_1) | instskip(NEXT) | instid1(VALU_DEP_1)
	v_dual_cndmask_b32 v15, -1, v9 :: v_dual_cndmask_b32 v14, -1, v14
	v_cmpx_lt_i64_e32 -1, v[14:15]
	s_cbranch_execz .LBB21_92
; %bb.81:
	v_mov_b32_e32 v5, 0
	v_mov_b32_e32 v6, 0x3ff00000
	s_mov_b32 s9, exec_lo
	v_cmpx_lt_i64_e32 0, v[14:15]
	s_cbranch_execz .LBB21_91
; %bb.82:
	global_load_b64 v[8:9], v8, s[2:3]
                                        ; implicit-def: $vgpr5_vgpr6
	s_mov_b32 s6, exec_lo
	v_cmpx_ne_u64_e32 1, v[14:15]
	s_xor_b32 s10, exec_lo, s6
	s_cbranch_execz .LBB21_88
; %bb.83:
	v_mov_b32_e32 v5, 0
	v_mov_b32_e32 v6, 0x7ff80000
	s_mov_b32 s11, exec_lo
	v_cmpx_gt_u64_e32 0x201, v[14:15]
	s_cbranch_execz .LBB21_87
; %bb.84:
	s_waitcnt vmcnt(0)
	v_add_f64 v[8:9], v[8:9], v[8:9]
	v_lshlrev_b64 v[14:15], 1, v[14:15]
	v_mov_b32_e32 v16, 0
	v_mov_b32_e32 v17, 0x3ff00000
	s_mov_b64 s[6:7], 2
	s_mov_b32 s12, 0
	s_delay_alu instid0(VALU_DEP_4)
	v_dual_mov_b32 v5, v8 :: v_dual_mov_b32 v6, v9
	.p2align	6
.LBB21_85:                              ; =>This Inner Loop Header: Depth=1
	v_cvt_f64_u32_e32 v[18:19], s7
	v_cvt_f64_u32_e32 v[20:21], s6
	s_add_u32 s6, s6, 2
	s_addc_u32 s7, s7, 0
	s_delay_alu instid0(SALU_CYCLE_1) | instskip(SKIP_1) | instid1(VALU_DEP_3)
	v_cmp_ge_u64_e32 vcc_lo, s[6:7], v[14:15]
	s_or_b32 s12, vcc_lo, s12
	v_ldexp_f64 v[18:19], v[18:19], 32
	s_delay_alu instid0(VALU_DEP_1) | instskip(NEXT) | instid1(VALU_DEP_1)
	v_add_f64 v[18:19], v[18:19], v[20:21]
	v_mul_f64 v[16:17], v[16:17], v[18:19]
	v_dual_mov_b32 v19, v6 :: v_dual_mov_b32 v18, v5
	s_delay_alu instid0(VALU_DEP_1)
	v_fma_f64 v[5:6], v[8:9], v[18:19], -v[16:17]
	v_dual_mov_b32 v16, v18 :: v_dual_mov_b32 v17, v19
	s_and_not1_b32 exec_lo, exec_lo, s12
	s_cbranch_execnz .LBB21_85
; %bb.86:
	s_or_b32 exec_lo, exec_lo, s12
.LBB21_87:
	s_delay_alu instid0(SALU_CYCLE_1)
	s_or_b32 exec_lo, exec_lo, s11
                                        ; implicit-def: $vgpr8_vgpr9
.LBB21_88:
	s_and_not1_saveexec_b32 s6, s10
	s_cbranch_execz .LBB21_90
; %bb.89:
	s_waitcnt vmcnt(0)
	v_add_f64 v[5:6], v[8:9], v[8:9]
.LBB21_90:
	s_or_b32 exec_lo, exec_lo, s6
.LBB21_91:
	s_delay_alu instid0(SALU_CYCLE_1)
	s_or_b32 exec_lo, exec_lo, s9
.LBB21_92:
	s_delay_alu instid0(SALU_CYCLE_1)
	s_or_b32 exec_lo, exec_lo, s8
	global_load_b64 v[8:9], v11, s[4:5]
	s_mov_b32 s4, exec_lo
	s_waitcnt vmcnt(0)
	v_trunc_f64_e32 v[14:15], v[8:9]
	v_cmp_class_f64_e64 vcc_lo, v[8:9], 0x1f8
	v_mov_b32_e32 v8, 0
	v_mov_b32_e32 v9, 0
	s_delay_alu instid0(VALU_DEP_4) | instskip(NEXT) | instid1(VALU_DEP_1)
	v_ldexp_f64 v[16:17], v[14:15], 0xffffffe0
	v_floor_f64_e32 v[16:17], v[16:17]
	s_delay_alu instid0(VALU_DEP_1) | instskip(SKIP_1) | instid1(VALU_DEP_2)
	v_fma_f64 v[14:15], 0xc1f00000, v[16:17], v[14:15]
	v_cvt_i32_f64_e32 v11, v[16:17]
	v_cvt_u32_f64_e32 v14, v[14:15]
	s_delay_alu instid0(VALU_DEP_1) | instskip(NEXT) | instid1(VALU_DEP_1)
	v_dual_cndmask_b32 v15, -1, v11 :: v_dual_cndmask_b32 v14, -1, v14
	v_cmpx_lt_i64_e32 -1, v[14:15]
	s_cbranch_execz .LBB21_104
; %bb.93:
	v_mov_b32_e32 v8, 0
	v_mov_b32_e32 v9, 0x3ff00000
	s_mov_b32 s5, exec_lo
	v_cmpx_lt_i64_e32 0, v[14:15]
	s_cbranch_execz .LBB21_103
; %bb.94:
	global_load_b64 v[10:11], v10, s[2:3]
                                        ; implicit-def: $vgpr8_vgpr9
	s_mov_b32 s2, exec_lo
	v_cmpx_ne_u64_e32 1, v[14:15]
	s_xor_b32 s6, exec_lo, s2
	s_cbranch_execz .LBB21_100
; %bb.95:
	v_mov_b32_e32 v8, 0
	v_mov_b32_e32 v9, 0x7ff80000
	s_mov_b32 s7, exec_lo
	v_cmpx_gt_u64_e32 0x201, v[14:15]
	s_cbranch_execz .LBB21_99
; %bb.96:
	s_waitcnt vmcnt(0)
	v_add_f64 v[10:11], v[10:11], v[10:11]
	v_mov_b32_e32 v16, 0
	v_lshlrev_b64 v[14:15], 1, v[14:15]
	v_mov_b32_e32 v17, 0x3ff00000
	s_mov_b64 s[2:3], 2
	s_mov_b32 s8, 0
	s_delay_alu instid0(VALU_DEP_4)
	v_dual_mov_b32 v8, v10 :: v_dual_mov_b32 v9, v11
	.p2align	6
.LBB21_97:                              ; =>This Inner Loop Header: Depth=1
	v_cvt_f64_u32_e32 v[18:19], s3
	v_cvt_f64_u32_e32 v[20:21], s2
	s_add_u32 s2, s2, 2
	s_addc_u32 s3, s3, 0
	s_delay_alu instid0(SALU_CYCLE_1) | instskip(SKIP_1) | instid1(VALU_DEP_3)
	v_cmp_ge_u64_e32 vcc_lo, s[2:3], v[14:15]
	s_or_b32 s8, vcc_lo, s8
	v_ldexp_f64 v[18:19], v[18:19], 32
	s_delay_alu instid0(VALU_DEP_1) | instskip(NEXT) | instid1(VALU_DEP_1)
	v_add_f64 v[18:19], v[18:19], v[20:21]
	v_mul_f64 v[16:17], v[16:17], v[18:19]
	v_dual_mov_b32 v19, v9 :: v_dual_mov_b32 v18, v8
	s_delay_alu instid0(VALU_DEP_1)
	v_fma_f64 v[8:9], v[10:11], v[18:19], -v[16:17]
	v_dual_mov_b32 v16, v18 :: v_dual_mov_b32 v17, v19
	s_and_not1_b32 exec_lo, exec_lo, s8
	s_cbranch_execnz .LBB21_97
; %bb.98:
	s_or_b32 exec_lo, exec_lo, s8
.LBB21_99:
	s_delay_alu instid0(SALU_CYCLE_1)
	s_or_b32 exec_lo, exec_lo, s7
                                        ; implicit-def: $vgpr10_vgpr11
.LBB21_100:
	s_and_not1_saveexec_b32 s2, s6
	s_cbranch_execz .LBB21_102
; %bb.101:
	s_waitcnt vmcnt(0)
	v_add_f64 v[8:9], v[10:11], v[10:11]
.LBB21_102:
	s_or_b32 exec_lo, exec_lo, s2
.LBB21_103:
	s_delay_alu instid0(SALU_CYCLE_1)
	s_or_b32 exec_lo, exec_lo, s5
.LBB21_104:
	s_delay_alu instid0(SALU_CYCLE_1)
	s_or_b32 exec_lo, exec_lo, s4
	s_clause 0x3
	global_store_b64 v0, v[12:13], s[0:1]
	global_store_b64 v1, v[3:4], s[0:1]
	;; [unrolled: 1-line block ×4, first 2 shown]
	s_nop 0
	s_sendmsg sendmsg(MSG_DEALLOC_VGPRS)
	s_endpgm
.LBB21_105:
	s_mov_b32 s31, -1
                                        ; implicit-def: $vgpr0
                                        ; implicit-def: $vgpr1
                                        ; implicit-def: $vgpr2
.LBB21_106:
	s_delay_alu instid0(SALU_CYCLE_1)
	s_and_not1_b32 vcc_lo, exec_lo, s31
	s_cbranch_vccnz .LBB21_109
; %bb.107:
	s_waitcnt lgkmcnt(0)
	v_mul_hi_u32 v0, s13, v10
	s_and_not1_b32 vcc_lo, exec_lo, s26
	s_delay_alu instid0(VALU_DEP_1) | instskip(NEXT) | instid1(VALU_DEP_1)
	v_add_nc_u32_e32 v0, v10, v0
	v_lshrrev_b32_e32 v3, s14, v0
	s_delay_alu instid0(VALU_DEP_1) | instskip(NEXT) | instid1(VALU_DEP_1)
	v_mul_lo_u32 v0, v3, s12
	v_sub_nc_u32_e32 v2, v10, v0
	s_delay_alu instid0(VALU_DEP_1)
	v_mul_lo_u32 v0, v2, s8
	v_mul_lo_u32 v1, v2, s9
	;; [unrolled: 1-line block ×3, first 2 shown]
	s_cbranch_vccnz .LBB21_109
; %bb.108:
	v_mul_hi_u32 v4, s18, v3
	s_delay_alu instid0(VALU_DEP_1) | instskip(NEXT) | instid1(VALU_DEP_1)
	v_add_nc_u32_e32 v4, v3, v4
	v_lshrrev_b32_e32 v4, s19, v4
	s_delay_alu instid0(VALU_DEP_1) | instskip(NEXT) | instid1(VALU_DEP_1)
	v_mul_lo_u32 v4, v4, s15
	v_sub_nc_u32_e32 v7, v3, v4
	s_delay_alu instid0(VALU_DEP_1) | instskip(SKIP_1) | instid1(VALU_DEP_2)
	v_mad_u64_u32 v[3:4], null, v7, s11, v[0:1]
	v_mad_u64_u32 v[4:5], null, v7, s16, v[1:2]
	;; [unrolled: 1-line block ×3, first 2 shown]
	s_delay_alu instid0(VALU_DEP_2) | instskip(NEXT) | instid1(VALU_DEP_2)
	v_dual_mov_b32 v0, v3 :: v_dual_mov_b32 v1, v4
	v_mov_b32_e32 v2, v5
.LBB21_109:
	s_waitcnt lgkmcnt(0)
	global_load_b64 v[2:3], v2, s[2:3]
	s_mov_b32 s31, exec_lo
	s_waitcnt vmcnt(0)
	v_trunc_f64_e32 v[4:5], v[2:3]
	v_cmp_class_f64_e64 vcc_lo, v[2:3], 0x1f8
	v_mov_b32_e32 v2, 0
	v_mov_b32_e32 v3, 0
	s_delay_alu instid0(VALU_DEP_4) | instskip(NEXT) | instid1(VALU_DEP_1)
	v_ldexp_f64 v[6:7], v[4:5], 0xffffffe0
	v_floor_f64_e32 v[6:7], v[6:7]
	s_delay_alu instid0(VALU_DEP_1) | instskip(SKIP_1) | instid1(VALU_DEP_2)
	v_fma_f64 v[4:5], 0xc1f00000, v[6:7], v[4:5]
	v_cvt_i32_f64_e32 v6, v[6:7]
	v_cvt_u32_f64_e32 v4, v[4:5]
	s_delay_alu instid0(VALU_DEP_1) | instskip(NEXT) | instid1(VALU_DEP_1)
	v_dual_cndmask_b32 v5, -1, v6 :: v_dual_cndmask_b32 v4, -1, v4
	v_cmpx_lt_i64_e32 -1, v[4:5]
	s_cbranch_execz .LBB21_121
; %bb.110:
	v_mov_b32_e32 v2, 0
	v_mov_b32_e32 v3, 0x3ff00000
	s_mov_b32 s33, exec_lo
	v_cmpx_lt_i64_e32 0, v[4:5]
	s_cbranch_execz .LBB21_120
; %bb.111:
	global_load_b64 v[6:7], v1, s[6:7]
                                        ; implicit-def: $vgpr2_vgpr3
	s_mov_b32 s20, exec_lo
	v_cmpx_ne_u64_e32 1, v[4:5]
	s_xor_b32 s34, exec_lo, s20
	s_cbranch_execz .LBB21_117
; %bb.112:
	v_mov_b32_e32 v2, 0
	v_mov_b32_e32 v3, 0x7ff80000
	s_mov_b32 s35, exec_lo
	v_cmpx_gt_u64_e32 0x201, v[4:5]
	s_cbranch_execz .LBB21_116
; %bb.113:
	s_waitcnt vmcnt(0)
	v_add_f64 v[6:7], v[6:7], v[6:7]
	v_mov_b32_e32 v8, 0
	v_lshlrev_b64 v[4:5], 1, v[4:5]
	v_mov_b32_e32 v9, 0x3ff00000
	s_mov_b64 s[20:21], 2
	s_mov_b32 s36, 0
	s_delay_alu instid0(VALU_DEP_4)
	v_dual_mov_b32 v2, v6 :: v_dual_mov_b32 v3, v7
	.p2align	6
.LBB21_114:                             ; =>This Inner Loop Header: Depth=1
	v_cvt_f64_u32_e32 v[11:12], s21
	v_cvt_f64_u32_e32 v[13:14], s20
	s_add_u32 s20, s20, 2
	s_addc_u32 s21, s21, 0
	s_delay_alu instid0(SALU_CYCLE_1) | instskip(SKIP_1) | instid1(VALU_DEP_3)
	v_cmp_ge_u64_e32 vcc_lo, s[20:21], v[4:5]
	s_or_b32 s36, vcc_lo, s36
	v_ldexp_f64 v[11:12], v[11:12], 32
	s_delay_alu instid0(VALU_DEP_1) | instskip(NEXT) | instid1(VALU_DEP_1)
	v_add_f64 v[11:12], v[11:12], v[13:14]
	v_mul_f64 v[8:9], v[8:9], v[11:12]
	v_dual_mov_b32 v12, v3 :: v_dual_mov_b32 v11, v2
	s_delay_alu instid0(VALU_DEP_1)
	v_fma_f64 v[2:3], v[6:7], v[11:12], -v[8:9]
	v_dual_mov_b32 v8, v11 :: v_dual_mov_b32 v9, v12
	s_and_not1_b32 exec_lo, exec_lo, s36
	s_cbranch_execnz .LBB21_114
; %bb.115:
	s_or_b32 exec_lo, exec_lo, s36
.LBB21_116:
	s_delay_alu instid0(SALU_CYCLE_1)
	s_or_b32 exec_lo, exec_lo, s35
                                        ; implicit-def: $vgpr6_vgpr7
.LBB21_117:
	s_and_not1_saveexec_b32 s20, s34
	s_cbranch_execz .LBB21_119
; %bb.118:
	s_waitcnt vmcnt(0)
	v_add_f64 v[2:3], v[6:7], v[6:7]
.LBB21_119:
	s_or_b32 exec_lo, exec_lo, s20
.LBB21_120:
	s_delay_alu instid0(SALU_CYCLE_1)
	s_or_b32 exec_lo, exec_lo, s33
.LBB21_121:
	s_delay_alu instid0(SALU_CYCLE_1) | instskip(SKIP_3) | instid1(SALU_CYCLE_1)
	s_or_b32 exec_lo, exec_lo, s31
	v_add_nc_u32_e32 v10, 0x80, v10
	global_store_b64 v0, v[2:3], s[4:5]
	s_or_b32 exec_lo, exec_lo, s30
	s_mov_b32 s30, exec_lo
	v_cmpx_gt_i32_e64 s28, v10
	s_cbranch_execnz .LBB21_16
.LBB21_122:
	s_or_b32 exec_lo, exec_lo, s30
	s_delay_alu instid0(SALU_CYCLE_1)
	s_mov_b32 s30, exec_lo
	v_cmpx_gt_i32_e64 s28, v10
	s_cbranch_execz .LBB21_146
.LBB21_123:
	s_and_not1_b32 vcc_lo, exec_lo, s24
	s_cbranch_vccnz .LBB21_149
; %bb.124:
	v_dual_mov_b32 v0, 0 :: v_dual_mov_b32 v1, 0
	v_mov_b32_e32 v2, 0
	s_and_not1_b32 vcc_lo, exec_lo, s29
	s_mov_b32 s31, 0
	s_cbranch_vccnz .LBB21_150
; %bb.125:
	s_add_i32 s20, s27, 1
	v_dual_mov_b32 v2, 0 :: v_dual_mov_b32 v1, 0
	v_dual_mov_b32 v0, 0 :: v_dual_mov_b32 v3, v10
	s_and_b32 s33, s20, 30
	s_add_u32 s20, s0, 0xffffffec
	s_addc_u32 s21, s1, -1
	s_set_inst_prefetch_distance 0x1
	.p2align	6
.LBB21_126:                             ; =>This Inner Loop Header: Depth=1
	s_clause 0x2
	s_load_b128 s[36:39], s[20:21], 0x18
	s_load_b64 s[34:35], s[20:21], 0x28
	s_load_b128 s[40:43], s[20:21], 0xd8
	s_waitcnt lgkmcnt(0)
	v_mul_hi_u32 v4, s37, v3
	s_delay_alu instid0(VALU_DEP_1) | instskip(NEXT) | instid1(VALU_DEP_1)
	v_add_nc_u32_e32 v4, v3, v4
	v_lshrrev_b32_e32 v4, s38, v4
	s_delay_alu instid0(VALU_DEP_1)
	v_mul_hi_u32 v5, s34, v4
	s_waitcnt vmcnt(0)
	v_mul_lo_u32 v6, v4, s36
	s_load_b64 s[36:37], s[20:21], 0xe8
	s_add_u32 s20, s20, 24
	s_addc_u32 s21, s21, 0
	s_add_i32 s33, s33, -2
	s_delay_alu instid0(SALU_CYCLE_1) | instskip(SKIP_1) | instid1(VALU_DEP_2)
	s_cmp_eq_u32 s33, 0
	v_add_nc_u32_e32 v5, v4, v5
	v_sub_nc_u32_e32 v6, v3, v6
	s_delay_alu instid0(VALU_DEP_2) | instskip(NEXT) | instid1(VALU_DEP_2)
	v_lshrrev_b32_e32 v3, s35, v5
	v_mul_lo_u32 v7, v6, s40
	s_delay_alu instid0(VALU_DEP_2) | instskip(NEXT) | instid1(VALU_DEP_1)
	v_mul_lo_u32 v5, v3, s39
	v_sub_nc_u32_e32 v4, v4, v5
	v_mul_lo_u32 v5, v6, s41
	v_mul_lo_u32 v6, v6, s42
	s_delay_alu instid0(VALU_DEP_3) | instskip(SKIP_3) | instid1(VALU_DEP_3)
	v_mul_lo_u32 v8, v4, s43
	s_waitcnt lgkmcnt(0)
	v_mul_lo_u32 v9, v4, s36
	v_mul_lo_u32 v4, v4, s37
	v_add3_u32 v0, v7, v0, v8
	s_delay_alu instid0(VALU_DEP_3) | instskip(NEXT) | instid1(VALU_DEP_3)
	v_add3_u32 v1, v5, v1, v9
	v_add3_u32 v2, v6, v2, v4
	s_cbranch_scc0 .LBB21_126
; %bb.127:
	s_set_inst_prefetch_distance 0x2
	s_bitcmp1_b32 s27, 0
	s_cselect_b32 s33, -1, 0
	s_delay_alu instid0(SALU_CYCLE_1)
	s_and_b32 vcc_lo, exec_lo, s33
	s_cbranch_vccnz .LBB21_150
; %bb.128:
	s_clause 0x3
	s_load_b64 s[34:35], s[20:21], 0x18
	s_load_b32 s33, s[20:21], 0x20
	s_load_b64 s[36:37], s[20:21], 0xd8
	s_load_b32 s20, s[20:21], 0xe0
	s_waitcnt lgkmcnt(0)
	v_mul_hi_u32 v4, s35, v3
	s_delay_alu instid0(VALU_DEP_1) | instskip(NEXT) | instid1(VALU_DEP_1)
	v_add_nc_u32_e32 v4, v3, v4
	v_lshrrev_b32_e32 v4, s33, v4
	s_delay_alu instid0(VALU_DEP_1) | instskip(NEXT) | instid1(VALU_DEP_1)
	v_mul_lo_u32 v4, v4, s34
	v_sub_nc_u32_e32 v7, v3, v4
	s_delay_alu instid0(VALU_DEP_1) | instskip(SKIP_1) | instid1(VALU_DEP_2)
	v_mad_u64_u32 v[3:4], null, v7, s36, v[0:1]
	v_mad_u64_u32 v[4:5], null, v7, s37, v[1:2]
	;; [unrolled: 1-line block ×3, first 2 shown]
	s_delay_alu instid0(VALU_DEP_2) | instskip(NEXT) | instid1(VALU_DEP_2)
	v_dual_mov_b32 v0, v3 :: v_dual_mov_b32 v1, v4
	v_mov_b32_e32 v2, v5
	s_branch .LBB21_150
.LBB21_129:
	s_mov_b32 s31, -1
                                        ; implicit-def: $vgpr0
                                        ; implicit-def: $vgpr1
                                        ; implicit-def: $vgpr2
.LBB21_130:
	s_delay_alu instid0(SALU_CYCLE_1)
	s_and_not1_b32 vcc_lo, exec_lo, s31
	s_cbranch_vccnz .LBB21_133
; %bb.131:
	s_waitcnt lgkmcnt(0)
	v_mul_hi_u32 v0, s13, v10
	s_and_not1_b32 vcc_lo, exec_lo, s26
	s_delay_alu instid0(VALU_DEP_1) | instskip(NEXT) | instid1(VALU_DEP_1)
	v_add_nc_u32_e32 v0, v10, v0
	v_lshrrev_b32_e32 v3, s14, v0
	s_delay_alu instid0(VALU_DEP_1) | instskip(NEXT) | instid1(VALU_DEP_1)
	v_mul_lo_u32 v0, v3, s12
	v_sub_nc_u32_e32 v2, v10, v0
	s_delay_alu instid0(VALU_DEP_1)
	v_mul_lo_u32 v0, v2, s8
	v_mul_lo_u32 v1, v2, s9
	;; [unrolled: 1-line block ×3, first 2 shown]
	s_cbranch_vccnz .LBB21_133
; %bb.132:
	v_mul_hi_u32 v4, s18, v3
	s_delay_alu instid0(VALU_DEP_1) | instskip(NEXT) | instid1(VALU_DEP_1)
	v_add_nc_u32_e32 v4, v3, v4
	v_lshrrev_b32_e32 v4, s19, v4
	s_delay_alu instid0(VALU_DEP_1) | instskip(SKIP_1) | instid1(VALU_DEP_1)
	v_mul_lo_u32 v4, v4, s15
	s_waitcnt vmcnt(0)
	v_sub_nc_u32_e32 v7, v3, v4
	s_delay_alu instid0(VALU_DEP_1) | instskip(SKIP_1) | instid1(VALU_DEP_2)
	v_mad_u64_u32 v[3:4], null, v7, s11, v[0:1]
	v_mad_u64_u32 v[4:5], null, v7, s16, v[1:2]
	;; [unrolled: 1-line block ×3, first 2 shown]
	s_delay_alu instid0(VALU_DEP_2) | instskip(NEXT) | instid1(VALU_DEP_2)
	v_dual_mov_b32 v0, v3 :: v_dual_mov_b32 v1, v4
	v_mov_b32_e32 v2, v5
.LBB21_133:
	s_waitcnt lgkmcnt(0)
	global_load_b64 v[2:3], v2, s[2:3]
	s_mov_b32 s31, exec_lo
	s_waitcnt vmcnt(0)
	v_trunc_f64_e32 v[4:5], v[2:3]
	v_cmp_class_f64_e64 vcc_lo, v[2:3], 0x1f8
	v_mov_b32_e32 v2, 0
	v_mov_b32_e32 v3, 0
	s_delay_alu instid0(VALU_DEP_4) | instskip(NEXT) | instid1(VALU_DEP_1)
	v_ldexp_f64 v[6:7], v[4:5], 0xffffffe0
	v_floor_f64_e32 v[6:7], v[6:7]
	s_delay_alu instid0(VALU_DEP_1) | instskip(SKIP_1) | instid1(VALU_DEP_2)
	v_fma_f64 v[4:5], 0xc1f00000, v[6:7], v[4:5]
	v_cvt_i32_f64_e32 v6, v[6:7]
	v_cvt_u32_f64_e32 v4, v[4:5]
	s_delay_alu instid0(VALU_DEP_1) | instskip(NEXT) | instid1(VALU_DEP_1)
	v_dual_cndmask_b32 v5, -1, v6 :: v_dual_cndmask_b32 v4, -1, v4
	v_cmpx_lt_i64_e32 -1, v[4:5]
	s_cbranch_execz .LBB21_145
; %bb.134:
	v_mov_b32_e32 v2, 0
	v_mov_b32_e32 v3, 0x3ff00000
	s_mov_b32 s33, exec_lo
	v_cmpx_lt_i64_e32 0, v[4:5]
	s_cbranch_execz .LBB21_144
; %bb.135:
	global_load_b64 v[6:7], v1, s[6:7]
                                        ; implicit-def: $vgpr2_vgpr3
	s_mov_b32 s20, exec_lo
	v_cmpx_ne_u64_e32 1, v[4:5]
	s_xor_b32 s34, exec_lo, s20
	s_cbranch_execz .LBB21_141
; %bb.136:
	v_mov_b32_e32 v2, 0
	v_mov_b32_e32 v3, 0x7ff80000
	s_mov_b32 s35, exec_lo
	v_cmpx_gt_u64_e32 0x201, v[4:5]
	s_cbranch_execz .LBB21_140
; %bb.137:
	s_waitcnt vmcnt(0)
	v_add_f64 v[6:7], v[6:7], v[6:7]
	v_mov_b32_e32 v8, 0
	v_lshlrev_b64 v[4:5], 1, v[4:5]
	v_mov_b32_e32 v9, 0x3ff00000
	s_mov_b64 s[20:21], 2
	s_mov_b32 s36, 0
	s_delay_alu instid0(VALU_DEP_4)
	v_dual_mov_b32 v2, v6 :: v_dual_mov_b32 v3, v7
	.p2align	6
.LBB21_138:                             ; =>This Inner Loop Header: Depth=1
	v_cvt_f64_u32_e32 v[11:12], s21
	v_cvt_f64_u32_e32 v[13:14], s20
	s_add_u32 s20, s20, 2
	s_addc_u32 s21, s21, 0
	s_delay_alu instid0(SALU_CYCLE_1) | instskip(SKIP_1) | instid1(VALU_DEP_3)
	v_cmp_ge_u64_e32 vcc_lo, s[20:21], v[4:5]
	s_or_b32 s36, vcc_lo, s36
	v_ldexp_f64 v[11:12], v[11:12], 32
	s_delay_alu instid0(VALU_DEP_1) | instskip(NEXT) | instid1(VALU_DEP_1)
	v_add_f64 v[11:12], v[11:12], v[13:14]
	v_mul_f64 v[8:9], v[8:9], v[11:12]
	v_dual_mov_b32 v12, v3 :: v_dual_mov_b32 v11, v2
	s_delay_alu instid0(VALU_DEP_1)
	v_fma_f64 v[2:3], v[6:7], v[11:12], -v[8:9]
	v_dual_mov_b32 v8, v11 :: v_dual_mov_b32 v9, v12
	s_and_not1_b32 exec_lo, exec_lo, s36
	s_cbranch_execnz .LBB21_138
; %bb.139:
	s_or_b32 exec_lo, exec_lo, s36
.LBB21_140:
	s_delay_alu instid0(SALU_CYCLE_1)
	s_or_b32 exec_lo, exec_lo, s35
                                        ; implicit-def: $vgpr6_vgpr7
.LBB21_141:
	s_and_not1_saveexec_b32 s20, s34
	s_cbranch_execz .LBB21_143
; %bb.142:
	s_waitcnt vmcnt(0)
	v_add_f64 v[2:3], v[6:7], v[6:7]
.LBB21_143:
	s_or_b32 exec_lo, exec_lo, s20
.LBB21_144:
	s_delay_alu instid0(SALU_CYCLE_1)
	s_or_b32 exec_lo, exec_lo, s33
.LBB21_145:
	s_delay_alu instid0(SALU_CYCLE_1) | instskip(SKIP_3) | instid1(SALU_CYCLE_1)
	s_or_b32 exec_lo, exec_lo, s31
	v_add_nc_u32_e32 v10, 0x80, v10
	global_store_b64 v0, v[2:3], s[4:5]
	s_or_b32 exec_lo, exec_lo, s30
	s_mov_b32 s30, exec_lo
	v_cmpx_gt_i32_e64 s28, v10
	s_cbranch_execnz .LBB21_123
.LBB21_146:
	s_or_b32 exec_lo, exec_lo, s30
	v_cmp_gt_i32_e32 vcc_lo, s28, v10
	s_and_saveexec_b32 s28, vcc_lo
	s_cbranch_execnz .LBB21_166
.LBB21_147:
	s_or_b32 exec_lo, exec_lo, s28
                                        ; implicit-def: $vgpr12
                                        ; implicit-def: $vgpr10
	s_waitcnt lgkmcnt(0)
	s_and_not1_saveexec_b32 s2, s25
	s_cbranch_execnz .LBB21_9
.LBB21_148:
	s_nop 0
	s_sendmsg sendmsg(MSG_DEALLOC_VGPRS)
	s_endpgm
.LBB21_149:
	s_mov_b32 s31, -1
                                        ; implicit-def: $vgpr0
                                        ; implicit-def: $vgpr1
                                        ; implicit-def: $vgpr2
.LBB21_150:
	s_delay_alu instid0(SALU_CYCLE_1)
	s_and_not1_b32 vcc_lo, exec_lo, s31
	s_cbranch_vccnz .LBB21_153
; %bb.151:
	s_waitcnt lgkmcnt(0)
	v_mul_hi_u32 v0, s13, v10
	s_and_not1_b32 vcc_lo, exec_lo, s26
	s_delay_alu instid0(VALU_DEP_1) | instskip(NEXT) | instid1(VALU_DEP_1)
	v_add_nc_u32_e32 v0, v10, v0
	v_lshrrev_b32_e32 v3, s14, v0
	s_delay_alu instid0(VALU_DEP_1) | instskip(NEXT) | instid1(VALU_DEP_1)
	v_mul_lo_u32 v0, v3, s12
	v_sub_nc_u32_e32 v2, v10, v0
	s_delay_alu instid0(VALU_DEP_1)
	v_mul_lo_u32 v0, v2, s8
	v_mul_lo_u32 v1, v2, s9
	;; [unrolled: 1-line block ×3, first 2 shown]
	s_cbranch_vccnz .LBB21_153
; %bb.152:
	v_mul_hi_u32 v4, s18, v3
	s_delay_alu instid0(VALU_DEP_1) | instskip(NEXT) | instid1(VALU_DEP_1)
	v_add_nc_u32_e32 v4, v3, v4
	v_lshrrev_b32_e32 v4, s19, v4
	s_delay_alu instid0(VALU_DEP_1) | instskip(SKIP_1) | instid1(VALU_DEP_1)
	v_mul_lo_u32 v4, v4, s15
	s_waitcnt vmcnt(0)
	v_sub_nc_u32_e32 v7, v3, v4
	s_delay_alu instid0(VALU_DEP_1) | instskip(SKIP_1) | instid1(VALU_DEP_2)
	v_mad_u64_u32 v[3:4], null, v7, s11, v[0:1]
	v_mad_u64_u32 v[4:5], null, v7, s16, v[1:2]
	;; [unrolled: 1-line block ×3, first 2 shown]
	s_delay_alu instid0(VALU_DEP_2) | instskip(NEXT) | instid1(VALU_DEP_2)
	v_dual_mov_b32 v0, v3 :: v_dual_mov_b32 v1, v4
	v_mov_b32_e32 v2, v5
.LBB21_153:
	s_waitcnt lgkmcnt(0)
	global_load_b64 v[2:3], v2, s[2:3]
	s_mov_b32 s31, exec_lo
	s_waitcnt vmcnt(0)
	v_trunc_f64_e32 v[4:5], v[2:3]
	v_cmp_class_f64_e64 vcc_lo, v[2:3], 0x1f8
	v_mov_b32_e32 v2, 0
	v_mov_b32_e32 v3, 0
	s_delay_alu instid0(VALU_DEP_4) | instskip(NEXT) | instid1(VALU_DEP_1)
	v_ldexp_f64 v[6:7], v[4:5], 0xffffffe0
	v_floor_f64_e32 v[6:7], v[6:7]
	s_delay_alu instid0(VALU_DEP_1) | instskip(SKIP_1) | instid1(VALU_DEP_2)
	v_fma_f64 v[4:5], 0xc1f00000, v[6:7], v[4:5]
	v_cvt_i32_f64_e32 v6, v[6:7]
	v_cvt_u32_f64_e32 v4, v[4:5]
	s_delay_alu instid0(VALU_DEP_1) | instskip(NEXT) | instid1(VALU_DEP_1)
	v_dual_cndmask_b32 v5, -1, v6 :: v_dual_cndmask_b32 v4, -1, v4
	v_cmpx_lt_i64_e32 -1, v[4:5]
	s_cbranch_execz .LBB21_165
; %bb.154:
	v_mov_b32_e32 v2, 0
	v_mov_b32_e32 v3, 0x3ff00000
	s_mov_b32 s33, exec_lo
	v_cmpx_lt_i64_e32 0, v[4:5]
	s_cbranch_execz .LBB21_164
; %bb.155:
	global_load_b64 v[6:7], v1, s[6:7]
                                        ; implicit-def: $vgpr2_vgpr3
	s_mov_b32 s20, exec_lo
	v_cmpx_ne_u64_e32 1, v[4:5]
	s_xor_b32 s34, exec_lo, s20
	s_cbranch_execz .LBB21_161
; %bb.156:
	v_mov_b32_e32 v2, 0
	v_mov_b32_e32 v3, 0x7ff80000
	s_mov_b32 s35, exec_lo
	v_cmpx_gt_u64_e32 0x201, v[4:5]
	s_cbranch_execz .LBB21_160
; %bb.157:
	s_waitcnt vmcnt(0)
	v_add_f64 v[6:7], v[6:7], v[6:7]
	v_mov_b32_e32 v8, 0
	v_lshlrev_b64 v[4:5], 1, v[4:5]
	v_mov_b32_e32 v9, 0x3ff00000
	s_mov_b64 s[20:21], 2
	s_mov_b32 s36, 0
	s_delay_alu instid0(VALU_DEP_4)
	v_dual_mov_b32 v2, v6 :: v_dual_mov_b32 v3, v7
	.p2align	6
.LBB21_158:                             ; =>This Inner Loop Header: Depth=1
	v_cvt_f64_u32_e32 v[11:12], s21
	v_cvt_f64_u32_e32 v[13:14], s20
	s_add_u32 s20, s20, 2
	s_addc_u32 s21, s21, 0
	s_delay_alu instid0(SALU_CYCLE_1) | instskip(SKIP_1) | instid1(VALU_DEP_3)
	v_cmp_ge_u64_e32 vcc_lo, s[20:21], v[4:5]
	s_or_b32 s36, vcc_lo, s36
	v_ldexp_f64 v[11:12], v[11:12], 32
	s_delay_alu instid0(VALU_DEP_1) | instskip(NEXT) | instid1(VALU_DEP_1)
	v_add_f64 v[11:12], v[11:12], v[13:14]
	v_mul_f64 v[8:9], v[8:9], v[11:12]
	v_dual_mov_b32 v12, v3 :: v_dual_mov_b32 v11, v2
	s_delay_alu instid0(VALU_DEP_1)
	v_fma_f64 v[2:3], v[6:7], v[11:12], -v[8:9]
	v_dual_mov_b32 v8, v11 :: v_dual_mov_b32 v9, v12
	s_and_not1_b32 exec_lo, exec_lo, s36
	s_cbranch_execnz .LBB21_158
; %bb.159:
	s_or_b32 exec_lo, exec_lo, s36
.LBB21_160:
	s_delay_alu instid0(SALU_CYCLE_1)
	s_or_b32 exec_lo, exec_lo, s35
                                        ; implicit-def: $vgpr6_vgpr7
.LBB21_161:
	s_and_not1_saveexec_b32 s20, s34
	s_cbranch_execz .LBB21_163
; %bb.162:
	s_waitcnt vmcnt(0)
	v_add_f64 v[2:3], v[6:7], v[6:7]
.LBB21_163:
	s_or_b32 exec_lo, exec_lo, s20
.LBB21_164:
	s_delay_alu instid0(SALU_CYCLE_1)
	s_or_b32 exec_lo, exec_lo, s33
.LBB21_165:
	s_delay_alu instid0(SALU_CYCLE_1)
	s_or_b32 exec_lo, exec_lo, s31
	v_add_nc_u32_e32 v10, 0x80, v10
	global_store_b64 v0, v[2:3], s[4:5]
	s_or_b32 exec_lo, exec_lo, s30
	v_cmp_gt_i32_e32 vcc_lo, s28, v10
	s_and_saveexec_b32 s28, vcc_lo
	s_cbranch_execz .LBB21_147
.LBB21_166:
	s_and_not1_b32 vcc_lo, exec_lo, s24
	s_cbranch_vccnz .LBB21_172
; %bb.167:
	v_dual_mov_b32 v0, 0 :: v_dual_mov_b32 v1, 0
	v_mov_b32_e32 v2, 0
	s_and_not1_b32 vcc_lo, exec_lo, s29
	s_mov_b32 s29, 0
	s_cbranch_vccnz .LBB21_173
; %bb.168:
	s_add_i32 s20, s27, 1
	v_dual_mov_b32 v2, 0 :: v_dual_mov_b32 v1, 0
	v_dual_mov_b32 v0, 0 :: v_dual_mov_b32 v3, v10
	s_and_b32 s30, s20, 30
	s_add_u32 s20, s0, 0xffffffec
	s_addc_u32 s21, s1, -1
	s_set_inst_prefetch_distance 0x1
	.p2align	6
.LBB21_169:                             ; =>This Inner Loop Header: Depth=1
	s_clause 0x2
	s_load_b128 s[36:39], s[20:21], 0x18
	s_load_b64 s[34:35], s[20:21], 0x28
	s_load_b128 s[40:43], s[20:21], 0xd8
	s_waitcnt lgkmcnt(0)
	v_mul_hi_u32 v4, s37, v3
	s_delay_alu instid0(VALU_DEP_1) | instskip(NEXT) | instid1(VALU_DEP_1)
	v_add_nc_u32_e32 v4, v3, v4
	v_lshrrev_b32_e32 v4, s38, v4
	s_delay_alu instid0(VALU_DEP_1)
	v_mul_hi_u32 v5, s34, v4
	s_waitcnt vmcnt(0)
	v_mul_lo_u32 v6, v4, s36
	s_load_b64 s[36:37], s[20:21], 0xe8
	s_add_u32 s20, s20, 24
	s_addc_u32 s21, s21, 0
	s_add_i32 s30, s30, -2
	s_delay_alu instid0(SALU_CYCLE_1) | instskip(SKIP_1) | instid1(VALU_DEP_2)
	s_cmp_eq_u32 s30, 0
	v_add_nc_u32_e32 v5, v4, v5
	v_sub_nc_u32_e32 v6, v3, v6
	s_delay_alu instid0(VALU_DEP_2) | instskip(NEXT) | instid1(VALU_DEP_2)
	v_lshrrev_b32_e32 v3, s35, v5
	v_mul_lo_u32 v7, v6, s40
	s_delay_alu instid0(VALU_DEP_2) | instskip(NEXT) | instid1(VALU_DEP_1)
	v_mul_lo_u32 v5, v3, s39
	v_sub_nc_u32_e32 v4, v4, v5
	v_mul_lo_u32 v5, v6, s41
	v_mul_lo_u32 v6, v6, s42
	s_delay_alu instid0(VALU_DEP_3) | instskip(SKIP_3) | instid1(VALU_DEP_3)
	v_mul_lo_u32 v8, v4, s43
	s_waitcnt lgkmcnt(0)
	v_mul_lo_u32 v9, v4, s36
	v_mul_lo_u32 v4, v4, s37
	v_add3_u32 v0, v7, v0, v8
	s_delay_alu instid0(VALU_DEP_3) | instskip(NEXT) | instid1(VALU_DEP_3)
	v_add3_u32 v1, v5, v1, v9
	v_add3_u32 v2, v6, v2, v4
	s_cbranch_scc0 .LBB21_169
; %bb.170:
	s_set_inst_prefetch_distance 0x2
	s_bitcmp1_b32 s27, 0
	s_cselect_b32 s27, -1, 0
	s_delay_alu instid0(SALU_CYCLE_1)
	s_and_b32 vcc_lo, exec_lo, s27
	s_cbranch_vccnz .LBB21_173
; %bb.171:
	s_clause 0x3
	s_load_b64 s[30:31], s[20:21], 0x18
	s_load_b32 s27, s[20:21], 0x20
	s_load_b64 s[34:35], s[20:21], 0xd8
	s_load_b32 s20, s[20:21], 0xe0
	s_waitcnt lgkmcnt(0)
	v_mul_hi_u32 v4, s31, v3
	s_delay_alu instid0(VALU_DEP_1) | instskip(NEXT) | instid1(VALU_DEP_1)
	v_add_nc_u32_e32 v4, v3, v4
	v_lshrrev_b32_e32 v4, s27, v4
	s_delay_alu instid0(VALU_DEP_1) | instskip(NEXT) | instid1(VALU_DEP_1)
	v_mul_lo_u32 v4, v4, s30
	v_sub_nc_u32_e32 v7, v3, v4
	s_delay_alu instid0(VALU_DEP_1) | instskip(SKIP_1) | instid1(VALU_DEP_2)
	v_mad_u64_u32 v[3:4], null, v7, s34, v[0:1]
	v_mad_u64_u32 v[4:5], null, v7, s35, v[1:2]
	;; [unrolled: 1-line block ×3, first 2 shown]
	s_delay_alu instid0(VALU_DEP_2) | instskip(NEXT) | instid1(VALU_DEP_2)
	v_dual_mov_b32 v0, v3 :: v_dual_mov_b32 v1, v4
	v_mov_b32_e32 v2, v5
	s_branch .LBB21_173
.LBB21_172:
	s_mov_b32 s29, -1
                                        ; implicit-def: $vgpr0
                                        ; implicit-def: $vgpr1
                                        ; implicit-def: $vgpr2
.LBB21_173:
	s_delay_alu instid0(SALU_CYCLE_1)
	s_and_not1_b32 vcc_lo, exec_lo, s29
	s_cbranch_vccnz .LBB21_176
; %bb.174:
	s_waitcnt lgkmcnt(0)
	v_mul_hi_u32 v0, s13, v10
	s_and_not1_b32 vcc_lo, exec_lo, s26
	s_delay_alu instid0(VALU_DEP_1) | instskip(NEXT) | instid1(VALU_DEP_1)
	v_add_nc_u32_e32 v0, v10, v0
	v_lshrrev_b32_e32 v3, s14, v0
	s_delay_alu instid0(VALU_DEP_1) | instskip(NEXT) | instid1(VALU_DEP_1)
	v_mul_lo_u32 v0, v3, s12
	v_sub_nc_u32_e32 v2, v10, v0
	s_delay_alu instid0(VALU_DEP_1)
	v_mul_lo_u32 v0, v2, s8
	v_mul_lo_u32 v1, v2, s9
	;; [unrolled: 1-line block ×3, first 2 shown]
	s_cbranch_vccnz .LBB21_176
; %bb.175:
	v_mul_hi_u32 v4, s18, v3
	s_delay_alu instid0(VALU_DEP_1) | instskip(NEXT) | instid1(VALU_DEP_1)
	v_add_nc_u32_e32 v4, v3, v4
	v_lshrrev_b32_e32 v4, s19, v4
	s_delay_alu instid0(VALU_DEP_1) | instskip(SKIP_1) | instid1(VALU_DEP_1)
	v_mul_lo_u32 v4, v4, s15
	s_waitcnt vmcnt(0)
	v_sub_nc_u32_e32 v7, v3, v4
	s_delay_alu instid0(VALU_DEP_1) | instskip(SKIP_1) | instid1(VALU_DEP_2)
	v_mad_u64_u32 v[3:4], null, v7, s11, v[0:1]
	v_mad_u64_u32 v[4:5], null, v7, s16, v[1:2]
	;; [unrolled: 1-line block ×3, first 2 shown]
	s_delay_alu instid0(VALU_DEP_2) | instskip(NEXT) | instid1(VALU_DEP_2)
	v_dual_mov_b32 v0, v3 :: v_dual_mov_b32 v1, v4
	v_mov_b32_e32 v2, v5
.LBB21_176:
	s_waitcnt lgkmcnt(0)
	global_load_b64 v[2:3], v2, s[2:3]
	s_mov_b32 s8, exec_lo
	s_waitcnt vmcnt(0)
	v_trunc_f64_e32 v[4:5], v[2:3]
	v_cmp_class_f64_e64 vcc_lo, v[2:3], 0x1f8
	v_mov_b32_e32 v2, 0
	v_mov_b32_e32 v3, 0
	s_delay_alu instid0(VALU_DEP_4) | instskip(NEXT) | instid1(VALU_DEP_1)
	v_ldexp_f64 v[6:7], v[4:5], 0xffffffe0
	v_floor_f64_e32 v[6:7], v[6:7]
	s_delay_alu instid0(VALU_DEP_1) | instskip(SKIP_1) | instid1(VALU_DEP_2)
	v_fma_f64 v[4:5], 0xc1f00000, v[6:7], v[4:5]
	v_cvt_i32_f64_e32 v6, v[6:7]
	v_cvt_u32_f64_e32 v4, v[4:5]
	s_delay_alu instid0(VALU_DEP_1) | instskip(NEXT) | instid1(VALU_DEP_1)
	v_dual_cndmask_b32 v5, -1, v6 :: v_dual_cndmask_b32 v4, -1, v4
	v_cmpx_lt_i64_e32 -1, v[4:5]
	s_cbranch_execz .LBB21_188
; %bb.177:
	v_mov_b32_e32 v2, 0
	v_mov_b32_e32 v3, 0x3ff00000
	s_mov_b32 s9, exec_lo
	v_cmpx_lt_i64_e32 0, v[4:5]
	s_cbranch_execz .LBB21_187
; %bb.178:
	global_load_b64 v[6:7], v1, s[6:7]
                                        ; implicit-def: $vgpr2_vgpr3
	s_mov_b32 s2, exec_lo
	v_cmpx_ne_u64_e32 1, v[4:5]
	s_xor_b32 s6, exec_lo, s2
	s_cbranch_execz .LBB21_184
; %bb.179:
	v_mov_b32_e32 v2, 0
	v_mov_b32_e32 v3, 0x7ff80000
	s_mov_b32 s7, exec_lo
	v_cmpx_gt_u64_e32 0x201, v[4:5]
	s_cbranch_execz .LBB21_183
; %bb.180:
	s_waitcnt vmcnt(0)
	v_add_f64 v[6:7], v[6:7], v[6:7]
	v_mov_b32_e32 v8, 0
	v_lshlrev_b64 v[4:5], 1, v[4:5]
	v_mov_b32_e32 v9, 0x3ff00000
	s_mov_b64 s[2:3], 2
	s_mov_b32 s10, 0
	s_delay_alu instid0(VALU_DEP_4)
	v_dual_mov_b32 v2, v6 :: v_dual_mov_b32 v3, v7
	.p2align	6
.LBB21_181:                             ; =>This Inner Loop Header: Depth=1
	v_cvt_f64_u32_e32 v[10:11], s3
	v_cvt_f64_u32_e32 v[12:13], s2
	s_add_u32 s2, s2, 2
	s_addc_u32 s3, s3, 0
	s_delay_alu instid0(SALU_CYCLE_1) | instskip(SKIP_1) | instid1(VALU_DEP_3)
	v_cmp_ge_u64_e32 vcc_lo, s[2:3], v[4:5]
	s_or_b32 s10, vcc_lo, s10
	v_ldexp_f64 v[10:11], v[10:11], 32
	s_delay_alu instid0(VALU_DEP_1) | instskip(NEXT) | instid1(VALU_DEP_1)
	v_add_f64 v[10:11], v[10:11], v[12:13]
	v_mul_f64 v[8:9], v[8:9], v[10:11]
	v_dual_mov_b32 v11, v3 :: v_dual_mov_b32 v10, v2
	s_delay_alu instid0(VALU_DEP_1)
	v_fma_f64 v[2:3], v[6:7], v[10:11], -v[8:9]
	v_dual_mov_b32 v8, v10 :: v_dual_mov_b32 v9, v11
	s_and_not1_b32 exec_lo, exec_lo, s10
	s_cbranch_execnz .LBB21_181
; %bb.182:
	s_or_b32 exec_lo, exec_lo, s10
.LBB21_183:
	s_delay_alu instid0(SALU_CYCLE_1)
	s_or_b32 exec_lo, exec_lo, s7
                                        ; implicit-def: $vgpr6_vgpr7
.LBB21_184:
	s_and_not1_saveexec_b32 s2, s6
	s_cbranch_execz .LBB21_186
; %bb.185:
	s_waitcnt vmcnt(0)
	v_add_f64 v[2:3], v[6:7], v[6:7]
.LBB21_186:
	s_or_b32 exec_lo, exec_lo, s2
.LBB21_187:
	s_delay_alu instid0(SALU_CYCLE_1)
	s_or_b32 exec_lo, exec_lo, s9
.LBB21_188:
	s_delay_alu instid0(SALU_CYCLE_1)
	s_or_b32 exec_lo, exec_lo, s8
	global_store_b64 v0, v[2:3], s[4:5]
	s_or_b32 exec_lo, exec_lo, s28
                                        ; implicit-def: $vgpr12
                                        ; implicit-def: $vgpr10
	s_and_not1_saveexec_b32 s2, s25
	s_cbranch_execz .LBB21_148
	s_branch .LBB21_9
	.section	.rodata,"a",@progbits
	.p2align	6, 0x0
	.amdhsa_kernel _ZN2at6native32elementwise_kernel_manual_unrollILi128ELi4EZNS0_22gpu_kernel_impl_nocastINS0_13BinaryFunctorIdddZZZNS0_12_GLOBAL__N_132hermite_polynomial_h_kernel_cudaERNS_18TensorIteratorBaseEENKUlvE_clEvENKUlvE_clEvEUlddE_EEEEvS6_RKT_EUlibE_EEviT1_
		.amdhsa_group_segment_fixed_size 0
		.amdhsa_private_segment_fixed_size 0
		.amdhsa_kernarg_size 432
		.amdhsa_user_sgpr_count 15
		.amdhsa_user_sgpr_dispatch_ptr 0
		.amdhsa_user_sgpr_queue_ptr 0
		.amdhsa_user_sgpr_kernarg_segment_ptr 1
		.amdhsa_user_sgpr_dispatch_id 0
		.amdhsa_user_sgpr_private_segment_size 0
		.amdhsa_wavefront_size32 1
		.amdhsa_uses_dynamic_stack 0
		.amdhsa_enable_private_segment 0
		.amdhsa_system_sgpr_workgroup_id_x 1
		.amdhsa_system_sgpr_workgroup_id_y 0
		.amdhsa_system_sgpr_workgroup_id_z 0
		.amdhsa_system_sgpr_workgroup_info 0
		.amdhsa_system_vgpr_workitem_id 0
		.amdhsa_next_free_vgpr 22
		.amdhsa_next_free_sgpr 44
		.amdhsa_reserve_vcc 1
		.amdhsa_float_round_mode_32 0
		.amdhsa_float_round_mode_16_64 0
		.amdhsa_float_denorm_mode_32 3
		.amdhsa_float_denorm_mode_16_64 3
		.amdhsa_dx10_clamp 1
		.amdhsa_ieee_mode 1
		.amdhsa_fp16_overflow 0
		.amdhsa_workgroup_processor_mode 1
		.amdhsa_memory_ordered 1
		.amdhsa_forward_progress 0
		.amdhsa_shared_vgpr_count 0
		.amdhsa_exception_fp_ieee_invalid_op 0
		.amdhsa_exception_fp_denorm_src 0
		.amdhsa_exception_fp_ieee_div_zero 0
		.amdhsa_exception_fp_ieee_overflow 0
		.amdhsa_exception_fp_ieee_underflow 0
		.amdhsa_exception_fp_ieee_inexact 0
		.amdhsa_exception_int_div_zero 0
	.end_amdhsa_kernel
	.section	.text._ZN2at6native32elementwise_kernel_manual_unrollILi128ELi4EZNS0_22gpu_kernel_impl_nocastINS0_13BinaryFunctorIdddZZZNS0_12_GLOBAL__N_132hermite_polynomial_h_kernel_cudaERNS_18TensorIteratorBaseEENKUlvE_clEvENKUlvE_clEvEUlddE_EEEEvS6_RKT_EUlibE_EEviT1_,"axG",@progbits,_ZN2at6native32elementwise_kernel_manual_unrollILi128ELi4EZNS0_22gpu_kernel_impl_nocastINS0_13BinaryFunctorIdddZZZNS0_12_GLOBAL__N_132hermite_polynomial_h_kernel_cudaERNS_18TensorIteratorBaseEENKUlvE_clEvENKUlvE_clEvEUlddE_EEEEvS6_RKT_EUlibE_EEviT1_,comdat
.Lfunc_end21:
	.size	_ZN2at6native32elementwise_kernel_manual_unrollILi128ELi4EZNS0_22gpu_kernel_impl_nocastINS0_13BinaryFunctorIdddZZZNS0_12_GLOBAL__N_132hermite_polynomial_h_kernel_cudaERNS_18TensorIteratorBaseEENKUlvE_clEvENKUlvE_clEvEUlddE_EEEEvS6_RKT_EUlibE_EEviT1_, .Lfunc_end21-_ZN2at6native32elementwise_kernel_manual_unrollILi128ELi4EZNS0_22gpu_kernel_impl_nocastINS0_13BinaryFunctorIdddZZZNS0_12_GLOBAL__N_132hermite_polynomial_h_kernel_cudaERNS_18TensorIteratorBaseEENKUlvE_clEvENKUlvE_clEvEUlddE_EEEEvS6_RKT_EUlibE_EEviT1_
                                        ; -- End function
	.section	.AMDGPU.csdata,"",@progbits
; Kernel info:
; codeLenInByte = 8656
; NumSgprs: 46
; NumVgprs: 22
; ScratchSize: 0
; MemoryBound: 0
; FloatMode: 240
; IeeeMode: 1
; LDSByteSize: 0 bytes/workgroup (compile time only)
; SGPRBlocks: 5
; VGPRBlocks: 2
; NumSGPRsForWavesPerEU: 46
; NumVGPRsForWavesPerEU: 22
; Occupancy: 16
; WaveLimiterHint : 1
; COMPUTE_PGM_RSRC2:SCRATCH_EN: 0
; COMPUTE_PGM_RSRC2:USER_SGPR: 15
; COMPUTE_PGM_RSRC2:TRAP_HANDLER: 0
; COMPUTE_PGM_RSRC2:TGID_X_EN: 1
; COMPUTE_PGM_RSRC2:TGID_Y_EN: 0
; COMPUTE_PGM_RSRC2:TGID_Z_EN: 0
; COMPUTE_PGM_RSRC2:TIDIG_COMP_CNT: 0
	.section	.text._ZN2at6native32elementwise_kernel_manual_unrollILi128ELi4EZNS0_15gpu_kernel_implINS0_13BinaryFunctorIdddZZZNS0_12_GLOBAL__N_132hermite_polynomial_h_kernel_cudaERNS_18TensorIteratorBaseEENKUlvE_clEvENKUlvE_clEvEUlddE_EEEEvS6_RKT_EUlibE_EEviT1_,"axG",@progbits,_ZN2at6native32elementwise_kernel_manual_unrollILi128ELi4EZNS0_15gpu_kernel_implINS0_13BinaryFunctorIdddZZZNS0_12_GLOBAL__N_132hermite_polynomial_h_kernel_cudaERNS_18TensorIteratorBaseEENKUlvE_clEvENKUlvE_clEvEUlddE_EEEEvS6_RKT_EUlibE_EEviT1_,comdat
	.globl	_ZN2at6native32elementwise_kernel_manual_unrollILi128ELi4EZNS0_15gpu_kernel_implINS0_13BinaryFunctorIdddZZZNS0_12_GLOBAL__N_132hermite_polynomial_h_kernel_cudaERNS_18TensorIteratorBaseEENKUlvE_clEvENKUlvE_clEvEUlddE_EEEEvS6_RKT_EUlibE_EEviT1_ ; -- Begin function _ZN2at6native32elementwise_kernel_manual_unrollILi128ELi4EZNS0_15gpu_kernel_implINS0_13BinaryFunctorIdddZZZNS0_12_GLOBAL__N_132hermite_polynomial_h_kernel_cudaERNS_18TensorIteratorBaseEENKUlvE_clEvENKUlvE_clEvEUlddE_EEEEvS6_RKT_EUlibE_EEviT1_
	.p2align	8
	.type	_ZN2at6native32elementwise_kernel_manual_unrollILi128ELi4EZNS0_15gpu_kernel_implINS0_13BinaryFunctorIdddZZZNS0_12_GLOBAL__N_132hermite_polynomial_h_kernel_cudaERNS_18TensorIteratorBaseEENKUlvE_clEvENKUlvE_clEvEUlddE_EEEEvS6_RKT_EUlibE_EEviT1_,@function
_ZN2at6native32elementwise_kernel_manual_unrollILi128ELi4EZNS0_15gpu_kernel_implINS0_13BinaryFunctorIdddZZZNS0_12_GLOBAL__N_132hermite_polynomial_h_kernel_cudaERNS_18TensorIteratorBaseEENKUlvE_clEvENKUlvE_clEvEUlddE_EEEEvS6_RKT_EUlibE_EEviT1_: ; @_ZN2at6native32elementwise_kernel_manual_unrollILi128ELi4EZNS0_15gpu_kernel_implINS0_13BinaryFunctorIdddZZZNS0_12_GLOBAL__N_132hermite_polynomial_h_kernel_cudaERNS_18TensorIteratorBaseEENKUlvE_clEvENKUlvE_clEvEUlddE_EEEEvS6_RKT_EUlibE_EEviT1_
; %bb.0:
	v_mov_b32_e32 v1, 0
	v_lshl_or_b32 v15, s15, 9, v0
	s_mov_b32 s13, 0
	s_clause 0x1
	global_load_u16 v14, v1, s[0:1] offset:45
	global_load_i8 v8, v1, s[0:1] offset:47
	s_clause 0x3
	s_load_b32 s14, s[0:1], 0x0
	s_load_b128 s[4:7], s[0:1], 0x8
	s_load_b64 s[2:3], s[0:1], 0x18
	s_load_b128 s[8:11], s[0:1], 0x20
	v_or_b32_e32 v0, 0x180, v15
	s_waitcnt lgkmcnt(0)
	s_mov_b32 s11, 0
	s_mov_b32 s0, exec_lo
	s_waitcnt vmcnt(1)
	v_lshrrev_b32_e32 v9, 8, v14
	v_cmpx_le_i32_e64 s14, v0
	s_xor_b32 s12, exec_lo, s0
	s_cbranch_execz .LBB22_1599
; %bb.1:
	s_mov_b32 s1, -1
	s_mov_b32 s18, 0
	s_mov_b32 s16, 0
	;; [unrolled: 1-line block ×3, first 2 shown]
	s_mov_b32 s17, exec_lo
	v_cmpx_gt_i32_e64 s14, v15
	s_cbranch_execz .LBB22_393
; %bb.2:
	v_mul_lo_u32 v0, v15, s9
	v_and_b32_e32 v4, 0xff, v9
	s_delay_alu instid0(VALU_DEP_1) | instskip(NEXT) | instid1(VALU_DEP_3)
	v_cmp_gt_i16_e32 vcc_lo, 11, v4
	v_ashrrev_i32_e32 v1, 31, v0
	v_add_co_u32 v0, s0, s6, v0
	s_delay_alu instid0(VALU_DEP_1)
	v_add_co_ci_u32_e64 v1, s0, s7, v1, s0
	s_cbranch_vccnz .LBB22_9
; %bb.3:
	v_cmp_lt_i16_e32 vcc_lo, 25, v4
	s_cbranch_vccz .LBB22_18
; %bb.4:
	v_cmp_lt_i16_e32 vcc_lo, 28, v4
	s_cbranch_vccz .LBB22_40
	;; [unrolled: 3-line block ×4, first 2 shown]
; %bb.7:
	v_cmp_eq_u16_e32 vcc_lo, 46, v4
	s_mov_b32 s1, 0
	s_cbranch_vccz .LBB22_48
; %bb.8:
	global_load_b32 v2, v[0:1], off
	s_mov_b32 s0, -1
	s_waitcnt vmcnt(0)
	v_lshlrev_b32_e32 v2, 16, v2
	s_delay_alu instid0(VALU_DEP_1)
	v_cvt_f64_f32_e32 v[2:3], v2
	s_branch .LBB22_50
.LBB22_9:
	s_mov_b32 s0, 0
                                        ; implicit-def: $vgpr2_vgpr3
	s_and_b32 vcc_lo, exec_lo, s1
	s_cbranch_vccnz .LBB22_116
.LBB22_10:
	s_and_not1_b32 vcc_lo, exec_lo, s0
	s_cbranch_vccnz .LBB22_163
.LBB22_11:
	v_mul_lo_u32 v0, v15, s10
	s_waitcnt vmcnt(0)
	v_and_b32_e32 v6, 0xff, v8
	s_delay_alu instid0(VALU_DEP_1) | instskip(NEXT) | instid1(VALU_DEP_3)
	v_cmp_gt_i16_e32 vcc_lo, 11, v6
	v_ashrrev_i32_e32 v1, 31, v0
	v_add_co_u32 v0, s0, s2, v0
	s_delay_alu instid0(VALU_DEP_1)
	v_add_co_ci_u32_e64 v1, s0, s3, v1, s0
	s_cbranch_vccnz .LBB22_19
; %bb.12:
	v_cmp_lt_i16_e32 vcc_lo, 25, v6
	s_cbranch_vccz .LBB22_41
; %bb.13:
	v_cmp_lt_i16_e32 vcc_lo, 28, v6
	s_cbranch_vccz .LBB22_44
	;; [unrolled: 3-line block ×4, first 2 shown]
; %bb.16:
	v_cmp_eq_u16_e32 vcc_lo, 46, v6
	s_mov_b32 s1, 0
	s_cbranch_vccz .LBB22_164
; %bb.17:
	global_load_b32 v4, v[0:1], off
	s_mov_b32 s0, -1
	s_mov_b32 s15, 0
	s_waitcnt vmcnt(0)
	v_lshlrev_b32_e32 v4, 16, v4
	s_delay_alu instid0(VALU_DEP_1)
	v_cvt_f64_f32_e32 v[4:5], v4
	s_branch .LBB22_166
.LBB22_18:
	s_mov_b32 s0, 0
                                        ; implicit-def: $vgpr2_vgpr3
	s_and_b32 vcc_lo, exec_lo, s1
	s_cbranch_vccnz .LBB22_83
	s_branch .LBB22_115
.LBB22_19:
	s_mov_b32 s15, 0
	s_mov_b32 s0, 0
                                        ; implicit-def: $vgpr4_vgpr5
	s_cbranch_execnz .LBB22_342
.LBB22_20:
	s_and_not1_b32 vcc_lo, exec_lo, s0
	s_cbranch_vccnz .LBB22_390
.LBB22_21:
	s_waitcnt vmcnt(0)
	s_delay_alu instid0(VALU_DEP_1) | instskip(SKIP_2) | instid1(VALU_DEP_2)
	v_trunc_f64_e32 v[0:1], v[4:5]
	v_cmp_class_f64_e64 vcc_lo, v[4:5], 0x1f8
	s_mov_b32 s13, exec_lo
	v_ldexp_f64 v[6:7], v[0:1], 0xffffffe0
	s_delay_alu instid0(VALU_DEP_1) | instskip(NEXT) | instid1(VALU_DEP_1)
	v_floor_f64_e32 v[6:7], v[6:7]
	v_fma_f64 v[0:1], 0xc1f00000, v[6:7], v[0:1]
	v_cvt_i32_f64_e32 v6, v[6:7]
	s_delay_alu instid0(VALU_DEP_2) | instskip(NEXT) | instid1(VALU_DEP_1)
	v_cvt_u32_f64_e32 v0, v[0:1]
	v_dual_cndmask_b32 v5, -1, v6 :: v_dual_cndmask_b32 v4, -1, v0
	v_mov_b32_e32 v0, 0
	v_mov_b32_e32 v1, 0
	s_delay_alu instid0(VALU_DEP_3)
	v_cmpx_lt_i64_e32 -1, v[4:5]
	s_cbranch_execz .LBB22_33
; %bb.22:
	v_mov_b32_e32 v0, 0
	v_mov_b32_e32 v1, 0x3ff00000
	s_mov_b32 s19, exec_lo
	v_cmpx_lt_i64_e32 0, v[4:5]
	s_cbranch_execz .LBB22_32
; %bb.23:
                                        ; implicit-def: $vgpr0_vgpr1
	s_mov_b32 s0, exec_lo
	v_cmpx_ne_u64_e32 1, v[4:5]
	s_xor_b32 s20, exec_lo, s0
	s_cbranch_execz .LBB22_29
; %bb.24:
	v_mov_b32_e32 v0, 0
	v_mov_b32_e32 v1, 0x7ff80000
	s_mov_b32 s21, exec_lo
	v_cmpx_gt_u64_e32 0x201, v[4:5]
	s_cbranch_execz .LBB22_28
; %bb.25:
	v_add_f64 v[2:3], v[2:3], v[2:3]
	v_mov_b32_e32 v6, 0
	v_lshlrev_b64 v[4:5], 1, v[4:5]
	v_mov_b32_e32 v7, 0x3ff00000
	s_mov_b64 s[0:1], 2
	s_mov_b32 s22, 0
	s_delay_alu instid0(VALU_DEP_4)
	v_dual_mov_b32 v0, v2 :: v_dual_mov_b32 v1, v3
.LBB22_26:                              ; =>This Inner Loop Header: Depth=1
	v_cvt_f64_u32_e32 v[10:11], s1
	v_cvt_f64_u32_e32 v[12:13], s0
	s_add_u32 s0, s0, 2
	s_addc_u32 s1, s1, 0
	s_delay_alu instid0(SALU_CYCLE_1) | instskip(SKIP_1) | instid1(VALU_DEP_3)
	v_cmp_ge_u64_e32 vcc_lo, s[0:1], v[4:5]
	s_or_b32 s22, vcc_lo, s22
	v_ldexp_f64 v[10:11], v[10:11], 32
	s_delay_alu instid0(VALU_DEP_1) | instskip(NEXT) | instid1(VALU_DEP_1)
	v_add_f64 v[10:11], v[10:11], v[12:13]
	v_mul_f64 v[6:7], v[6:7], v[10:11]
	v_dual_mov_b32 v11, v1 :: v_dual_mov_b32 v10, v0
	s_delay_alu instid0(VALU_DEP_1)
	v_fma_f64 v[0:1], v[2:3], v[10:11], -v[6:7]
	v_dual_mov_b32 v6, v10 :: v_dual_mov_b32 v7, v11
	s_and_not1_b32 exec_lo, exec_lo, s22
	s_cbranch_execnz .LBB22_26
; %bb.27:
	s_or_b32 exec_lo, exec_lo, s22
.LBB22_28:
	s_delay_alu instid0(SALU_CYCLE_1)
	s_or_b32 exec_lo, exec_lo, s21
                                        ; implicit-def: $vgpr2_vgpr3
.LBB22_29:
	s_and_not1_saveexec_b32 s0, s20
; %bb.30:
	v_add_f64 v[0:1], v[2:3], v[2:3]
; %bb.31:
	s_or_b32 exec_lo, exec_lo, s0
.LBB22_32:
	s_delay_alu instid0(SALU_CYCLE_1)
	s_or_b32 exec_lo, exec_lo, s19
.LBB22_33:
	s_delay_alu instid0(SALU_CYCLE_1) | instskip(SKIP_2) | instid1(VALU_DEP_1)
	s_or_b32 exec_lo, exec_lo, s13
	v_mul_lo_u32 v2, v15, s8
	v_and_b32_e32 v6, 0xff, v14
	v_cmp_gt_i16_e32 vcc_lo, 11, v6
	s_delay_alu instid0(VALU_DEP_3) | instskip(SKIP_1) | instid1(VALU_DEP_1)
	v_ashrrev_i32_e32 v3, 31, v2
	v_add_co_u32 v4, s0, s4, v2
	v_add_co_ci_u32_e64 v5, s0, s5, v3, s0
	s_cbranch_vccnz .LBB22_42
; %bb.34:
	v_cmp_lt_i16_e32 vcc_lo, 25, v6
	s_cbranch_vccz .LBB22_45
; %bb.35:
	v_cmp_lt_i16_e32 vcc_lo, 28, v6
	s_cbranch_vccz .LBB22_47
	;; [unrolled: 3-line block ×4, first 2 shown]
; %bb.38:
	v_cmp_eq_u16_e32 vcc_lo, 46, v6
	s_mov_b32 s13, 0
	s_mov_b32 s0, -1
	s_mov_b32 s1, 0
	s_cbranch_vccz .LBB22_170
; %bb.39:
	v_cvt_f32_f64_e32 v2, v[0:1]
	s_mov_b32 s1, -1
	s_mov_b32 s0, 0
	s_delay_alu instid0(VALU_DEP_1) | instskip(SKIP_1) | instid1(VALU_DEP_2)
	v_bfe_u32 v3, v2, 16, 1
	v_cmp_o_f32_e32 vcc_lo, v2, v2
	v_add3_u32 v3, v2, v3, 0x7fff
	s_delay_alu instid0(VALU_DEP_1) | instskip(NEXT) | instid1(VALU_DEP_1)
	v_lshrrev_b32_e32 v3, 16, v3
	v_cndmask_b32_e32 v2, 0x7fc0, v3, vcc_lo
	global_store_b32 v[4:5], v2, off
	s_branch .LBB22_170
.LBB22_40:
	s_mov_b32 s0, 0
                                        ; implicit-def: $vgpr2_vgpr3
	s_branch .LBB22_62
.LBB22_41:
	s_mov_b32 s1, -1
	s_mov_b32 s15, 0
	s_mov_b32 s0, 0
                                        ; implicit-def: $vgpr4_vgpr5
	s_branch .LBB22_308
.LBB22_42:
	s_mov_b32 s13, -1
	s_mov_b32 s0, 0
	s_mov_b32 s1, 0
	s_branch .LBB22_239
.LBB22_43:
	s_mov_b32 s0, 0
                                        ; implicit-def: $vgpr2_vgpr3
	s_branch .LBB22_57
.LBB22_44:
	s_mov_b32 s1, -1
	s_mov_b32 s15, 0
	s_mov_b32 s0, 0
                                        ; implicit-def: $vgpr4_vgpr5
	s_branch .LBB22_287
.LBB22_45:
	s_mov_b32 s13, -1
	s_mov_b32 s0, 0
	s_mov_b32 s1, 0
	s_branch .LBB22_197
.LBB22_46:
	s_mov_b32 s1, -1
	s_mov_b32 s15, 0
	s_mov_b32 s0, 0
                                        ; implicit-def: $vgpr4_vgpr5
	s_branch .LBB22_282
.LBB22_47:
	s_mov_b32 s13, -1
	s_mov_b32 s0, 0
	s_mov_b32 s1, 0
	s_branch .LBB22_180
.LBB22_48:
	s_mov_b32 s16, -1
.LBB22_49:
	s_mov_b32 s0, 0
                                        ; implicit-def: $vgpr2_vgpr3
.LBB22_50:
	s_and_b32 vcc_lo, exec_lo, s1
	s_cbranch_vccz .LBB22_56
; %bb.51:
	v_cmp_eq_u16_e32 vcc_lo, 44, v4
	s_cbranch_vccz .LBB22_55
; %bb.52:
	global_load_u8 v5, v[0:1], off
	s_mov_b32 s16, 0
	s_mov_b32 s0, -1
	s_waitcnt vmcnt(0)
	v_cmp_ne_u32_e32 vcc_lo, 0xff, v5
	v_lshlrev_b32_e32 v2, 23, v5
	s_delay_alu instid0(VALU_DEP_1) | instskip(NEXT) | instid1(VALU_DEP_1)
	v_cvt_f64_f32_e32 v[2:3], v2
	v_cndmask_b32_e32 v3, 0x7ff80000, v3, vcc_lo
	s_delay_alu instid0(VALU_DEP_2) | instskip(SKIP_1) | instid1(VALU_DEP_3)
	v_cndmask_b32_e32 v2, 0x20000000, v2, vcc_lo
	v_cmp_ne_u32_e32 vcc_lo, 0, v5
	v_cndmask_b32_e32 v3, 0x38000000, v3, vcc_lo
	s_delay_alu instid0(VALU_DEP_3)
	v_cndmask_b32_e32 v2, 0, v2, vcc_lo
	s_branch .LBB22_56
.LBB22_53:
	s_mov_b32 s1, -1
	s_mov_b32 s15, 0
	s_branch .LBB22_165
.LBB22_54:
	s_mov_b32 s13, -1
	s_mov_b32 s0, 0
	s_mov_b32 s1, 0
	s_branch .LBB22_176
.LBB22_55:
	s_mov_b32 s16, -1
                                        ; implicit-def: $vgpr2_vgpr3
.LBB22_56:
	s_mov_b32 s1, 0
.LBB22_57:
	s_delay_alu instid0(SALU_CYCLE_1)
	s_and_b32 vcc_lo, exec_lo, s1
	s_cbranch_vccz .LBB22_61
; %bb.58:
	v_cmp_eq_u16_e32 vcc_lo, 29, v4
	s_cbranch_vccz .LBB22_60
; %bb.59:
	global_load_b64 v[2:3], v[0:1], off
	s_mov_b32 s0, -1
	s_mov_b32 s16, 0
	s_mov_b32 s1, 0
	s_waitcnt vmcnt(0)
	v_cvt_f64_u32_e32 v[5:6], v3
	v_cvt_f64_u32_e32 v[2:3], v2
	s_delay_alu instid0(VALU_DEP_2) | instskip(NEXT) | instid1(VALU_DEP_1)
	v_ldexp_f64 v[5:6], v[5:6], 32
	v_add_f64 v[2:3], v[5:6], v[2:3]
	s_branch .LBB22_62
.LBB22_60:
	s_mov_b32 s16, -1
                                        ; implicit-def: $vgpr2_vgpr3
.LBB22_61:
	s_mov_b32 s1, 0
.LBB22_62:
	s_delay_alu instid0(SALU_CYCLE_1)
	s_and_b32 vcc_lo, exec_lo, s1
	s_cbranch_vccz .LBB22_82
; %bb.63:
	v_cmp_gt_i16_e32 vcc_lo, 27, v4
	s_cbranch_vccnz .LBB22_66
; %bb.64:
	v_cmp_lt_i16_e32 vcc_lo, 27, v4
	s_cbranch_vccz .LBB22_67
; %bb.65:
	global_load_b32 v2, v[0:1], off
	s_mov_b32 s0, 0
	s_waitcnt vmcnt(0)
	v_cvt_f64_u32_e32 v[2:3], v2
	s_branch .LBB22_68
.LBB22_66:
	s_mov_b32 s0, -1
                                        ; implicit-def: $vgpr2_vgpr3
	s_branch .LBB22_71
.LBB22_67:
	s_mov_b32 s0, -1
                                        ; implicit-def: $vgpr2_vgpr3
.LBB22_68:
	s_delay_alu instid0(SALU_CYCLE_1)
	s_and_not1_b32 vcc_lo, exec_lo, s0
	s_cbranch_vccnz .LBB22_70
; %bb.69:
	global_load_u16 v2, v[0:1], off
	s_waitcnt vmcnt(0)
	v_cvt_f64_u32_e32 v[2:3], v2
.LBB22_70:
	s_mov_b32 s0, 0
.LBB22_71:
	s_delay_alu instid0(SALU_CYCLE_1)
	s_and_not1_b32 vcc_lo, exec_lo, s0
	s_cbranch_vccnz .LBB22_81
; %bb.72:
	global_load_u8 v5, v[0:1], off
	s_mov_b32 s15, exec_lo
                                        ; implicit-def: $sgpr0_sgpr1
	s_waitcnt vmcnt(0)
	v_cmpx_lt_i16_e32 0x7f, v5
	s_xor_b32 s15, exec_lo, s15
	s_cbranch_execz .LBB22_76
; %bb.73:
	s_mov_b32 s19, -1
	s_mov_b32 s13, exec_lo
                                        ; implicit-def: $sgpr0_sgpr1
	v_cmpx_eq_u16_e32 0x80, v5
; %bb.74:
	s_mov_b32 s1, 0x7ff80000
	s_brev_b32 s0, 4
	s_xor_b32 s19, exec_lo, -1
; %bb.75:
	s_or_b32 exec_lo, exec_lo, s13
	s_delay_alu instid0(SALU_CYCLE_1)
	s_and_b32 s13, s19, exec_lo
.LBB22_76:
	s_or_saveexec_b32 s15, s15
	v_dual_mov_b32 v3, s1 :: v_dual_mov_b32 v2, s0
	s_xor_b32 exec_lo, exec_lo, s15
; %bb.77:
	v_cmp_ne_u16_e32 vcc_lo, 0, v5
	v_mov_b32_e32 v2, 0
	v_mov_b32_e32 v3, 0
	s_and_not1_b32 s0, s13, exec_lo
	s_and_b32 s1, vcc_lo, exec_lo
	s_delay_alu instid0(SALU_CYCLE_1)
	s_or_b32 s13, s0, s1
; %bb.78:
	s_or_b32 exec_lo, exec_lo, s15
	s_and_saveexec_b32 s0, s13
	s_cbranch_execz .LBB22_80
; %bb.79:
	v_and_b32_e32 v2, 0xffff, v5
	v_lshlrev_b32_e32 v5, 24, v5
	s_delay_alu instid0(VALU_DEP_2) | instskip(NEXT) | instid1(VALU_DEP_2)
	v_and_b32_e32 v3, 7, v2
	v_and_b32_e32 v5, 0x80000000, v5
	s_delay_alu instid0(VALU_DEP_2) | instskip(NEXT) | instid1(VALU_DEP_1)
	v_clz_i32_u32_e32 v6, v3
	v_min_u32_e32 v6, 32, v6
	s_delay_alu instid0(VALU_DEP_1) | instskip(SKIP_1) | instid1(VALU_DEP_2)
	v_subrev_nc_u32_e32 v7, 28, v6
	v_sub_nc_u32_e32 v6, 29, v6
	v_lshlrev_b32_e32 v7, v7, v2
	v_bfe_u32 v2, v2, 3, 4
	s_delay_alu instid0(VALU_DEP_1) | instskip(NEXT) | instid1(VALU_DEP_3)
	v_cmp_eq_u32_e32 vcc_lo, 0, v2
	v_dual_cndmask_b32 v2, v2, v6 :: v_dual_and_b32 v7, 7, v7
	s_delay_alu instid0(VALU_DEP_1) | instskip(NEXT) | instid1(VALU_DEP_2)
	v_cndmask_b32_e32 v3, v3, v7, vcc_lo
	v_lshl_add_u32 v2, v2, 23, 0x3b800000
	s_delay_alu instid0(VALU_DEP_2) | instskip(NEXT) | instid1(VALU_DEP_1)
	v_lshlrev_b32_e32 v3, 20, v3
	v_or3_b32 v2, v5, v2, v3
	s_delay_alu instid0(VALU_DEP_1)
	v_cvt_f64_f32_e32 v[2:3], v2
.LBB22_80:
	s_or_b32 exec_lo, exec_lo, s0
.LBB22_81:
	s_mov_b32 s0, -1
.LBB22_82:
	s_branch .LBB22_115
.LBB22_83:
	v_cmp_lt_i16_e32 vcc_lo, 22, v4
	s_cbranch_vccz .LBB22_95
; %bb.84:
	v_cmp_gt_i16_e32 vcc_lo, 24, v4
	s_cbranch_vccnz .LBB22_96
; %bb.85:
	v_cmp_lt_i16_e32 vcc_lo, 24, v4
	s_cbranch_vccz .LBB22_97
; %bb.86:
	global_load_u8 v5, v[0:1], off
	s_mov_b32 s13, 0
	s_mov_b32 s15, exec_lo
                                        ; implicit-def: $sgpr0_sgpr1
	s_waitcnt vmcnt(0)
	v_cmpx_lt_i16_e32 0x7f, v5
	s_xor_b32 s15, exec_lo, s15
	s_cbranch_execz .LBB22_90
; %bb.87:
	s_mov_b32 s19, -1
	s_mov_b32 s13, exec_lo
                                        ; implicit-def: $sgpr0_sgpr1
	v_cmpx_eq_u16_e32 0x80, v5
; %bb.88:
	s_mov_b32 s1, 0x7ff80000
	s_brev_b32 s0, 4
	s_xor_b32 s19, exec_lo, -1
; %bb.89:
	s_or_b32 exec_lo, exec_lo, s13
	s_delay_alu instid0(SALU_CYCLE_1)
	s_and_b32 s13, s19, exec_lo
.LBB22_90:
	s_or_saveexec_b32 s15, s15
	v_dual_mov_b32 v3, s1 :: v_dual_mov_b32 v2, s0
	s_xor_b32 exec_lo, exec_lo, s15
; %bb.91:
	v_cmp_ne_u16_e32 vcc_lo, 0, v5
	v_mov_b32_e32 v2, 0
	v_mov_b32_e32 v3, 0
	s_and_not1_b32 s0, s13, exec_lo
	s_and_b32 s1, vcc_lo, exec_lo
	s_delay_alu instid0(SALU_CYCLE_1)
	s_or_b32 s13, s0, s1
; %bb.92:
	s_or_b32 exec_lo, exec_lo, s15
	s_and_saveexec_b32 s0, s13
	s_cbranch_execz .LBB22_94
; %bb.93:
	v_and_b32_e32 v2, 0xffff, v5
	v_lshlrev_b32_e32 v5, 24, v5
	s_delay_alu instid0(VALU_DEP_2) | instskip(NEXT) | instid1(VALU_DEP_2)
	v_and_b32_e32 v3, 3, v2
	v_and_b32_e32 v5, 0x80000000, v5
	s_delay_alu instid0(VALU_DEP_2) | instskip(NEXT) | instid1(VALU_DEP_1)
	v_clz_i32_u32_e32 v6, v3
	v_min_u32_e32 v6, 32, v6
	s_delay_alu instid0(VALU_DEP_1) | instskip(SKIP_1) | instid1(VALU_DEP_2)
	v_subrev_nc_u32_e32 v7, 29, v6
	v_sub_nc_u32_e32 v6, 30, v6
	v_lshlrev_b32_e32 v7, v7, v2
	v_bfe_u32 v2, v2, 2, 5
	s_delay_alu instid0(VALU_DEP_1) | instskip(NEXT) | instid1(VALU_DEP_3)
	v_cmp_eq_u32_e32 vcc_lo, 0, v2
	v_dual_cndmask_b32 v2, v2, v6 :: v_dual_and_b32 v7, 3, v7
	s_delay_alu instid0(VALU_DEP_1) | instskip(NEXT) | instid1(VALU_DEP_2)
	v_cndmask_b32_e32 v3, v3, v7, vcc_lo
	v_lshl_add_u32 v2, v2, 23, 0x37800000
	s_delay_alu instid0(VALU_DEP_2) | instskip(NEXT) | instid1(VALU_DEP_1)
	v_lshlrev_b32_e32 v3, 21, v3
	v_or3_b32 v2, v5, v2, v3
	s_delay_alu instid0(VALU_DEP_1)
	v_cvt_f64_f32_e32 v[2:3], v2
.LBB22_94:
	s_or_b32 exec_lo, exec_lo, s0
	s_mov_b32 s0, 0
	s_branch .LBB22_98
.LBB22_95:
	s_mov_b32 s1, -1
                                        ; implicit-def: $vgpr2_vgpr3
	s_branch .LBB22_104
.LBB22_96:
	s_mov_b32 s0, -1
                                        ; implicit-def: $vgpr2_vgpr3
	s_branch .LBB22_101
.LBB22_97:
	s_mov_b32 s0, -1
                                        ; implicit-def: $vgpr2_vgpr3
.LBB22_98:
	s_delay_alu instid0(SALU_CYCLE_1)
	s_and_b32 vcc_lo, exec_lo, s0
	s_cbranch_vccz .LBB22_100
; %bb.99:
	global_load_u8 v2, v[0:1], off
	s_waitcnt vmcnt(0)
	v_lshlrev_b32_e32 v2, 24, v2
	s_delay_alu instid0(VALU_DEP_1) | instskip(NEXT) | instid1(VALU_DEP_1)
	v_and_b32_e32 v3, 0x7f000000, v2
	v_clz_i32_u32_e32 v5, v3
	v_add_nc_u32_e32 v7, 0x1000000, v3
	v_cmp_ne_u32_e32 vcc_lo, 0, v3
	s_delay_alu instid0(VALU_DEP_3) | instskip(NEXT) | instid1(VALU_DEP_1)
	v_min_u32_e32 v5, 32, v5
	v_sub_nc_u32_e64 v5, v5, 4 clamp
	s_delay_alu instid0(VALU_DEP_1) | instskip(SKIP_1) | instid1(VALU_DEP_2)
	v_lshlrev_b32_e32 v6, v5, v3
	v_lshlrev_b32_e32 v5, 23, v5
	v_lshrrev_b32_e32 v6, 4, v6
	s_delay_alu instid0(VALU_DEP_1) | instskip(SKIP_1) | instid1(VALU_DEP_2)
	v_sub_nc_u32_e32 v5, v6, v5
	v_ashrrev_i32_e32 v6, 8, v7
	v_add_nc_u32_e32 v5, 0x3c000000, v5
	s_delay_alu instid0(VALU_DEP_1) | instskip(NEXT) | instid1(VALU_DEP_1)
	v_and_or_b32 v5, 0x7f800000, v6, v5
	v_cndmask_b32_e32 v3, 0, v5, vcc_lo
	s_delay_alu instid0(VALU_DEP_1) | instskip(NEXT) | instid1(VALU_DEP_1)
	v_and_or_b32 v2, 0x80000000, v2, v3
	v_cvt_f64_f32_e32 v[2:3], v2
.LBB22_100:
	s_mov_b32 s0, 0
.LBB22_101:
	s_delay_alu instid0(SALU_CYCLE_1)
	s_and_not1_b32 vcc_lo, exec_lo, s0
	s_cbranch_vccnz .LBB22_103
; %bb.102:
	global_load_u8 v2, v[0:1], off
	s_waitcnt vmcnt(0)
	v_lshlrev_b32_e32 v3, 25, v2
	v_lshlrev_b16 v2, 8, v2
	s_delay_alu instid0(VALU_DEP_2) | instskip(NEXT) | instid1(VALU_DEP_2)
	v_lshrrev_b32_e32 v5, 4, v3
	v_and_or_b32 v6, 0x7f00, v2, 0.5
	v_cmp_gt_u32_e32 vcc_lo, 0x8000000, v3
	v_bfe_i32 v2, v2, 0, 16
	s_delay_alu instid0(VALU_DEP_4) | instskip(NEXT) | instid1(VALU_DEP_1)
	v_or_b32_e32 v5, 0x70000000, v5
	v_dual_add_f32 v6, -0.5, v6 :: v_dual_mul_f32 v5, 0x7800000, v5
	s_delay_alu instid0(VALU_DEP_1) | instskip(NEXT) | instid1(VALU_DEP_1)
	v_cndmask_b32_e32 v3, v5, v6, vcc_lo
	v_and_or_b32 v2, 0x80000000, v2, v3
	s_delay_alu instid0(VALU_DEP_1)
	v_cvt_f64_f32_e32 v[2:3], v2
.LBB22_103:
	s_mov_b32 s1, 0
	s_mov_b32 s0, -1
.LBB22_104:
	s_and_not1_b32 vcc_lo, exec_lo, s1
	s_cbranch_vccnz .LBB22_115
; %bb.105:
	v_cmp_lt_i16_e32 vcc_lo, 14, v4
	s_cbranch_vccz .LBB22_108
; %bb.106:
	v_cmp_eq_u16_e32 vcc_lo, 15, v4
	s_cbranch_vccz .LBB22_109
; %bb.107:
	global_load_u16 v2, v[0:1], off
	s_mov_b32 s0, -1
	s_mov_b32 s16, 0
	s_waitcnt vmcnt(0)
	v_lshlrev_b32_e32 v2, 16, v2
	s_delay_alu instid0(VALU_DEP_1)
	v_cvt_f64_f32_e32 v[2:3], v2
	s_branch .LBB22_110
.LBB22_108:
	s_mov_b32 s1, -1
                                        ; implicit-def: $vgpr2_vgpr3
	s_branch .LBB22_111
.LBB22_109:
	s_mov_b32 s16, -1
                                        ; implicit-def: $vgpr2_vgpr3
.LBB22_110:
	s_mov_b32 s1, 0
.LBB22_111:
	s_delay_alu instid0(SALU_CYCLE_1)
	s_and_b32 vcc_lo, exec_lo, s1
	s_cbranch_vccz .LBB22_115
; %bb.112:
	v_cmp_eq_u16_e32 vcc_lo, 11, v4
	s_cbranch_vccz .LBB22_114
; %bb.113:
	global_load_u8 v2, v[0:1], off
	s_mov_b32 s16, 0
	s_mov_b32 s0, -1
	s_waitcnt vmcnt(0)
	v_cmp_ne_u16_e32 vcc_lo, 0, v2
	v_mov_b32_e32 v2, 0
	v_cndmask_b32_e64 v3, 0, 0x3ff00000, vcc_lo
	s_branch .LBB22_115
.LBB22_114:
	s_mov_b32 s16, -1
                                        ; implicit-def: $vgpr2_vgpr3
.LBB22_115:
	s_branch .LBB22_10
.LBB22_116:
	v_cmp_gt_i16_e32 vcc_lo, 5, v4
	s_cbranch_vccnz .LBB22_121
; %bb.117:
	v_cmp_gt_i16_e32 vcc_lo, 8, v4
	s_cbranch_vccnz .LBB22_122
; %bb.118:
	;; [unrolled: 3-line block ×3, first 2 shown]
	v_cmp_lt_i16_e32 vcc_lo, 9, v4
	s_cbranch_vccz .LBB22_124
; %bb.120:
	global_load_b64 v[2:3], v[0:1], off
	s_mov_b32 s0, 0
	s_branch .LBB22_125
.LBB22_121:
                                        ; implicit-def: $vgpr2_vgpr3
	s_branch .LBB22_143
.LBB22_122:
	s_mov_b32 s0, -1
                                        ; implicit-def: $vgpr2_vgpr3
	s_branch .LBB22_131
.LBB22_123:
	s_mov_b32 s0, -1
                                        ; implicit-def: $vgpr2_vgpr3
	s_branch .LBB22_128
.LBB22_124:
	s_mov_b32 s0, -1
                                        ; implicit-def: $vgpr2_vgpr3
.LBB22_125:
	s_delay_alu instid0(SALU_CYCLE_1)
	s_and_not1_b32 vcc_lo, exec_lo, s0
	s_cbranch_vccnz .LBB22_127
; %bb.126:
	global_load_b32 v2, v[0:1], off
	s_waitcnt vmcnt(0)
	v_cvt_f64_f32_e32 v[2:3], v2
.LBB22_127:
	s_mov_b32 s0, 0
.LBB22_128:
	s_delay_alu instid0(SALU_CYCLE_1)
	s_and_not1_b32 vcc_lo, exec_lo, s0
	s_cbranch_vccnz .LBB22_130
; %bb.129:
	global_load_b32 v2, v[0:1], off
	s_waitcnt vmcnt(0)
	v_cvt_f32_f16_e32 v2, v2
	s_delay_alu instid0(VALU_DEP_1)
	v_cvt_f64_f32_e32 v[2:3], v2
.LBB22_130:
	s_mov_b32 s0, 0
.LBB22_131:
	s_delay_alu instid0(SALU_CYCLE_1)
	s_and_not1_b32 vcc_lo, exec_lo, s0
	s_cbranch_vccnz .LBB22_142
; %bb.132:
	v_cmp_gt_i16_e32 vcc_lo, 6, v4
	s_cbranch_vccnz .LBB22_135
; %bb.133:
	v_cmp_lt_i16_e32 vcc_lo, 6, v4
	s_cbranch_vccz .LBB22_136
; %bb.134:
	global_load_b64 v[2:3], v[0:1], off
	s_mov_b32 s0, 0
	s_branch .LBB22_137
.LBB22_135:
	s_mov_b32 s0, -1
                                        ; implicit-def: $vgpr2_vgpr3
	s_branch .LBB22_140
.LBB22_136:
	s_mov_b32 s0, -1
                                        ; implicit-def: $vgpr2_vgpr3
.LBB22_137:
	s_delay_alu instid0(SALU_CYCLE_1)
	s_and_not1_b32 vcc_lo, exec_lo, s0
	s_cbranch_vccnz .LBB22_139
; %bb.138:
	global_load_b32 v2, v[0:1], off
	s_waitcnt vmcnt(0)
	v_cvt_f64_f32_e32 v[2:3], v2
.LBB22_139:
	s_mov_b32 s0, 0
.LBB22_140:
	s_delay_alu instid0(SALU_CYCLE_1)
	s_and_not1_b32 vcc_lo, exec_lo, s0
	s_cbranch_vccnz .LBB22_142
; %bb.141:
	global_load_u16 v2, v[0:1], off
	s_waitcnt vmcnt(0)
	v_cvt_f32_f16_e32 v2, v2
	s_delay_alu instid0(VALU_DEP_1)
	v_cvt_f64_f32_e32 v[2:3], v2
.LBB22_142:
	s_cbranch_execnz .LBB22_162
.LBB22_143:
	v_cmp_gt_i16_e32 vcc_lo, 2, v4
	s_cbranch_vccnz .LBB22_147
; %bb.144:
	v_cmp_gt_i16_e32 vcc_lo, 3, v4
	s_cbranch_vccnz .LBB22_148
; %bb.145:
	v_cmp_lt_i16_e32 vcc_lo, 3, v4
	s_cbranch_vccz .LBB22_149
; %bb.146:
	global_load_b64 v[2:3], v[0:1], off
	s_mov_b32 s0, 0
	s_waitcnt vmcnt(0)
	v_cvt_f64_i32_e32 v[5:6], v3
	v_cvt_f64_u32_e32 v[2:3], v2
	s_delay_alu instid0(VALU_DEP_2) | instskip(NEXT) | instid1(VALU_DEP_1)
	v_ldexp_f64 v[5:6], v[5:6], 32
	v_add_f64 v[2:3], v[5:6], v[2:3]
	s_branch .LBB22_150
.LBB22_147:
	s_mov_b32 s0, -1
                                        ; implicit-def: $vgpr2_vgpr3
	s_branch .LBB22_156
.LBB22_148:
	s_mov_b32 s0, -1
                                        ; implicit-def: $vgpr2_vgpr3
	s_branch .LBB22_153
.LBB22_149:
	s_mov_b32 s0, -1
                                        ; implicit-def: $vgpr2_vgpr3
.LBB22_150:
	s_delay_alu instid0(SALU_CYCLE_1)
	s_and_not1_b32 vcc_lo, exec_lo, s0
	s_cbranch_vccnz .LBB22_152
; %bb.151:
	global_load_b32 v2, v[0:1], off
	s_waitcnt vmcnt(0)
	v_cvt_f64_i32_e32 v[2:3], v2
.LBB22_152:
	s_mov_b32 s0, 0
.LBB22_153:
	s_delay_alu instid0(SALU_CYCLE_1)
	s_and_not1_b32 vcc_lo, exec_lo, s0
	s_cbranch_vccnz .LBB22_155
; %bb.154:
	global_load_i16 v2, v[0:1], off
	s_waitcnt vmcnt(0)
	v_cvt_f64_i32_e32 v[2:3], v2
.LBB22_155:
	s_mov_b32 s0, 0
.LBB22_156:
	s_delay_alu instid0(SALU_CYCLE_1)
	s_and_not1_b32 vcc_lo, exec_lo, s0
	s_cbranch_vccnz .LBB22_162
; %bb.157:
	v_cmp_lt_i16_e32 vcc_lo, 0, v4
	s_mov_b32 s0, 0
	s_cbranch_vccz .LBB22_159
; %bb.158:
	global_load_i8 v2, v[0:1], off
	s_waitcnt vmcnt(0)
	v_cvt_f64_i32_e32 v[2:3], v2
	s_branch .LBB22_160
.LBB22_159:
	s_mov_b32 s0, -1
                                        ; implicit-def: $vgpr2_vgpr3
.LBB22_160:
	s_delay_alu instid0(SALU_CYCLE_1)
	s_and_not1_b32 vcc_lo, exec_lo, s0
	s_cbranch_vccnz .LBB22_162
; %bb.161:
	global_load_u8 v0, v[0:1], off
	s_waitcnt vmcnt(0)
	v_cvt_f64_u32_e32 v[2:3], v0
.LBB22_162:
	s_branch .LBB22_11
.LBB22_163:
	s_mov_b32 s0, 0
	s_mov_b32 s15, 0
	s_branch .LBB22_391
.LBB22_164:
	s_mov_b32 s15, -1
.LBB22_165:
	s_mov_b32 s0, 0
                                        ; implicit-def: $vgpr4_vgpr5
.LBB22_166:
	s_and_b32 vcc_lo, exec_lo, s1
	s_cbranch_vccz .LBB22_281
; %bb.167:
	v_cmp_eq_u16_e32 vcc_lo, 44, v6
	s_cbranch_vccz .LBB22_280
; %bb.168:
	global_load_u8 v7, v[0:1], off
	s_mov_b32 s15, 0
	s_mov_b32 s0, -1
	s_waitcnt vmcnt(0)
	v_cmp_ne_u32_e32 vcc_lo, 0xff, v7
	v_lshlrev_b32_e32 v4, 23, v7
	s_delay_alu instid0(VALU_DEP_1) | instskip(NEXT) | instid1(VALU_DEP_1)
	v_cvt_f64_f32_e32 v[4:5], v4
	v_cndmask_b32_e32 v5, 0x7ff80000, v5, vcc_lo
	s_delay_alu instid0(VALU_DEP_2) | instskip(SKIP_1) | instid1(VALU_DEP_3)
	v_cndmask_b32_e32 v4, 0x20000000, v4, vcc_lo
	v_cmp_ne_u32_e32 vcc_lo, 0, v7
	v_cndmask_b32_e32 v5, 0x38000000, v5, vcc_lo
	s_delay_alu instid0(VALU_DEP_3)
	v_cndmask_b32_e32 v4, 0, v4, vcc_lo
	s_branch .LBB22_281
.LBB22_169:
	s_mov_b32 s13, -1
	s_mov_b32 s0, 0
	s_mov_b32 s1, 0
.LBB22_170:
	s_and_b32 vcc_lo, exec_lo, s13
	s_cbranch_vccz .LBB22_175
; %bb.171:
	v_cmp_eq_u16_e32 vcc_lo, 44, v6
	s_mov_b32 s0, -1
	s_cbranch_vccz .LBB22_175
; %bb.172:
	v_cvt_f32_f64_e32 v2, v[0:1]
	v_mov_b32_e32 v3, 0xff
	s_mov_b32 s1, exec_lo
	s_delay_alu instid0(VALU_DEP_2) | instskip(NEXT) | instid1(VALU_DEP_1)
	v_bfe_u32 v7, v2, 23, 8
	v_cmpx_ne_u32_e32 0xff, v7
; %bb.173:
	v_and_b32_e32 v3, 0x400000, v2
	v_and_or_b32 v7, 0x3fffff, v2, v7
	v_lshrrev_b32_e32 v2, 23, v2
	s_delay_alu instid0(VALU_DEP_3) | instskip(NEXT) | instid1(VALU_DEP_3)
	v_cmp_ne_u32_e32 vcc_lo, 0, v3
	v_cmp_ne_u32_e64 s0, 0, v7
	s_delay_alu instid0(VALU_DEP_1) | instskip(NEXT) | instid1(SALU_CYCLE_1)
	s_and_b32 s0, vcc_lo, s0
	v_cndmask_b32_e64 v3, 0, 1, s0
	s_delay_alu instid0(VALU_DEP_1)
	v_add_nc_u32_e32 v3, v2, v3
; %bb.174:
	s_or_b32 exec_lo, exec_lo, s1
	s_mov_b32 s1, -1
	s_mov_b32 s0, 0
	global_store_b8 v[4:5], v3, off
.LBB22_175:
	s_mov_b32 s13, 0
.LBB22_176:
	s_delay_alu instid0(SALU_CYCLE_1)
	s_and_b32 vcc_lo, exec_lo, s13
	s_cbranch_vccz .LBB22_179
; %bb.177:
	v_cmp_eq_u16_e32 vcc_lo, 29, v6
	s_mov_b32 s0, -1
	s_cbranch_vccz .LBB22_179
; %bb.178:
	v_trunc_f64_e32 v[2:3], v[0:1]
	s_mov_b32 s1, -1
	s_mov_b32 s0, 0
	s_mov_b32 s13, 0
	s_delay_alu instid0(VALU_DEP_1) | instskip(NEXT) | instid1(VALU_DEP_1)
	v_ldexp_f64 v[10:11], v[2:3], 0xffffffe0
	v_floor_f64_e32 v[10:11], v[10:11]
	s_delay_alu instid0(VALU_DEP_1) | instskip(SKIP_1) | instid1(VALU_DEP_2)
	v_fma_f64 v[2:3], 0xc1f00000, v[10:11], v[2:3]
	v_cvt_u32_f64_e32 v11, v[10:11]
	v_cvt_u32_f64_e32 v10, v[2:3]
	global_store_b64 v[4:5], v[10:11], off
	s_branch .LBB22_180
.LBB22_179:
	s_mov_b32 s13, 0
.LBB22_180:
	s_delay_alu instid0(SALU_CYCLE_1)
	s_and_b32 vcc_lo, exec_lo, s13
	s_cbranch_vccz .LBB22_196
; %bb.181:
	v_cmp_gt_i16_e32 vcc_lo, 27, v6
	s_mov_b32 s1, -1
	s_cbranch_vccnz .LBB22_187
; %bb.182:
	v_cmp_lt_i16_e32 vcc_lo, 27, v6
	s_cbranch_vccz .LBB22_184
; %bb.183:
	v_cvt_u32_f64_e32 v2, v[0:1]
	s_mov_b32 s1, 0
	global_store_b32 v[4:5], v2, off
.LBB22_184:
	s_and_not1_b32 vcc_lo, exec_lo, s1
	s_cbranch_vccnz .LBB22_186
; %bb.185:
	v_cvt_u32_f64_e32 v2, v[0:1]
	global_store_b16 v[4:5], v2, off
.LBB22_186:
	s_mov_b32 s1, 0
.LBB22_187:
	s_delay_alu instid0(SALU_CYCLE_1)
	s_and_not1_b32 vcc_lo, exec_lo, s1
	s_cbranch_vccnz .LBB22_195
; %bb.188:
	v_cvt_f32_f64_e32 v2, v[0:1]
	v_mov_b32_e32 v7, 0x80
	s_mov_b32 s1, exec_lo
	s_delay_alu instid0(VALU_DEP_2) | instskip(NEXT) | instid1(VALU_DEP_1)
	v_and_b32_e32 v3, 0x7fffffff, v2
	v_cmpx_gt_u32_e32 0x43800000, v3
	s_cbranch_execz .LBB22_194
; %bb.189:
	v_cmp_lt_u32_e32 vcc_lo, 0x3bffffff, v3
	s_mov_b32 s13, 0
                                        ; implicit-def: $vgpr3
	s_and_saveexec_b32 s19, vcc_lo
	s_delay_alu instid0(SALU_CYCLE_1)
	s_xor_b32 s19, exec_lo, s19
	s_cbranch_execz .LBB22_419
; %bb.190:
	v_bfe_u32 v3, v2, 20, 1
	s_mov_b32 s13, exec_lo
	s_delay_alu instid0(VALU_DEP_1) | instskip(NEXT) | instid1(VALU_DEP_1)
	v_add3_u32 v3, v2, v3, 0x487ffff
	v_lshrrev_b32_e32 v3, 20, v3
	s_or_saveexec_b32 s19, s19
                                        ; implicit-def: $sgpr20
	s_delay_alu instid0(SALU_CYCLE_1)
	s_xor_b32 exec_lo, exec_lo, s19
	s_cbranch_execnz .LBB22_420
.LBB22_191:
	s_or_b32 exec_lo, exec_lo, s19
	v_mov_b32_e32 v7, s20
	s_and_saveexec_b32 s19, s13
.LBB22_192:
	v_lshrrev_b32_e32 v2, 24, v2
	s_delay_alu instid0(VALU_DEP_1)
	v_and_or_b32 v7, 0x80, v2, v3
.LBB22_193:
	s_or_b32 exec_lo, exec_lo, s19
.LBB22_194:
	s_delay_alu instid0(SALU_CYCLE_1)
	s_or_b32 exec_lo, exec_lo, s1
	global_store_b8 v[4:5], v7, off
.LBB22_195:
	s_mov_b32 s1, -1
.LBB22_196:
	s_mov_b32 s13, 0
.LBB22_197:
	s_delay_alu instid0(SALU_CYCLE_1)
	s_and_b32 vcc_lo, exec_lo, s13
	s_cbranch_vccz .LBB22_238
; %bb.198:
	v_cmp_lt_i16_e32 vcc_lo, 22, v6
	s_mov_b32 s13, -1
	s_cbranch_vccz .LBB22_230
; %bb.199:
	v_cmp_gt_i16_e32 vcc_lo, 24, v6
	s_mov_b32 s1, -1
	s_cbranch_vccnz .LBB22_219
; %bb.200:
	v_cmp_lt_i16_e32 vcc_lo, 24, v6
	s_cbranch_vccz .LBB22_208
; %bb.201:
	v_cvt_f32_f64_e32 v2, v[0:1]
	v_mov_b32_e32 v7, 0x80
	s_mov_b32 s1, exec_lo
	s_delay_alu instid0(VALU_DEP_2) | instskip(NEXT) | instid1(VALU_DEP_1)
	v_and_b32_e32 v3, 0x7fffffff, v2
	v_cmpx_gt_u32_e32 0x47800000, v3
	s_cbranch_execz .LBB22_207
; %bb.202:
	v_cmp_lt_u32_e32 vcc_lo, 0x37ffffff, v3
	s_mov_b32 s13, 0
                                        ; implicit-def: $vgpr3
	s_and_saveexec_b32 s19, vcc_lo
	s_delay_alu instid0(SALU_CYCLE_1)
	s_xor_b32 s19, exec_lo, s19
	s_cbranch_execz .LBB22_538
; %bb.203:
	v_bfe_u32 v3, v2, 21, 1
	s_mov_b32 s13, exec_lo
	s_delay_alu instid0(VALU_DEP_1) | instskip(NEXT) | instid1(VALU_DEP_1)
	v_add3_u32 v3, v2, v3, 0x88fffff
	v_lshrrev_b32_e32 v3, 21, v3
	s_or_saveexec_b32 s19, s19
                                        ; implicit-def: $sgpr20
	s_delay_alu instid0(SALU_CYCLE_1)
	s_xor_b32 exec_lo, exec_lo, s19
	s_cbranch_execnz .LBB22_539
.LBB22_204:
	s_or_b32 exec_lo, exec_lo, s19
	v_mov_b32_e32 v7, s20
	s_and_saveexec_b32 s19, s13
.LBB22_205:
	v_lshrrev_b32_e32 v2, 24, v2
	s_delay_alu instid0(VALU_DEP_1)
	v_and_or_b32 v7, 0x80, v2, v3
.LBB22_206:
	s_or_b32 exec_lo, exec_lo, s19
.LBB22_207:
	s_delay_alu instid0(SALU_CYCLE_1)
	s_or_b32 exec_lo, exec_lo, s1
	s_mov_b32 s1, 0
	global_store_b8 v[4:5], v7, off
.LBB22_208:
	s_and_b32 vcc_lo, exec_lo, s1
	s_cbranch_vccz .LBB22_218
; %bb.209:
	v_cvt_f32_f64_e32 v2, v[0:1]
	s_mov_b32 s1, exec_lo
                                        ; implicit-def: $vgpr3
	s_delay_alu instid0(VALU_DEP_1) | instskip(NEXT) | instid1(VALU_DEP_1)
	v_and_b32_e32 v7, 0x7fffffff, v2
	v_cmpx_gt_u32_e32 0x43f00000, v7
	s_xor_b32 s1, exec_lo, s1
	s_cbranch_execz .LBB22_215
; %bb.210:
	s_mov_b32 s13, exec_lo
                                        ; implicit-def: $vgpr3
	v_cmpx_lt_u32_e32 0x3c7fffff, v7
	s_xor_b32 s13, exec_lo, s13
; %bb.211:
	v_bfe_u32 v3, v2, 20, 1
	s_delay_alu instid0(VALU_DEP_1) | instskip(NEXT) | instid1(VALU_DEP_1)
	v_add3_u32 v3, v2, v3, 0x407ffff
	v_and_b32_e32 v7, 0xff00000, v3
	v_lshrrev_b32_e32 v3, 20, v3
	s_delay_alu instid0(VALU_DEP_2) | instskip(NEXT) | instid1(VALU_DEP_2)
	v_cmp_ne_u32_e32 vcc_lo, 0x7f00000, v7
	v_cndmask_b32_e32 v3, 0x7e, v3, vcc_lo
; %bb.212:
	s_and_not1_saveexec_b32 s13, s13
; %bb.213:
	v_add_f32_e64 v3, 0x46800000, |v2|
; %bb.214:
	s_or_b32 exec_lo, exec_lo, s13
                                        ; implicit-def: $vgpr7
.LBB22_215:
	s_and_not1_saveexec_b32 s1, s1
; %bb.216:
	v_mov_b32_e32 v3, 0x7f
	v_cmp_lt_u32_e32 vcc_lo, 0x7f800000, v7
	s_delay_alu instid0(VALU_DEP_2)
	v_cndmask_b32_e32 v3, 0x7e, v3, vcc_lo
; %bb.217:
	s_or_b32 exec_lo, exec_lo, s1
	v_lshrrev_b32_e32 v2, 24, v2
	s_delay_alu instid0(VALU_DEP_1)
	v_and_or_b32 v2, 0x80, v2, v3
	global_store_b8 v[4:5], v2, off
.LBB22_218:
	s_mov_b32 s1, 0
.LBB22_219:
	s_delay_alu instid0(SALU_CYCLE_1)
	s_and_not1_b32 vcc_lo, exec_lo, s1
	s_cbranch_vccnz .LBB22_229
; %bb.220:
	v_cvt_f32_f64_e32 v2, v[0:1]
	s_mov_b32 s1, exec_lo
                                        ; implicit-def: $vgpr3
	s_delay_alu instid0(VALU_DEP_1) | instskip(NEXT) | instid1(VALU_DEP_1)
	v_and_b32_e32 v7, 0x7fffffff, v2
	v_cmpx_gt_u32_e32 0x47800000, v7
	s_xor_b32 s1, exec_lo, s1
	s_cbranch_execz .LBB22_226
; %bb.221:
	s_mov_b32 s13, exec_lo
                                        ; implicit-def: $vgpr3
	v_cmpx_lt_u32_e32 0x387fffff, v7
	s_xor_b32 s13, exec_lo, s13
; %bb.222:
	v_bfe_u32 v3, v2, 21, 1
	s_delay_alu instid0(VALU_DEP_1) | instskip(NEXT) | instid1(VALU_DEP_1)
	v_add3_u32 v3, v2, v3, 0x80fffff
	v_lshrrev_b32_e32 v3, 21, v3
; %bb.223:
	s_and_not1_saveexec_b32 s13, s13
; %bb.224:
	v_add_f32_e64 v3, 0x43000000, |v2|
; %bb.225:
	s_or_b32 exec_lo, exec_lo, s13
                                        ; implicit-def: $vgpr7
.LBB22_226:
	s_and_not1_saveexec_b32 s1, s1
; %bb.227:
	v_mov_b32_e32 v3, 0x7f
	v_cmp_lt_u32_e32 vcc_lo, 0x7f800000, v7
	s_delay_alu instid0(VALU_DEP_2)
	v_cndmask_b32_e32 v3, 0x7c, v3, vcc_lo
; %bb.228:
	s_or_b32 exec_lo, exec_lo, s1
	v_lshrrev_b32_e32 v2, 24, v2
	s_delay_alu instid0(VALU_DEP_1)
	v_and_or_b32 v2, 0x80, v2, v3
	global_store_b8 v[4:5], v2, off
.LBB22_229:
	s_mov_b32 s13, 0
	s_mov_b32 s1, -1
.LBB22_230:
	s_and_not1_b32 vcc_lo, exec_lo, s13
	s_cbranch_vccnz .LBB22_238
; %bb.231:
	v_cmp_lt_i16_e32 vcc_lo, 14, v6
	s_mov_b32 s13, -1
	s_cbranch_vccz .LBB22_235
; %bb.232:
	v_cmp_eq_u16_e32 vcc_lo, 15, v6
	s_mov_b32 s0, -1
	s_cbranch_vccz .LBB22_234
; %bb.233:
	v_cvt_f32_f64_e32 v2, v[0:1]
	s_mov_b32 s1, -1
	s_mov_b32 s0, 0
	s_delay_alu instid0(VALU_DEP_1) | instskip(SKIP_1) | instid1(VALU_DEP_2)
	v_bfe_u32 v3, v2, 16, 1
	v_cmp_o_f32_e32 vcc_lo, v2, v2
	v_add3_u32 v3, v2, v3, 0x7fff
	s_delay_alu instid0(VALU_DEP_1) | instskip(NEXT) | instid1(VALU_DEP_1)
	v_lshrrev_b32_e32 v3, 16, v3
	v_cndmask_b32_e32 v2, 0x7fc0, v3, vcc_lo
	global_store_b16 v[4:5], v2, off
.LBB22_234:
	s_mov_b32 s13, 0
.LBB22_235:
	s_delay_alu instid0(SALU_CYCLE_1)
	s_and_b32 vcc_lo, exec_lo, s13
	s_cbranch_vccz .LBB22_238
; %bb.236:
	v_cmp_eq_u16_e32 vcc_lo, 11, v6
	s_mov_b32 s0, -1
	s_cbranch_vccz .LBB22_238
; %bb.237:
	v_cmp_neq_f64_e32 vcc_lo, 0, v[0:1]
	s_mov_b32 s1, -1
	s_mov_b32 s0, 0
	v_cndmask_b32_e64 v2, 0, 1, vcc_lo
	global_store_b8 v[4:5], v2, off
.LBB22_238:
	s_mov_b32 s13, 0
.LBB22_239:
	s_delay_alu instid0(SALU_CYCLE_1)
	s_and_b32 vcc_lo, exec_lo, s13
	s_cbranch_vccz .LBB22_278
; %bb.240:
	v_cmp_gt_i16_e32 vcc_lo, 5, v6
	s_mov_b32 s1, -1
	s_cbranch_vccnz .LBB22_261
; %bb.241:
	v_cmp_gt_i16_e32 vcc_lo, 8, v6
	s_cbranch_vccnz .LBB22_251
; %bb.242:
	v_cmp_gt_i16_e32 vcc_lo, 9, v6
	s_cbranch_vccnz .LBB22_248
; %bb.243:
	v_cmp_lt_i16_e32 vcc_lo, 9, v6
	s_cbranch_vccz .LBB22_245
; %bb.244:
	v_mov_b32_e32 v2, 0
	s_mov_b32 s1, 0
	s_delay_alu instid0(VALU_DEP_1)
	v_mov_b32_e32 v3, v2
	global_store_b128 v[4:5], v[0:3], off
.LBB22_245:
	s_and_not1_b32 vcc_lo, exec_lo, s1
	s_cbranch_vccnz .LBB22_247
; %bb.246:
	v_cvt_f32_f64_e32 v2, v[0:1]
	v_mov_b32_e32 v3, 0
	global_store_b64 v[4:5], v[2:3], off
.LBB22_247:
	s_mov_b32 s1, 0
.LBB22_248:
	s_delay_alu instid0(SALU_CYCLE_1)
	s_and_not1_b32 vcc_lo, exec_lo, s1
	s_cbranch_vccnz .LBB22_250
; %bb.249:
	v_cvt_f32_f64_e32 v2, v[0:1]
	s_delay_alu instid0(VALU_DEP_1) | instskip(NEXT) | instid1(VALU_DEP_1)
	v_cvt_f16_f32_e32 v2, v2
	v_and_b32_e32 v2, 0xffff, v2
	global_store_b32 v[4:5], v2, off
.LBB22_250:
	s_mov_b32 s1, 0
.LBB22_251:
	s_delay_alu instid0(SALU_CYCLE_1)
	s_and_not1_b32 vcc_lo, exec_lo, s1
	s_cbranch_vccnz .LBB22_260
; %bb.252:
	v_cmp_gt_i16_e32 vcc_lo, 6, v6
	s_mov_b32 s1, -1
	s_cbranch_vccnz .LBB22_258
; %bb.253:
	v_cmp_lt_i16_e32 vcc_lo, 6, v6
	s_cbranch_vccz .LBB22_255
; %bb.254:
	s_mov_b32 s1, 0
	global_store_b64 v[4:5], v[0:1], off
.LBB22_255:
	s_and_not1_b32 vcc_lo, exec_lo, s1
	s_cbranch_vccnz .LBB22_257
; %bb.256:
	v_cvt_f32_f64_e32 v2, v[0:1]
	global_store_b32 v[4:5], v2, off
.LBB22_257:
	s_mov_b32 s1, 0
.LBB22_258:
	s_delay_alu instid0(SALU_CYCLE_1)
	s_and_not1_b32 vcc_lo, exec_lo, s1
	s_cbranch_vccnz .LBB22_260
; %bb.259:
	v_cvt_f32_f64_e32 v2, v[0:1]
	s_delay_alu instid0(VALU_DEP_1)
	v_cvt_f16_f32_e32 v2, v2
	global_store_b16 v[4:5], v2, off
.LBB22_260:
	s_mov_b32 s1, 0
.LBB22_261:
	s_delay_alu instid0(SALU_CYCLE_1)
	s_and_not1_b32 vcc_lo, exec_lo, s1
	s_cbranch_vccnz .LBB22_277
; %bb.262:
	v_cmp_gt_i16_e32 vcc_lo, 2, v6
	s_mov_b32 s1, -1
	s_cbranch_vccnz .LBB22_272
; %bb.263:
	v_cmp_gt_i16_e32 vcc_lo, 3, v6
	s_cbranch_vccnz .LBB22_269
; %bb.264:
	v_cmp_lt_i16_e32 vcc_lo, 3, v6
	s_cbranch_vccz .LBB22_266
; %bb.265:
	v_trunc_f64_e32 v[2:3], v[0:1]
	s_mov_b32 s1, 0
	s_delay_alu instid0(VALU_DEP_1) | instskip(NEXT) | instid1(VALU_DEP_1)
	v_ldexp_f64 v[10:11], v[2:3], 0xffffffe0
	v_floor_f64_e32 v[10:11], v[10:11]
	s_delay_alu instid0(VALU_DEP_1) | instskip(SKIP_1) | instid1(VALU_DEP_2)
	v_fma_f64 v[2:3], 0xc1f00000, v[10:11], v[2:3]
	v_cvt_i32_f64_e32 v11, v[10:11]
	v_cvt_u32_f64_e32 v10, v[2:3]
	global_store_b64 v[4:5], v[10:11], off
.LBB22_266:
	s_and_not1_b32 vcc_lo, exec_lo, s1
	s_cbranch_vccnz .LBB22_268
; %bb.267:
	v_cvt_i32_f64_e32 v2, v[0:1]
	global_store_b32 v[4:5], v2, off
.LBB22_268:
	s_mov_b32 s1, 0
.LBB22_269:
	s_delay_alu instid0(SALU_CYCLE_1)
	s_and_not1_b32 vcc_lo, exec_lo, s1
	s_cbranch_vccnz .LBB22_271
; %bb.270:
	v_cvt_i32_f64_e32 v2, v[0:1]
	global_store_b16 v[4:5], v2, off
.LBB22_271:
	s_mov_b32 s1, 0
.LBB22_272:
	s_delay_alu instid0(SALU_CYCLE_1)
	s_and_not1_b32 vcc_lo, exec_lo, s1
	s_cbranch_vccnz .LBB22_277
; %bb.273:
	v_cmp_lt_i16_e32 vcc_lo, 0, v6
	s_mov_b32 s1, -1
	s_cbranch_vccz .LBB22_275
; %bb.274:
	v_cvt_i32_f64_e32 v2, v[0:1]
	s_mov_b32 s1, 0
	global_store_b8 v[4:5], v2, off
.LBB22_275:
	s_and_not1_b32 vcc_lo, exec_lo, s1
	s_cbranch_vccnz .LBB22_277
; %bb.276:
	v_trunc_f64_e32 v[0:1], v[0:1]
	s_delay_alu instid0(VALU_DEP_1) | instskip(NEXT) | instid1(VALU_DEP_1)
	v_ldexp_f64 v[2:3], v[0:1], 0xffffffe0
	v_floor_f64_e32 v[2:3], v[2:3]
	s_delay_alu instid0(VALU_DEP_1) | instskip(NEXT) | instid1(VALU_DEP_1)
	v_fma_f64 v[0:1], 0xc1f00000, v[2:3], v[0:1]
	v_cvt_u32_f64_e32 v0, v[0:1]
	global_store_b8 v[4:5], v0, off
.LBB22_277:
	s_mov_b32 s1, -1
.LBB22_278:
	s_delay_alu instid0(SALU_CYCLE_1)
	s_and_not1_b32 vcc_lo, exec_lo, s1
	s_cbranch_vccnz .LBB22_391
; %bb.279:
	v_add_nc_u32_e32 v15, 0x80, v15
	s_mov_b32 s1, -1
	s_branch .LBB22_392
.LBB22_280:
	s_mov_b32 s15, -1
                                        ; implicit-def: $vgpr4_vgpr5
.LBB22_281:
	s_mov_b32 s1, 0
.LBB22_282:
	s_delay_alu instid0(SALU_CYCLE_1)
	s_and_b32 vcc_lo, exec_lo, s1
	s_cbranch_vccz .LBB22_286
; %bb.283:
	v_cmp_eq_u16_e32 vcc_lo, 29, v6
	s_cbranch_vccz .LBB22_285
; %bb.284:
	global_load_b64 v[4:5], v[0:1], off
	s_mov_b32 s0, -1
	s_mov_b32 s15, 0
	s_mov_b32 s1, 0
	s_waitcnt vmcnt(0)
	v_cvt_f64_u32_e32 v[10:11], v5
	v_cvt_f64_u32_e32 v[4:5], v4
	s_delay_alu instid0(VALU_DEP_2) | instskip(NEXT) | instid1(VALU_DEP_1)
	v_ldexp_f64 v[10:11], v[10:11], 32
	v_add_f64 v[4:5], v[10:11], v[4:5]
	s_branch .LBB22_287
.LBB22_285:
	s_mov_b32 s15, -1
                                        ; implicit-def: $vgpr4_vgpr5
.LBB22_286:
	s_mov_b32 s1, 0
.LBB22_287:
	s_delay_alu instid0(SALU_CYCLE_1)
	s_and_b32 vcc_lo, exec_lo, s1
	s_cbranch_vccz .LBB22_307
; %bb.288:
	v_cmp_gt_i16_e32 vcc_lo, 27, v6
	s_cbranch_vccnz .LBB22_291
; %bb.289:
	v_cmp_lt_i16_e32 vcc_lo, 27, v6
	s_cbranch_vccz .LBB22_292
; %bb.290:
	global_load_b32 v4, v[0:1], off
	s_mov_b32 s0, 0
	s_waitcnt vmcnt(0)
	v_cvt_f64_u32_e32 v[4:5], v4
	s_branch .LBB22_293
.LBB22_291:
	s_mov_b32 s0, -1
                                        ; implicit-def: $vgpr4_vgpr5
	s_branch .LBB22_296
.LBB22_292:
	s_mov_b32 s0, -1
                                        ; implicit-def: $vgpr4_vgpr5
.LBB22_293:
	s_delay_alu instid0(SALU_CYCLE_1)
	s_and_not1_b32 vcc_lo, exec_lo, s0
	s_cbranch_vccnz .LBB22_295
; %bb.294:
	global_load_u16 v4, v[0:1], off
	s_waitcnt vmcnt(0)
	v_cvt_f64_u32_e32 v[4:5], v4
.LBB22_295:
	s_mov_b32 s0, 0
.LBB22_296:
	s_delay_alu instid0(SALU_CYCLE_1)
	s_and_not1_b32 vcc_lo, exec_lo, s0
	s_cbranch_vccnz .LBB22_306
; %bb.297:
	global_load_u8 v7, v[0:1], off
	s_mov_b32 s13, 0
	s_mov_b32 s19, exec_lo
                                        ; implicit-def: $sgpr0_sgpr1
	s_waitcnt vmcnt(0)
	v_cmpx_lt_i16_e32 0x7f, v7
	s_xor_b32 s19, exec_lo, s19
	s_cbranch_execz .LBB22_301
; %bb.298:
	s_mov_b32 s20, -1
	s_mov_b32 s13, exec_lo
                                        ; implicit-def: $sgpr0_sgpr1
	v_cmpx_eq_u16_e32 0x80, v7
; %bb.299:
	s_mov_b32 s1, 0x7ff80000
	s_brev_b32 s0, 4
	s_xor_b32 s20, exec_lo, -1
; %bb.300:
	s_or_b32 exec_lo, exec_lo, s13
	s_delay_alu instid0(SALU_CYCLE_1)
	s_and_b32 s13, s20, exec_lo
.LBB22_301:
	s_or_saveexec_b32 s19, s19
	v_dual_mov_b32 v5, s1 :: v_dual_mov_b32 v4, s0
	s_xor_b32 exec_lo, exec_lo, s19
; %bb.302:
	v_cmp_ne_u16_e32 vcc_lo, 0, v7
	v_mov_b32_e32 v4, 0
	v_mov_b32_e32 v5, 0
	s_and_not1_b32 s0, s13, exec_lo
	s_and_b32 s1, vcc_lo, exec_lo
	s_delay_alu instid0(SALU_CYCLE_1)
	s_or_b32 s13, s0, s1
; %bb.303:
	s_or_b32 exec_lo, exec_lo, s19
	s_and_saveexec_b32 s0, s13
	s_cbranch_execz .LBB22_305
; %bb.304:
	v_and_b32_e32 v4, 0xffff, v7
	v_lshlrev_b32_e32 v7, 24, v7
	s_delay_alu instid0(VALU_DEP_2) | instskip(NEXT) | instid1(VALU_DEP_2)
	v_and_b32_e32 v5, 7, v4
	v_and_b32_e32 v7, 0x80000000, v7
	s_delay_alu instid0(VALU_DEP_2) | instskip(NEXT) | instid1(VALU_DEP_1)
	v_clz_i32_u32_e32 v10, v5
	v_min_u32_e32 v10, 32, v10
	s_delay_alu instid0(VALU_DEP_1) | instskip(SKIP_1) | instid1(VALU_DEP_2)
	v_subrev_nc_u32_e32 v11, 28, v10
	v_sub_nc_u32_e32 v10, 29, v10
	v_lshlrev_b32_e32 v11, v11, v4
	v_bfe_u32 v4, v4, 3, 4
	s_delay_alu instid0(VALU_DEP_2) | instskip(NEXT) | instid1(VALU_DEP_2)
	v_and_b32_e32 v11, 7, v11
	v_cmp_eq_u32_e32 vcc_lo, 0, v4
	s_delay_alu instid0(VALU_DEP_2) | instskip(NEXT) | instid1(VALU_DEP_1)
	v_dual_cndmask_b32 v4, v4, v10 :: v_dual_cndmask_b32 v5, v5, v11
	v_lshl_add_u32 v4, v4, 23, 0x3b800000
	s_delay_alu instid0(VALU_DEP_2) | instskip(NEXT) | instid1(VALU_DEP_1)
	v_lshlrev_b32_e32 v5, 20, v5
	v_or3_b32 v4, v7, v4, v5
	s_delay_alu instid0(VALU_DEP_1)
	v_cvt_f64_f32_e32 v[4:5], v4
.LBB22_305:
	s_or_b32 exec_lo, exec_lo, s0
.LBB22_306:
	s_mov_b32 s0, -1
.LBB22_307:
	s_mov_b32 s1, 0
.LBB22_308:
	s_delay_alu instid0(SALU_CYCLE_1)
	s_and_b32 vcc_lo, exec_lo, s1
	s_cbranch_vccz .LBB22_341
; %bb.309:
	v_cmp_lt_i16_e32 vcc_lo, 22, v6
	s_cbranch_vccz .LBB22_321
; %bb.310:
	v_cmp_gt_i16_e32 vcc_lo, 24, v6
	s_cbranch_vccnz .LBB22_322
; %bb.311:
	v_cmp_lt_i16_e32 vcc_lo, 24, v6
	s_cbranch_vccz .LBB22_323
; %bb.312:
	global_load_u8 v7, v[0:1], off
	s_mov_b32 s13, 0
	s_mov_b32 s19, exec_lo
                                        ; implicit-def: $sgpr0_sgpr1
	s_waitcnt vmcnt(0)
	v_cmpx_lt_i16_e32 0x7f, v7
	s_xor_b32 s19, exec_lo, s19
	s_cbranch_execz .LBB22_316
; %bb.313:
	s_mov_b32 s20, -1
	s_mov_b32 s13, exec_lo
                                        ; implicit-def: $sgpr0_sgpr1
	v_cmpx_eq_u16_e32 0x80, v7
; %bb.314:
	s_mov_b32 s1, 0x7ff80000
	s_brev_b32 s0, 4
	s_xor_b32 s20, exec_lo, -1
; %bb.315:
	s_or_b32 exec_lo, exec_lo, s13
	s_delay_alu instid0(SALU_CYCLE_1)
	s_and_b32 s13, s20, exec_lo
.LBB22_316:
	s_or_saveexec_b32 s19, s19
	v_dual_mov_b32 v5, s1 :: v_dual_mov_b32 v4, s0
	s_xor_b32 exec_lo, exec_lo, s19
; %bb.317:
	v_cmp_ne_u16_e32 vcc_lo, 0, v7
	v_mov_b32_e32 v4, 0
	v_mov_b32_e32 v5, 0
	s_and_not1_b32 s0, s13, exec_lo
	s_and_b32 s1, vcc_lo, exec_lo
	s_delay_alu instid0(SALU_CYCLE_1)
	s_or_b32 s13, s0, s1
; %bb.318:
	s_or_b32 exec_lo, exec_lo, s19
	s_and_saveexec_b32 s0, s13
	s_cbranch_execz .LBB22_320
; %bb.319:
	v_and_b32_e32 v4, 0xffff, v7
	v_lshlrev_b32_e32 v7, 24, v7
	s_delay_alu instid0(VALU_DEP_2) | instskip(NEXT) | instid1(VALU_DEP_2)
	v_and_b32_e32 v5, 3, v4
	v_and_b32_e32 v7, 0x80000000, v7
	s_delay_alu instid0(VALU_DEP_2) | instskip(NEXT) | instid1(VALU_DEP_1)
	v_clz_i32_u32_e32 v10, v5
	v_min_u32_e32 v10, 32, v10
	s_delay_alu instid0(VALU_DEP_1) | instskip(SKIP_1) | instid1(VALU_DEP_2)
	v_subrev_nc_u32_e32 v11, 29, v10
	v_sub_nc_u32_e32 v10, 30, v10
	v_lshlrev_b32_e32 v11, v11, v4
	v_bfe_u32 v4, v4, 2, 5
	s_delay_alu instid0(VALU_DEP_2) | instskip(NEXT) | instid1(VALU_DEP_2)
	v_and_b32_e32 v11, 3, v11
	v_cmp_eq_u32_e32 vcc_lo, 0, v4
	s_delay_alu instid0(VALU_DEP_2) | instskip(NEXT) | instid1(VALU_DEP_1)
	v_dual_cndmask_b32 v4, v4, v10 :: v_dual_cndmask_b32 v5, v5, v11
	v_lshl_add_u32 v4, v4, 23, 0x37800000
	s_delay_alu instid0(VALU_DEP_2) | instskip(NEXT) | instid1(VALU_DEP_1)
	v_lshlrev_b32_e32 v5, 21, v5
	v_or3_b32 v4, v7, v4, v5
	s_delay_alu instid0(VALU_DEP_1)
	v_cvt_f64_f32_e32 v[4:5], v4
.LBB22_320:
	s_or_b32 exec_lo, exec_lo, s0
	s_mov_b32 s0, 0
	s_branch .LBB22_324
.LBB22_321:
	s_mov_b32 s1, -1
                                        ; implicit-def: $vgpr4_vgpr5
	s_branch .LBB22_330
.LBB22_322:
	s_mov_b32 s0, -1
                                        ; implicit-def: $vgpr4_vgpr5
	s_branch .LBB22_327
.LBB22_323:
	s_mov_b32 s0, -1
                                        ; implicit-def: $vgpr4_vgpr5
.LBB22_324:
	s_delay_alu instid0(SALU_CYCLE_1)
	s_and_b32 vcc_lo, exec_lo, s0
	s_cbranch_vccz .LBB22_326
; %bb.325:
	global_load_u8 v4, v[0:1], off
	s_waitcnt vmcnt(0)
	v_lshlrev_b32_e32 v4, 24, v4
	s_delay_alu instid0(VALU_DEP_1) | instskip(NEXT) | instid1(VALU_DEP_1)
	v_and_b32_e32 v5, 0x7f000000, v4
	v_clz_i32_u32_e32 v7, v5
	v_add_nc_u32_e32 v11, 0x1000000, v5
	v_cmp_ne_u32_e32 vcc_lo, 0, v5
	s_delay_alu instid0(VALU_DEP_3) | instskip(NEXT) | instid1(VALU_DEP_1)
	v_min_u32_e32 v7, 32, v7
	v_sub_nc_u32_e64 v7, v7, 4 clamp
	s_delay_alu instid0(VALU_DEP_1) | instskip(SKIP_1) | instid1(VALU_DEP_2)
	v_lshlrev_b32_e32 v10, v7, v5
	v_lshlrev_b32_e32 v7, 23, v7
	v_lshrrev_b32_e32 v10, 4, v10
	s_delay_alu instid0(VALU_DEP_1) | instskip(SKIP_1) | instid1(VALU_DEP_2)
	v_sub_nc_u32_e32 v7, v10, v7
	v_ashrrev_i32_e32 v10, 8, v11
	v_add_nc_u32_e32 v7, 0x3c000000, v7
	s_delay_alu instid0(VALU_DEP_1) | instskip(NEXT) | instid1(VALU_DEP_1)
	v_and_or_b32 v7, 0x7f800000, v10, v7
	v_cndmask_b32_e32 v5, 0, v7, vcc_lo
	s_delay_alu instid0(VALU_DEP_1) | instskip(NEXT) | instid1(VALU_DEP_1)
	v_and_or_b32 v4, 0x80000000, v4, v5
	v_cvt_f64_f32_e32 v[4:5], v4
.LBB22_326:
	s_mov_b32 s0, 0
.LBB22_327:
	s_delay_alu instid0(SALU_CYCLE_1)
	s_and_not1_b32 vcc_lo, exec_lo, s0
	s_cbranch_vccnz .LBB22_329
; %bb.328:
	global_load_u8 v4, v[0:1], off
	s_waitcnt vmcnt(0)
	v_lshlrev_b32_e32 v5, 25, v4
	v_lshlrev_b16 v4, 8, v4
	s_delay_alu instid0(VALU_DEP_1) | instskip(SKIP_1) | instid1(VALU_DEP_2)
	v_and_or_b32 v10, 0x7f00, v4, 0.5
	v_bfe_i32 v4, v4, 0, 16
	v_add_f32_e32 v10, -0.5, v10
	v_lshrrev_b32_e32 v7, 4, v5
	v_cmp_gt_u32_e32 vcc_lo, 0x8000000, v5
	s_delay_alu instid0(VALU_DEP_2) | instskip(NEXT) | instid1(VALU_DEP_1)
	v_or_b32_e32 v7, 0x70000000, v7
	v_mul_f32_e32 v7, 0x7800000, v7
	s_delay_alu instid0(VALU_DEP_1) | instskip(NEXT) | instid1(VALU_DEP_1)
	v_cndmask_b32_e32 v5, v7, v10, vcc_lo
	v_and_or_b32 v4, 0x80000000, v4, v5
	s_delay_alu instid0(VALU_DEP_1)
	v_cvt_f64_f32_e32 v[4:5], v4
.LBB22_329:
	s_mov_b32 s1, 0
	s_mov_b32 s0, -1
.LBB22_330:
	s_and_not1_b32 vcc_lo, exec_lo, s1
	s_cbranch_vccnz .LBB22_341
; %bb.331:
	v_cmp_lt_i16_e32 vcc_lo, 14, v6
	s_cbranch_vccz .LBB22_334
; %bb.332:
	v_cmp_eq_u16_e32 vcc_lo, 15, v6
	s_cbranch_vccz .LBB22_335
; %bb.333:
	global_load_u16 v4, v[0:1], off
	s_mov_b32 s0, -1
	s_mov_b32 s15, 0
	s_waitcnt vmcnt(0)
	v_lshlrev_b32_e32 v4, 16, v4
	s_delay_alu instid0(VALU_DEP_1)
	v_cvt_f64_f32_e32 v[4:5], v4
	s_branch .LBB22_336
.LBB22_334:
	s_mov_b32 s1, -1
                                        ; implicit-def: $vgpr4_vgpr5
	s_branch .LBB22_337
.LBB22_335:
	s_mov_b32 s15, -1
                                        ; implicit-def: $vgpr4_vgpr5
.LBB22_336:
	s_mov_b32 s1, 0
.LBB22_337:
	s_delay_alu instid0(SALU_CYCLE_1)
	s_and_b32 vcc_lo, exec_lo, s1
	s_cbranch_vccz .LBB22_341
; %bb.338:
	v_cmp_eq_u16_e32 vcc_lo, 11, v6
	s_cbranch_vccz .LBB22_340
; %bb.339:
	global_load_u8 v4, v[0:1], off
	s_mov_b32 s15, 0
	s_mov_b32 s0, -1
	s_waitcnt vmcnt(0)
	v_cmp_ne_u16_e32 vcc_lo, 0, v4
	v_mov_b32_e32 v4, 0
	v_cndmask_b32_e64 v5, 0, 0x3ff00000, vcc_lo
	s_branch .LBB22_341
.LBB22_340:
	s_mov_b32 s15, -1
                                        ; implicit-def: $vgpr4_vgpr5
.LBB22_341:
	s_branch .LBB22_20
.LBB22_342:
	v_cmp_gt_i16_e32 vcc_lo, 5, v6
	s_cbranch_vccnz .LBB22_347
; %bb.343:
	v_cmp_gt_i16_e32 vcc_lo, 8, v6
	s_cbranch_vccnz .LBB22_348
; %bb.344:
	;; [unrolled: 3-line block ×3, first 2 shown]
	v_cmp_lt_i16_e32 vcc_lo, 9, v6
	s_cbranch_vccz .LBB22_350
; %bb.346:
	global_load_b64 v[4:5], v[0:1], off
	s_mov_b32 s0, 0
	s_branch .LBB22_351
.LBB22_347:
	s_mov_b32 s0, -1
                                        ; implicit-def: $vgpr4_vgpr5
	s_branch .LBB22_369
.LBB22_348:
	s_mov_b32 s0, -1
                                        ; implicit-def: $vgpr4_vgpr5
	s_branch .LBB22_357
.LBB22_349:
	s_mov_b32 s0, -1
                                        ; implicit-def: $vgpr4_vgpr5
	s_branch .LBB22_354
.LBB22_350:
	s_mov_b32 s0, -1
                                        ; implicit-def: $vgpr4_vgpr5
.LBB22_351:
	s_delay_alu instid0(SALU_CYCLE_1)
	s_and_not1_b32 vcc_lo, exec_lo, s0
	s_cbranch_vccnz .LBB22_353
; %bb.352:
	global_load_b32 v4, v[0:1], off
	s_waitcnt vmcnt(0)
	v_cvt_f64_f32_e32 v[4:5], v4
.LBB22_353:
	s_mov_b32 s0, 0
.LBB22_354:
	s_delay_alu instid0(SALU_CYCLE_1)
	s_and_not1_b32 vcc_lo, exec_lo, s0
	s_cbranch_vccnz .LBB22_356
; %bb.355:
	global_load_b32 v4, v[0:1], off
	s_waitcnt vmcnt(0)
	v_cvt_f32_f16_e32 v4, v4
	s_delay_alu instid0(VALU_DEP_1)
	v_cvt_f64_f32_e32 v[4:5], v4
.LBB22_356:
	s_mov_b32 s0, 0
.LBB22_357:
	s_delay_alu instid0(SALU_CYCLE_1)
	s_and_not1_b32 vcc_lo, exec_lo, s0
	s_cbranch_vccnz .LBB22_368
; %bb.358:
	v_cmp_gt_i16_e32 vcc_lo, 6, v6
	s_cbranch_vccnz .LBB22_361
; %bb.359:
	v_cmp_lt_i16_e32 vcc_lo, 6, v6
	s_cbranch_vccz .LBB22_362
; %bb.360:
	global_load_b64 v[4:5], v[0:1], off
	s_mov_b32 s0, 0
	s_branch .LBB22_363
.LBB22_361:
	s_mov_b32 s0, -1
                                        ; implicit-def: $vgpr4_vgpr5
	s_branch .LBB22_366
.LBB22_362:
	s_mov_b32 s0, -1
                                        ; implicit-def: $vgpr4_vgpr5
.LBB22_363:
	s_delay_alu instid0(SALU_CYCLE_1)
	s_and_not1_b32 vcc_lo, exec_lo, s0
	s_cbranch_vccnz .LBB22_365
; %bb.364:
	global_load_b32 v4, v[0:1], off
	s_waitcnt vmcnt(0)
	v_cvt_f64_f32_e32 v[4:5], v4
.LBB22_365:
	s_mov_b32 s0, 0
.LBB22_366:
	s_delay_alu instid0(SALU_CYCLE_1)
	s_and_not1_b32 vcc_lo, exec_lo, s0
	s_cbranch_vccnz .LBB22_368
; %bb.367:
	global_load_u16 v4, v[0:1], off
	s_waitcnt vmcnt(0)
	v_cvt_f32_f16_e32 v4, v4
	s_delay_alu instid0(VALU_DEP_1)
	v_cvt_f64_f32_e32 v[4:5], v4
.LBB22_368:
	s_mov_b32 s0, 0
.LBB22_369:
	s_delay_alu instid0(SALU_CYCLE_1)
	s_and_not1_b32 vcc_lo, exec_lo, s0
	s_cbranch_vccnz .LBB22_389
; %bb.370:
	v_cmp_gt_i16_e32 vcc_lo, 2, v6
	s_cbranch_vccnz .LBB22_374
; %bb.371:
	v_cmp_gt_i16_e32 vcc_lo, 3, v6
	s_cbranch_vccnz .LBB22_375
; %bb.372:
	v_cmp_lt_i16_e32 vcc_lo, 3, v6
	s_cbranch_vccz .LBB22_376
; %bb.373:
	global_load_b64 v[4:5], v[0:1], off
	s_mov_b32 s0, 0
	s_waitcnt vmcnt(0)
	v_cvt_f64_i32_e32 v[10:11], v5
	v_cvt_f64_u32_e32 v[4:5], v4
	s_delay_alu instid0(VALU_DEP_2) | instskip(NEXT) | instid1(VALU_DEP_1)
	v_ldexp_f64 v[10:11], v[10:11], 32
	v_add_f64 v[4:5], v[10:11], v[4:5]
	s_branch .LBB22_377
.LBB22_374:
	s_mov_b32 s0, -1
                                        ; implicit-def: $vgpr4_vgpr5
	s_branch .LBB22_383
.LBB22_375:
	s_mov_b32 s0, -1
                                        ; implicit-def: $vgpr4_vgpr5
	s_branch .LBB22_380
.LBB22_376:
	s_mov_b32 s0, -1
                                        ; implicit-def: $vgpr4_vgpr5
.LBB22_377:
	s_delay_alu instid0(SALU_CYCLE_1)
	s_and_not1_b32 vcc_lo, exec_lo, s0
	s_cbranch_vccnz .LBB22_379
; %bb.378:
	global_load_b32 v4, v[0:1], off
	s_waitcnt vmcnt(0)
	v_cvt_f64_i32_e32 v[4:5], v4
.LBB22_379:
	s_mov_b32 s0, 0
.LBB22_380:
	s_delay_alu instid0(SALU_CYCLE_1)
	s_and_not1_b32 vcc_lo, exec_lo, s0
	s_cbranch_vccnz .LBB22_382
; %bb.381:
	global_load_i16 v4, v[0:1], off
	s_waitcnt vmcnt(0)
	v_cvt_f64_i32_e32 v[4:5], v4
.LBB22_382:
	s_mov_b32 s0, 0
.LBB22_383:
	s_delay_alu instid0(SALU_CYCLE_1)
	s_and_not1_b32 vcc_lo, exec_lo, s0
	s_cbranch_vccnz .LBB22_389
; %bb.384:
	v_cmp_lt_i16_e32 vcc_lo, 0, v6
	s_mov_b32 s0, 0
	s_cbranch_vccz .LBB22_386
; %bb.385:
	global_load_i8 v4, v[0:1], off
	s_waitcnt vmcnt(0)
	v_cvt_f64_i32_e32 v[4:5], v4
	s_branch .LBB22_387
.LBB22_386:
	s_mov_b32 s0, -1
                                        ; implicit-def: $vgpr4_vgpr5
.LBB22_387:
	s_delay_alu instid0(SALU_CYCLE_1)
	s_and_not1_b32 vcc_lo, exec_lo, s0
	s_cbranch_vccnz .LBB22_389
; %bb.388:
	global_load_u8 v0, v[0:1], off
	s_waitcnt vmcnt(0)
	v_cvt_f64_u32_e32 v[4:5], v0
.LBB22_389:
	s_branch .LBB22_21
.LBB22_390:
	s_mov_b32 s0, 0
.LBB22_391:
	s_mov_b32 s1, 0
                                        ; implicit-def: $vgpr15
.LBB22_392:
	s_and_b32 s13, s0, exec_lo
	s_and_b32 s15, s15, exec_lo
	;; [unrolled: 1-line block ×3, first 2 shown]
	s_or_not1_b32 s1, s1, exec_lo
.LBB22_393:
	s_or_b32 exec_lo, exec_lo, s17
	s_mov_b32 s19, 0
	s_mov_b32 s0, 0
                                        ; implicit-def: $vgpr4
                                        ; implicit-def: $vgpr0_vgpr1
                                        ; implicit-def: $vgpr2_vgpr3
	s_and_saveexec_b32 s17, s1
	s_cbranch_execz .LBB22_1283
; %bb.394:
	s_mov_b32 s23, -1
	s_mov_b32 s18, s16
	s_mov_b32 s20, s15
	;; [unrolled: 1-line block ×3, first 2 shown]
	s_mov_b32 s21, exec_lo
	v_cmpx_gt_i32_e64 s14, v15
	s_cbranch_execz .LBB22_795
; %bb.395:
	v_mul_lo_u32 v0, v15, s9
	s_waitcnt vmcnt(0)
	v_and_b32_e32 v4, 0xff, v9
	s_delay_alu instid0(VALU_DEP_1) | instskip(NEXT) | instid1(VALU_DEP_3)
	v_cmp_gt_i16_e32 vcc_lo, 11, v4
	v_ashrrev_i32_e32 v1, 31, v0
	v_add_co_u32 v0, s0, s6, v0
	s_delay_alu instid0(VALU_DEP_1)
	v_add_co_ci_u32_e64 v1, s0, s7, v1, s0
	s_cbranch_vccnz .LBB22_402
; %bb.396:
	v_cmp_lt_i16_e32 vcc_lo, 25, v4
	s_cbranch_vccz .LBB22_411
; %bb.397:
	v_cmp_lt_i16_e32 vcc_lo, 28, v4
	s_cbranch_vccz .LBB22_413
	;; [unrolled: 3-line block ×4, first 2 shown]
; %bb.400:
	v_cmp_eq_u16_e32 vcc_lo, 46, v4
	s_mov_b32 s1, 0
	s_cbranch_vccz .LBB22_421
; %bb.401:
	global_load_b32 v2, v[0:1], off
	s_mov_b32 s0, -1
	s_mov_b32 s18, 0
	s_waitcnt vmcnt(0)
	v_lshlrev_b32_e32 v2, 16, v2
	s_delay_alu instid0(VALU_DEP_1)
	v_cvt_f64_f32_e32 v[2:3], v2
	s_branch .LBB22_423
.LBB22_402:
	s_mov_b32 s0, 0
	s_mov_b32 s18, s16
                                        ; implicit-def: $vgpr2_vgpr3
	s_cbranch_execnz .LBB22_489
.LBB22_403:
	s_and_not1_b32 vcc_lo, exec_lo, s0
	s_cbranch_vccnz .LBB22_537
.LBB22_404:
	v_mul_lo_u32 v0, v15, s10
	v_and_b32_e32 v6, 0xff, v8
	s_delay_alu instid0(VALU_DEP_1) | instskip(NEXT) | instid1(VALU_DEP_3)
	v_cmp_gt_i16_e32 vcc_lo, 11, v6
	v_ashrrev_i32_e32 v1, 31, v0
	v_add_co_u32 v0, s0, s2, v0
	s_delay_alu instid0(VALU_DEP_1)
	v_add_co_ci_u32_e64 v1, s0, s3, v1, s0
	s_cbranch_vccnz .LBB22_412
; %bb.405:
	v_cmp_lt_i16_e32 vcc_lo, 25, v6
	s_cbranch_vccz .LBB22_414
; %bb.406:
	v_cmp_lt_i16_e32 vcc_lo, 28, v6
	s_cbranch_vccz .LBB22_416
	;; [unrolled: 3-line block ×4, first 2 shown]
; %bb.409:
	v_cmp_eq_u16_e32 vcc_lo, 46, v6
	s_mov_b32 s1, 0
	s_cbranch_vccz .LBB22_540
; %bb.410:
	global_load_b32 v4, v[0:1], off
	s_mov_b32 s0, -1
	s_mov_b32 s20, 0
	s_waitcnt vmcnt(0)
	v_lshlrev_b32_e32 v4, 16, v4
	s_delay_alu instid0(VALU_DEP_1)
	v_cvt_f64_f32_e32 v[4:5], v4
	s_branch .LBB22_542
.LBB22_411:
	s_mov_b32 s1, -1
	s_mov_b32 s0, 0
	s_mov_b32 s18, s16
                                        ; implicit-def: $vgpr2_vgpr3
	s_branch .LBB22_455
.LBB22_412:
	s_mov_b32 s1, -1
	s_mov_b32 s0, 0
	s_mov_b32 s20, s15
                                        ; implicit-def: $vgpr4_vgpr5
	s_branch .LBB22_607
.LBB22_413:
	s_mov_b32 s1, -1
	s_mov_b32 s0, 0
	s_mov_b32 s18, s16
                                        ; implicit-def: $vgpr2_vgpr3
	s_branch .LBB22_434
.LBB22_414:
	s_mov_b32 s1, -1
	s_mov_b32 s0, 0
	s_mov_b32 s20, s15
                                        ; implicit-def: $vgpr4_vgpr5
	s_branch .LBB22_573
.LBB22_415:
	s_mov_b32 s1, -1
	s_mov_b32 s0, 0
	s_mov_b32 s18, s16
                                        ; implicit-def: $vgpr2_vgpr3
	s_branch .LBB22_429
.LBB22_416:
	s_mov_b32 s1, -1
	s_mov_b32 s0, 0
	s_mov_b32 s20, s15
                                        ; implicit-def: $vgpr4_vgpr5
	s_branch .LBB22_552
.LBB22_417:
	s_mov_b32 s1, -1
	s_mov_b32 s0, 0
	s_mov_b32 s18, s16
	s_branch .LBB22_422
.LBB22_418:
	s_mov_b32 s1, -1
	s_mov_b32 s0, 0
	s_mov_b32 s20, s15
                                        ; implicit-def: $vgpr4_vgpr5
	s_branch .LBB22_547
.LBB22_419:
	s_or_saveexec_b32 s19, s19
                                        ; implicit-def: $sgpr20
	s_delay_alu instid0(SALU_CYCLE_1)
	s_xor_b32 exec_lo, exec_lo, s19
	s_cbranch_execz .LBB22_191
.LBB22_420:
	v_add_f32_e64 v3, 0x46000000, |v2|
	s_and_not1_b32 s13, s13, exec_lo
	s_mov_b32 s20, 0
	s_delay_alu instid0(VALU_DEP_1) | instskip(NEXT) | instid1(VALU_DEP_1)
	v_and_b32_e32 v3, 0xff, v3
	v_cmp_ne_u32_e32 vcc_lo, 0, v3
	s_and_b32 s21, vcc_lo, exec_lo
	s_delay_alu instid0(SALU_CYCLE_1)
	s_or_b32 s13, s13, s21
	s_or_b32 exec_lo, exec_lo, s19
	v_mov_b32_e32 v7, s20
	s_and_saveexec_b32 s19, s13
	s_cbranch_execnz .LBB22_192
	s_branch .LBB22_193
.LBB22_421:
	s_mov_b32 s18, -1
	s_mov_b32 s0, 0
.LBB22_422:
                                        ; implicit-def: $vgpr2_vgpr3
.LBB22_423:
	s_and_b32 vcc_lo, exec_lo, s1
	s_cbranch_vccz .LBB22_428
; %bb.424:
	v_cmp_eq_u16_e32 vcc_lo, 44, v4
	s_cbranch_vccz .LBB22_427
; %bb.425:
	global_load_u8 v5, v[0:1], off
	s_mov_b32 s18, 0
	s_mov_b32 s0, -1
	s_waitcnt vmcnt(0)
	v_cmp_ne_u32_e32 vcc_lo, 0xff, v5
	v_lshlrev_b32_e32 v2, 23, v5
	s_delay_alu instid0(VALU_DEP_1) | instskip(NEXT) | instid1(VALU_DEP_1)
	v_cvt_f64_f32_e32 v[2:3], v2
	v_cndmask_b32_e32 v3, 0x7ff80000, v3, vcc_lo
	s_delay_alu instid0(VALU_DEP_2) | instskip(SKIP_1) | instid1(VALU_DEP_3)
	v_cndmask_b32_e32 v2, 0x20000000, v2, vcc_lo
	v_cmp_ne_u32_e32 vcc_lo, 0, v5
	v_cndmask_b32_e32 v3, 0x38000000, v3, vcc_lo
	s_delay_alu instid0(VALU_DEP_3)
	v_cndmask_b32_e32 v2, 0, v2, vcc_lo
	s_branch .LBB22_428
.LBB22_426:
	s_mov_b32 s1, -1
	s_mov_b32 s0, 0
	s_mov_b32 s20, s15
	s_branch .LBB22_541
.LBB22_427:
	s_mov_b32 s18, -1
                                        ; implicit-def: $vgpr2_vgpr3
.LBB22_428:
	s_mov_b32 s1, 0
.LBB22_429:
	s_delay_alu instid0(SALU_CYCLE_1)
	s_and_b32 vcc_lo, exec_lo, s1
	s_cbranch_vccz .LBB22_433
; %bb.430:
	v_cmp_eq_u16_e32 vcc_lo, 29, v4
	s_cbranch_vccz .LBB22_432
; %bb.431:
	global_load_b64 v[2:3], v[0:1], off
	s_mov_b32 s0, -1
	s_mov_b32 s18, 0
	s_mov_b32 s1, 0
	s_waitcnt vmcnt(0)
	v_cvt_f64_u32_e32 v[5:6], v3
	v_cvt_f64_u32_e32 v[2:3], v2
	s_delay_alu instid0(VALU_DEP_2) | instskip(NEXT) | instid1(VALU_DEP_1)
	v_ldexp_f64 v[5:6], v[5:6], 32
	v_add_f64 v[2:3], v[5:6], v[2:3]
	s_branch .LBB22_434
.LBB22_432:
	s_mov_b32 s18, -1
                                        ; implicit-def: $vgpr2_vgpr3
.LBB22_433:
	s_mov_b32 s1, 0
.LBB22_434:
	s_delay_alu instid0(SALU_CYCLE_1)
	s_and_b32 vcc_lo, exec_lo, s1
	s_cbranch_vccz .LBB22_454
; %bb.435:
	v_cmp_gt_i16_e32 vcc_lo, 27, v4
	s_cbranch_vccnz .LBB22_438
; %bb.436:
	v_cmp_lt_i16_e32 vcc_lo, 27, v4
	s_cbranch_vccz .LBB22_439
; %bb.437:
	global_load_b32 v2, v[0:1], off
	s_mov_b32 s0, 0
	s_waitcnt vmcnt(0)
	v_cvt_f64_u32_e32 v[2:3], v2
	s_branch .LBB22_440
.LBB22_438:
	s_mov_b32 s0, -1
                                        ; implicit-def: $vgpr2_vgpr3
	s_branch .LBB22_443
.LBB22_439:
	s_mov_b32 s0, -1
                                        ; implicit-def: $vgpr2_vgpr3
.LBB22_440:
	s_delay_alu instid0(SALU_CYCLE_1)
	s_and_not1_b32 vcc_lo, exec_lo, s0
	s_cbranch_vccnz .LBB22_442
; %bb.441:
	global_load_u16 v2, v[0:1], off
	s_waitcnt vmcnt(0)
	v_cvt_f64_u32_e32 v[2:3], v2
.LBB22_442:
	s_mov_b32 s0, 0
.LBB22_443:
	s_delay_alu instid0(SALU_CYCLE_1)
	s_and_not1_b32 vcc_lo, exec_lo, s0
	s_cbranch_vccnz .LBB22_453
; %bb.444:
	global_load_u8 v5, v[0:1], off
	s_mov_b32 s19, 0
	s_mov_b32 s20, exec_lo
                                        ; implicit-def: $sgpr0_sgpr1
	s_waitcnt vmcnt(0)
	v_cmpx_lt_i16_e32 0x7f, v5
	s_xor_b32 s20, exec_lo, s20
	s_cbranch_execz .LBB22_448
; %bb.445:
	s_mov_b32 s22, -1
	s_mov_b32 s19, exec_lo
                                        ; implicit-def: $sgpr0_sgpr1
	v_cmpx_eq_u16_e32 0x80, v5
; %bb.446:
	s_mov_b32 s1, 0x7ff80000
	s_brev_b32 s0, 4
	s_xor_b32 s22, exec_lo, -1
; %bb.447:
	s_or_b32 exec_lo, exec_lo, s19
	s_delay_alu instid0(SALU_CYCLE_1)
	s_and_b32 s19, s22, exec_lo
.LBB22_448:
	s_or_saveexec_b32 s20, s20
	v_dual_mov_b32 v3, s1 :: v_dual_mov_b32 v2, s0
	s_xor_b32 exec_lo, exec_lo, s20
; %bb.449:
	v_cmp_ne_u16_e32 vcc_lo, 0, v5
	v_mov_b32_e32 v2, 0
	v_mov_b32_e32 v3, 0
	s_and_not1_b32 s0, s19, exec_lo
	s_and_b32 s1, vcc_lo, exec_lo
	s_delay_alu instid0(SALU_CYCLE_1)
	s_or_b32 s19, s0, s1
; %bb.450:
	s_or_b32 exec_lo, exec_lo, s20
	s_and_saveexec_b32 s0, s19
	s_cbranch_execz .LBB22_452
; %bb.451:
	v_and_b32_e32 v2, 0xffff, v5
	v_lshlrev_b32_e32 v5, 24, v5
	s_delay_alu instid0(VALU_DEP_2) | instskip(NEXT) | instid1(VALU_DEP_2)
	v_and_b32_e32 v3, 7, v2
	v_and_b32_e32 v5, 0x80000000, v5
	s_delay_alu instid0(VALU_DEP_2) | instskip(NEXT) | instid1(VALU_DEP_1)
	v_clz_i32_u32_e32 v6, v3
	v_min_u32_e32 v6, 32, v6
	s_delay_alu instid0(VALU_DEP_1) | instskip(SKIP_1) | instid1(VALU_DEP_2)
	v_subrev_nc_u32_e32 v7, 28, v6
	v_sub_nc_u32_e32 v6, 29, v6
	v_lshlrev_b32_e32 v7, v7, v2
	v_bfe_u32 v2, v2, 3, 4
	s_delay_alu instid0(VALU_DEP_1) | instskip(NEXT) | instid1(VALU_DEP_3)
	v_cmp_eq_u32_e32 vcc_lo, 0, v2
	v_dual_cndmask_b32 v2, v2, v6 :: v_dual_and_b32 v7, 7, v7
	s_delay_alu instid0(VALU_DEP_1) | instskip(NEXT) | instid1(VALU_DEP_2)
	v_cndmask_b32_e32 v3, v3, v7, vcc_lo
	v_lshl_add_u32 v2, v2, 23, 0x3b800000
	s_delay_alu instid0(VALU_DEP_2) | instskip(NEXT) | instid1(VALU_DEP_1)
	v_lshlrev_b32_e32 v3, 20, v3
	v_or3_b32 v2, v5, v2, v3
	s_delay_alu instid0(VALU_DEP_1)
	v_cvt_f64_f32_e32 v[2:3], v2
.LBB22_452:
	s_or_b32 exec_lo, exec_lo, s0
.LBB22_453:
	s_mov_b32 s0, -1
.LBB22_454:
	s_mov_b32 s1, 0
.LBB22_455:
	s_delay_alu instid0(SALU_CYCLE_1)
	s_and_b32 vcc_lo, exec_lo, s1
	s_cbranch_vccz .LBB22_488
; %bb.456:
	v_cmp_lt_i16_e32 vcc_lo, 22, v4
	s_cbranch_vccz .LBB22_468
; %bb.457:
	v_cmp_gt_i16_e32 vcc_lo, 24, v4
	s_cbranch_vccnz .LBB22_469
; %bb.458:
	v_cmp_lt_i16_e32 vcc_lo, 24, v4
	s_cbranch_vccz .LBB22_470
; %bb.459:
	global_load_u8 v5, v[0:1], off
	s_mov_b32 s19, 0
	s_mov_b32 s20, exec_lo
                                        ; implicit-def: $sgpr0_sgpr1
	s_waitcnt vmcnt(0)
	v_cmpx_lt_i16_e32 0x7f, v5
	s_xor_b32 s20, exec_lo, s20
	s_cbranch_execz .LBB22_463
; %bb.460:
	s_mov_b32 s22, -1
	s_mov_b32 s19, exec_lo
                                        ; implicit-def: $sgpr0_sgpr1
	v_cmpx_eq_u16_e32 0x80, v5
; %bb.461:
	s_mov_b32 s1, 0x7ff80000
	s_brev_b32 s0, 4
	s_xor_b32 s22, exec_lo, -1
; %bb.462:
	s_or_b32 exec_lo, exec_lo, s19
	s_delay_alu instid0(SALU_CYCLE_1)
	s_and_b32 s19, s22, exec_lo
.LBB22_463:
	s_or_saveexec_b32 s20, s20
	v_dual_mov_b32 v3, s1 :: v_dual_mov_b32 v2, s0
	s_xor_b32 exec_lo, exec_lo, s20
; %bb.464:
	v_cmp_ne_u16_e32 vcc_lo, 0, v5
	v_mov_b32_e32 v2, 0
	v_mov_b32_e32 v3, 0
	s_and_not1_b32 s0, s19, exec_lo
	s_and_b32 s1, vcc_lo, exec_lo
	s_delay_alu instid0(SALU_CYCLE_1)
	s_or_b32 s19, s0, s1
; %bb.465:
	s_or_b32 exec_lo, exec_lo, s20
	s_and_saveexec_b32 s0, s19
	s_cbranch_execz .LBB22_467
; %bb.466:
	v_and_b32_e32 v2, 0xffff, v5
	v_lshlrev_b32_e32 v5, 24, v5
	s_delay_alu instid0(VALU_DEP_2) | instskip(NEXT) | instid1(VALU_DEP_2)
	v_and_b32_e32 v3, 3, v2
	v_and_b32_e32 v5, 0x80000000, v5
	s_delay_alu instid0(VALU_DEP_2) | instskip(NEXT) | instid1(VALU_DEP_1)
	v_clz_i32_u32_e32 v6, v3
	v_min_u32_e32 v6, 32, v6
	s_delay_alu instid0(VALU_DEP_1) | instskip(SKIP_1) | instid1(VALU_DEP_2)
	v_subrev_nc_u32_e32 v7, 29, v6
	v_sub_nc_u32_e32 v6, 30, v6
	v_lshlrev_b32_e32 v7, v7, v2
	v_bfe_u32 v2, v2, 2, 5
	s_delay_alu instid0(VALU_DEP_1) | instskip(NEXT) | instid1(VALU_DEP_3)
	v_cmp_eq_u32_e32 vcc_lo, 0, v2
	v_dual_cndmask_b32 v2, v2, v6 :: v_dual_and_b32 v7, 3, v7
	s_delay_alu instid0(VALU_DEP_1) | instskip(NEXT) | instid1(VALU_DEP_2)
	v_cndmask_b32_e32 v3, v3, v7, vcc_lo
	v_lshl_add_u32 v2, v2, 23, 0x37800000
	s_delay_alu instid0(VALU_DEP_2) | instskip(NEXT) | instid1(VALU_DEP_1)
	v_lshlrev_b32_e32 v3, 21, v3
	v_or3_b32 v2, v5, v2, v3
	s_delay_alu instid0(VALU_DEP_1)
	v_cvt_f64_f32_e32 v[2:3], v2
.LBB22_467:
	s_or_b32 exec_lo, exec_lo, s0
	s_mov_b32 s0, 0
	s_branch .LBB22_471
.LBB22_468:
	s_mov_b32 s1, -1
                                        ; implicit-def: $vgpr2_vgpr3
	s_branch .LBB22_477
.LBB22_469:
	s_mov_b32 s0, -1
                                        ; implicit-def: $vgpr2_vgpr3
	s_branch .LBB22_474
.LBB22_470:
	s_mov_b32 s0, -1
                                        ; implicit-def: $vgpr2_vgpr3
.LBB22_471:
	s_delay_alu instid0(SALU_CYCLE_1)
	s_and_b32 vcc_lo, exec_lo, s0
	s_cbranch_vccz .LBB22_473
; %bb.472:
	global_load_u8 v2, v[0:1], off
	s_waitcnt vmcnt(0)
	v_lshlrev_b32_e32 v2, 24, v2
	s_delay_alu instid0(VALU_DEP_1) | instskip(NEXT) | instid1(VALU_DEP_1)
	v_and_b32_e32 v3, 0x7f000000, v2
	v_clz_i32_u32_e32 v5, v3
	v_add_nc_u32_e32 v7, 0x1000000, v3
	v_cmp_ne_u32_e32 vcc_lo, 0, v3
	s_delay_alu instid0(VALU_DEP_3) | instskip(NEXT) | instid1(VALU_DEP_1)
	v_min_u32_e32 v5, 32, v5
	v_sub_nc_u32_e64 v5, v5, 4 clamp
	s_delay_alu instid0(VALU_DEP_1) | instskip(SKIP_1) | instid1(VALU_DEP_2)
	v_lshlrev_b32_e32 v6, v5, v3
	v_lshlrev_b32_e32 v5, 23, v5
	v_lshrrev_b32_e32 v6, 4, v6
	s_delay_alu instid0(VALU_DEP_1) | instskip(SKIP_1) | instid1(VALU_DEP_2)
	v_sub_nc_u32_e32 v5, v6, v5
	v_ashrrev_i32_e32 v6, 8, v7
	v_add_nc_u32_e32 v5, 0x3c000000, v5
	s_delay_alu instid0(VALU_DEP_1) | instskip(NEXT) | instid1(VALU_DEP_1)
	v_and_or_b32 v5, 0x7f800000, v6, v5
	v_cndmask_b32_e32 v3, 0, v5, vcc_lo
	s_delay_alu instid0(VALU_DEP_1) | instskip(NEXT) | instid1(VALU_DEP_1)
	v_and_or_b32 v2, 0x80000000, v2, v3
	v_cvt_f64_f32_e32 v[2:3], v2
.LBB22_473:
	s_mov_b32 s0, 0
.LBB22_474:
	s_delay_alu instid0(SALU_CYCLE_1)
	s_and_not1_b32 vcc_lo, exec_lo, s0
	s_cbranch_vccnz .LBB22_476
; %bb.475:
	global_load_u8 v2, v[0:1], off
	s_waitcnt vmcnt(0)
	v_lshlrev_b32_e32 v3, 25, v2
	v_lshlrev_b16 v2, 8, v2
	s_delay_alu instid0(VALU_DEP_2) | instskip(NEXT) | instid1(VALU_DEP_2)
	v_lshrrev_b32_e32 v5, 4, v3
	v_and_or_b32 v6, 0x7f00, v2, 0.5
	v_cmp_gt_u32_e32 vcc_lo, 0x8000000, v3
	v_bfe_i32 v2, v2, 0, 16
	s_delay_alu instid0(VALU_DEP_4) | instskip(NEXT) | instid1(VALU_DEP_1)
	v_or_b32_e32 v5, 0x70000000, v5
	v_dual_add_f32 v6, -0.5, v6 :: v_dual_mul_f32 v5, 0x7800000, v5
	s_delay_alu instid0(VALU_DEP_1) | instskip(NEXT) | instid1(VALU_DEP_1)
	v_cndmask_b32_e32 v3, v5, v6, vcc_lo
	v_and_or_b32 v2, 0x80000000, v2, v3
	s_delay_alu instid0(VALU_DEP_1)
	v_cvt_f64_f32_e32 v[2:3], v2
.LBB22_476:
	s_mov_b32 s1, 0
	s_mov_b32 s0, -1
.LBB22_477:
	s_and_not1_b32 vcc_lo, exec_lo, s1
	s_cbranch_vccnz .LBB22_488
; %bb.478:
	v_cmp_lt_i16_e32 vcc_lo, 14, v4
	s_cbranch_vccz .LBB22_481
; %bb.479:
	v_cmp_eq_u16_e32 vcc_lo, 15, v4
	s_cbranch_vccz .LBB22_482
; %bb.480:
	global_load_u16 v2, v[0:1], off
	s_mov_b32 s0, -1
	s_mov_b32 s18, 0
	s_waitcnt vmcnt(0)
	v_lshlrev_b32_e32 v2, 16, v2
	s_delay_alu instid0(VALU_DEP_1)
	v_cvt_f64_f32_e32 v[2:3], v2
	s_branch .LBB22_483
.LBB22_481:
	s_mov_b32 s1, -1
                                        ; implicit-def: $vgpr2_vgpr3
	s_branch .LBB22_484
.LBB22_482:
	s_mov_b32 s18, -1
                                        ; implicit-def: $vgpr2_vgpr3
.LBB22_483:
	s_mov_b32 s1, 0
.LBB22_484:
	s_delay_alu instid0(SALU_CYCLE_1)
	s_and_b32 vcc_lo, exec_lo, s1
	s_cbranch_vccz .LBB22_488
; %bb.485:
	v_cmp_eq_u16_e32 vcc_lo, 11, v4
	s_cbranch_vccz .LBB22_487
; %bb.486:
	global_load_u8 v2, v[0:1], off
	s_mov_b32 s18, 0
	s_mov_b32 s0, -1
	s_waitcnt vmcnt(0)
	v_cmp_ne_u16_e32 vcc_lo, 0, v2
	v_mov_b32_e32 v2, 0
	v_cndmask_b32_e64 v3, 0, 0x3ff00000, vcc_lo
	s_branch .LBB22_488
.LBB22_487:
	s_mov_b32 s18, -1
                                        ; implicit-def: $vgpr2_vgpr3
.LBB22_488:
	s_branch .LBB22_403
.LBB22_489:
	v_cmp_gt_i16_e32 vcc_lo, 5, v4
	s_cbranch_vccnz .LBB22_494
; %bb.490:
	v_cmp_gt_i16_e32 vcc_lo, 8, v4
	s_cbranch_vccnz .LBB22_495
; %bb.491:
	;; [unrolled: 3-line block ×3, first 2 shown]
	v_cmp_lt_i16_e32 vcc_lo, 9, v4
	s_cbranch_vccz .LBB22_497
; %bb.493:
	global_load_b64 v[2:3], v[0:1], off
	s_mov_b32 s0, 0
	s_branch .LBB22_498
.LBB22_494:
	s_mov_b32 s0, -1
                                        ; implicit-def: $vgpr2_vgpr3
	s_branch .LBB22_516
.LBB22_495:
	s_mov_b32 s0, -1
                                        ; implicit-def: $vgpr2_vgpr3
	s_branch .LBB22_504
.LBB22_496:
	s_mov_b32 s0, -1
                                        ; implicit-def: $vgpr2_vgpr3
	s_branch .LBB22_501
.LBB22_497:
	s_mov_b32 s0, -1
                                        ; implicit-def: $vgpr2_vgpr3
.LBB22_498:
	s_delay_alu instid0(SALU_CYCLE_1)
	s_and_not1_b32 vcc_lo, exec_lo, s0
	s_cbranch_vccnz .LBB22_500
; %bb.499:
	global_load_b32 v2, v[0:1], off
	s_waitcnt vmcnt(0)
	v_cvt_f64_f32_e32 v[2:3], v2
.LBB22_500:
	s_mov_b32 s0, 0
.LBB22_501:
	s_delay_alu instid0(SALU_CYCLE_1)
	s_and_not1_b32 vcc_lo, exec_lo, s0
	s_cbranch_vccnz .LBB22_503
; %bb.502:
	global_load_b32 v2, v[0:1], off
	s_waitcnt vmcnt(0)
	v_cvt_f32_f16_e32 v2, v2
	s_delay_alu instid0(VALU_DEP_1)
	v_cvt_f64_f32_e32 v[2:3], v2
.LBB22_503:
	s_mov_b32 s0, 0
.LBB22_504:
	s_delay_alu instid0(SALU_CYCLE_1)
	s_and_not1_b32 vcc_lo, exec_lo, s0
	s_cbranch_vccnz .LBB22_515
; %bb.505:
	v_cmp_gt_i16_e32 vcc_lo, 6, v4
	s_cbranch_vccnz .LBB22_508
; %bb.506:
	v_cmp_lt_i16_e32 vcc_lo, 6, v4
	s_cbranch_vccz .LBB22_509
; %bb.507:
	global_load_b64 v[2:3], v[0:1], off
	s_mov_b32 s0, 0
	s_branch .LBB22_510
.LBB22_508:
	s_mov_b32 s0, -1
                                        ; implicit-def: $vgpr2_vgpr3
	s_branch .LBB22_513
.LBB22_509:
	s_mov_b32 s0, -1
                                        ; implicit-def: $vgpr2_vgpr3
.LBB22_510:
	s_delay_alu instid0(SALU_CYCLE_1)
	s_and_not1_b32 vcc_lo, exec_lo, s0
	s_cbranch_vccnz .LBB22_512
; %bb.511:
	global_load_b32 v2, v[0:1], off
	s_waitcnt vmcnt(0)
	v_cvt_f64_f32_e32 v[2:3], v2
.LBB22_512:
	s_mov_b32 s0, 0
.LBB22_513:
	s_delay_alu instid0(SALU_CYCLE_1)
	s_and_not1_b32 vcc_lo, exec_lo, s0
	s_cbranch_vccnz .LBB22_515
; %bb.514:
	global_load_u16 v2, v[0:1], off
	s_waitcnt vmcnt(0)
	v_cvt_f32_f16_e32 v2, v2
	s_delay_alu instid0(VALU_DEP_1)
	v_cvt_f64_f32_e32 v[2:3], v2
.LBB22_515:
	s_mov_b32 s0, 0
.LBB22_516:
	s_delay_alu instid0(SALU_CYCLE_1)
	s_and_not1_b32 vcc_lo, exec_lo, s0
	s_cbranch_vccnz .LBB22_536
; %bb.517:
	v_cmp_gt_i16_e32 vcc_lo, 2, v4
	s_cbranch_vccnz .LBB22_521
; %bb.518:
	v_cmp_gt_i16_e32 vcc_lo, 3, v4
	s_cbranch_vccnz .LBB22_522
; %bb.519:
	v_cmp_lt_i16_e32 vcc_lo, 3, v4
	s_cbranch_vccz .LBB22_523
; %bb.520:
	global_load_b64 v[2:3], v[0:1], off
	s_mov_b32 s0, 0
	s_waitcnt vmcnt(0)
	v_cvt_f64_i32_e32 v[5:6], v3
	v_cvt_f64_u32_e32 v[2:3], v2
	s_delay_alu instid0(VALU_DEP_2) | instskip(NEXT) | instid1(VALU_DEP_1)
	v_ldexp_f64 v[5:6], v[5:6], 32
	v_add_f64 v[2:3], v[5:6], v[2:3]
	s_branch .LBB22_524
.LBB22_521:
	s_mov_b32 s0, -1
                                        ; implicit-def: $vgpr2_vgpr3
	s_branch .LBB22_530
.LBB22_522:
	s_mov_b32 s0, -1
                                        ; implicit-def: $vgpr2_vgpr3
	s_branch .LBB22_527
.LBB22_523:
	s_mov_b32 s0, -1
                                        ; implicit-def: $vgpr2_vgpr3
.LBB22_524:
	s_delay_alu instid0(SALU_CYCLE_1)
	s_and_not1_b32 vcc_lo, exec_lo, s0
	s_cbranch_vccnz .LBB22_526
; %bb.525:
	global_load_b32 v2, v[0:1], off
	s_waitcnt vmcnt(0)
	v_cvt_f64_i32_e32 v[2:3], v2
.LBB22_526:
	s_mov_b32 s0, 0
.LBB22_527:
	s_delay_alu instid0(SALU_CYCLE_1)
	s_and_not1_b32 vcc_lo, exec_lo, s0
	s_cbranch_vccnz .LBB22_529
; %bb.528:
	global_load_i16 v2, v[0:1], off
	s_waitcnt vmcnt(0)
	v_cvt_f64_i32_e32 v[2:3], v2
.LBB22_529:
	s_mov_b32 s0, 0
.LBB22_530:
	s_delay_alu instid0(SALU_CYCLE_1)
	s_and_not1_b32 vcc_lo, exec_lo, s0
	s_cbranch_vccnz .LBB22_536
; %bb.531:
	v_cmp_lt_i16_e32 vcc_lo, 0, v4
	s_mov_b32 s0, 0
	s_cbranch_vccz .LBB22_533
; %bb.532:
	global_load_i8 v2, v[0:1], off
	s_waitcnt vmcnt(0)
	v_cvt_f64_i32_e32 v[2:3], v2
	s_branch .LBB22_534
.LBB22_533:
	s_mov_b32 s0, -1
                                        ; implicit-def: $vgpr2_vgpr3
.LBB22_534:
	s_delay_alu instid0(SALU_CYCLE_1)
	s_and_not1_b32 vcc_lo, exec_lo, s0
	s_cbranch_vccnz .LBB22_536
; %bb.535:
	global_load_u8 v0, v[0:1], off
	s_waitcnt vmcnt(0)
	v_cvt_f64_u32_e32 v[2:3], v0
.LBB22_536:
	s_branch .LBB22_404
.LBB22_537:
	s_mov_b32 s1, 0
	s_mov_b32 s0, s13
	;; [unrolled: 1-line block ×3, first 2 shown]
	s_branch .LBB22_793
.LBB22_538:
	s_or_saveexec_b32 s19, s19
                                        ; implicit-def: $sgpr20
	s_delay_alu instid0(SALU_CYCLE_1)
	s_xor_b32 exec_lo, exec_lo, s19
	s_cbranch_execz .LBB22_204
.LBB22_539:
	v_add_f32_e64 v3, 0x42800000, |v2|
	s_and_not1_b32 s13, s13, exec_lo
	s_mov_b32 s20, 0
	s_delay_alu instid0(VALU_DEP_1) | instskip(NEXT) | instid1(VALU_DEP_1)
	v_and_b32_e32 v3, 0xff, v3
	v_cmp_ne_u32_e32 vcc_lo, 0, v3
	s_and_b32 s21, vcc_lo, exec_lo
	s_delay_alu instid0(SALU_CYCLE_1)
	s_or_b32 s13, s13, s21
	s_or_b32 exec_lo, exec_lo, s19
	v_mov_b32_e32 v7, s20
	s_and_saveexec_b32 s19, s13
	s_cbranch_execnz .LBB22_205
	s_branch .LBB22_206
.LBB22_540:
	s_mov_b32 s20, -1
	s_mov_b32 s0, 0
.LBB22_541:
                                        ; implicit-def: $vgpr4_vgpr5
.LBB22_542:
	s_and_b32 vcc_lo, exec_lo, s1
	s_cbranch_vccz .LBB22_546
; %bb.543:
	v_cmp_eq_u16_e32 vcc_lo, 44, v6
	s_cbranch_vccz .LBB22_545
; %bb.544:
	global_load_u8 v7, v[0:1], off
	s_mov_b32 s20, 0
	s_mov_b32 s0, -1
	s_waitcnt vmcnt(0)
	v_cmp_ne_u32_e32 vcc_lo, 0xff, v7
	v_lshlrev_b32_e32 v4, 23, v7
	s_delay_alu instid0(VALU_DEP_1) | instskip(NEXT) | instid1(VALU_DEP_1)
	v_cvt_f64_f32_e32 v[4:5], v4
	v_cndmask_b32_e32 v5, 0x7ff80000, v5, vcc_lo
	s_delay_alu instid0(VALU_DEP_2) | instskip(SKIP_1) | instid1(VALU_DEP_3)
	v_cndmask_b32_e32 v4, 0x20000000, v4, vcc_lo
	v_cmp_ne_u32_e32 vcc_lo, 0, v7
	v_cndmask_b32_e32 v5, 0x38000000, v5, vcc_lo
	s_delay_alu instid0(VALU_DEP_3)
	v_cndmask_b32_e32 v4, 0, v4, vcc_lo
	s_branch .LBB22_546
.LBB22_545:
	s_mov_b32 s20, -1
                                        ; implicit-def: $vgpr4_vgpr5
.LBB22_546:
	s_mov_b32 s1, 0
.LBB22_547:
	s_delay_alu instid0(SALU_CYCLE_1)
	s_and_b32 vcc_lo, exec_lo, s1
	s_cbranch_vccz .LBB22_551
; %bb.548:
	v_cmp_eq_u16_e32 vcc_lo, 29, v6
	s_cbranch_vccz .LBB22_550
; %bb.549:
	global_load_b64 v[4:5], v[0:1], off
	s_mov_b32 s0, -1
	s_mov_b32 s20, 0
	s_mov_b32 s1, 0
	s_waitcnt vmcnt(0)
	v_cvt_f64_u32_e32 v[10:11], v5
	v_cvt_f64_u32_e32 v[4:5], v4
	s_delay_alu instid0(VALU_DEP_2) | instskip(NEXT) | instid1(VALU_DEP_1)
	v_ldexp_f64 v[10:11], v[10:11], 32
	v_add_f64 v[4:5], v[10:11], v[4:5]
	s_branch .LBB22_552
.LBB22_550:
	s_mov_b32 s20, -1
                                        ; implicit-def: $vgpr4_vgpr5
.LBB22_551:
	s_mov_b32 s1, 0
.LBB22_552:
	s_delay_alu instid0(SALU_CYCLE_1)
	s_and_b32 vcc_lo, exec_lo, s1
	s_cbranch_vccz .LBB22_572
; %bb.553:
	v_cmp_gt_i16_e32 vcc_lo, 27, v6
	s_cbranch_vccnz .LBB22_556
; %bb.554:
	v_cmp_lt_i16_e32 vcc_lo, 27, v6
	s_cbranch_vccz .LBB22_557
; %bb.555:
	global_load_b32 v4, v[0:1], off
	s_mov_b32 s0, 0
	s_waitcnt vmcnt(0)
	v_cvt_f64_u32_e32 v[4:5], v4
	s_branch .LBB22_558
.LBB22_556:
	s_mov_b32 s0, -1
                                        ; implicit-def: $vgpr4_vgpr5
	s_branch .LBB22_561
.LBB22_557:
	s_mov_b32 s0, -1
                                        ; implicit-def: $vgpr4_vgpr5
.LBB22_558:
	s_delay_alu instid0(SALU_CYCLE_1)
	s_and_not1_b32 vcc_lo, exec_lo, s0
	s_cbranch_vccnz .LBB22_560
; %bb.559:
	global_load_u16 v4, v[0:1], off
	s_waitcnt vmcnt(0)
	v_cvt_f64_u32_e32 v[4:5], v4
.LBB22_560:
	s_mov_b32 s0, 0
.LBB22_561:
	s_delay_alu instid0(SALU_CYCLE_1)
	s_and_not1_b32 vcc_lo, exec_lo, s0
	s_cbranch_vccnz .LBB22_571
; %bb.562:
	global_load_u8 v7, v[0:1], off
	s_mov_b32 s19, 0
	s_mov_b32 s22, exec_lo
                                        ; implicit-def: $sgpr0_sgpr1
	s_waitcnt vmcnt(0)
	v_cmpx_lt_i16_e32 0x7f, v7
	s_xor_b32 s22, exec_lo, s22
	s_cbranch_execz .LBB22_566
; %bb.563:
	s_mov_b32 s19, exec_lo
                                        ; implicit-def: $sgpr0_sgpr1
	v_cmpx_eq_u16_e32 0x80, v7
; %bb.564:
	s_mov_b32 s1, 0x7ff80000
	s_brev_b32 s0, 4
	s_xor_b32 s23, exec_lo, -1
; %bb.565:
	s_or_b32 exec_lo, exec_lo, s19
	s_delay_alu instid0(SALU_CYCLE_1)
	s_and_b32 s19, s23, exec_lo
.LBB22_566:
	s_or_saveexec_b32 s22, s22
	v_dual_mov_b32 v5, s1 :: v_dual_mov_b32 v4, s0
	s_xor_b32 exec_lo, exec_lo, s22
; %bb.567:
	v_cmp_ne_u16_e32 vcc_lo, 0, v7
	v_mov_b32_e32 v4, 0
	v_mov_b32_e32 v5, 0
	s_and_not1_b32 s0, s19, exec_lo
	s_and_b32 s1, vcc_lo, exec_lo
	s_delay_alu instid0(SALU_CYCLE_1)
	s_or_b32 s19, s0, s1
; %bb.568:
	s_or_b32 exec_lo, exec_lo, s22
	s_and_saveexec_b32 s0, s19
	s_cbranch_execz .LBB22_570
; %bb.569:
	v_and_b32_e32 v4, 0xffff, v7
	v_lshlrev_b32_e32 v7, 24, v7
	s_delay_alu instid0(VALU_DEP_2) | instskip(NEXT) | instid1(VALU_DEP_2)
	v_and_b32_e32 v5, 7, v4
	v_and_b32_e32 v7, 0x80000000, v7
	s_delay_alu instid0(VALU_DEP_2) | instskip(NEXT) | instid1(VALU_DEP_1)
	v_clz_i32_u32_e32 v10, v5
	v_min_u32_e32 v10, 32, v10
	s_delay_alu instid0(VALU_DEP_1) | instskip(SKIP_1) | instid1(VALU_DEP_2)
	v_subrev_nc_u32_e32 v11, 28, v10
	v_sub_nc_u32_e32 v10, 29, v10
	v_lshlrev_b32_e32 v11, v11, v4
	v_bfe_u32 v4, v4, 3, 4
	s_delay_alu instid0(VALU_DEP_2) | instskip(NEXT) | instid1(VALU_DEP_2)
	v_and_b32_e32 v11, 7, v11
	v_cmp_eq_u32_e32 vcc_lo, 0, v4
	s_delay_alu instid0(VALU_DEP_2) | instskip(NEXT) | instid1(VALU_DEP_1)
	v_dual_cndmask_b32 v4, v4, v10 :: v_dual_cndmask_b32 v5, v5, v11
	v_lshl_add_u32 v4, v4, 23, 0x3b800000
	s_delay_alu instid0(VALU_DEP_2) | instskip(NEXT) | instid1(VALU_DEP_1)
	v_lshlrev_b32_e32 v5, 20, v5
	v_or3_b32 v4, v7, v4, v5
	s_delay_alu instid0(VALU_DEP_1)
	v_cvt_f64_f32_e32 v[4:5], v4
.LBB22_570:
	s_or_b32 exec_lo, exec_lo, s0
.LBB22_571:
	s_mov_b32 s0, -1
.LBB22_572:
	s_mov_b32 s1, 0
.LBB22_573:
	s_delay_alu instid0(SALU_CYCLE_1)
	s_and_b32 vcc_lo, exec_lo, s1
	s_cbranch_vccz .LBB22_606
; %bb.574:
	v_cmp_lt_i16_e32 vcc_lo, 22, v6
	s_cbranch_vccz .LBB22_586
; %bb.575:
	v_cmp_gt_i16_e32 vcc_lo, 24, v6
	s_cbranch_vccnz .LBB22_587
; %bb.576:
	v_cmp_lt_i16_e32 vcc_lo, 24, v6
	s_cbranch_vccz .LBB22_588
; %bb.577:
	global_load_u8 v7, v[0:1], off
	s_mov_b32 s19, 0
	s_mov_b32 s22, exec_lo
                                        ; implicit-def: $sgpr0_sgpr1
	s_waitcnt vmcnt(0)
	v_cmpx_lt_i16_e32 0x7f, v7
	s_xor_b32 s22, exec_lo, s22
	s_cbranch_execz .LBB22_581
; %bb.578:
	s_mov_b32 s23, -1
	s_mov_b32 s19, exec_lo
                                        ; implicit-def: $sgpr0_sgpr1
	v_cmpx_eq_u16_e32 0x80, v7
; %bb.579:
	s_mov_b32 s1, 0x7ff80000
	s_brev_b32 s0, 4
	s_xor_b32 s23, exec_lo, -1
; %bb.580:
	s_or_b32 exec_lo, exec_lo, s19
	s_delay_alu instid0(SALU_CYCLE_1)
	s_and_b32 s19, s23, exec_lo
.LBB22_581:
	s_or_saveexec_b32 s22, s22
	v_dual_mov_b32 v5, s1 :: v_dual_mov_b32 v4, s0
	s_xor_b32 exec_lo, exec_lo, s22
; %bb.582:
	v_cmp_ne_u16_e32 vcc_lo, 0, v7
	v_mov_b32_e32 v4, 0
	v_mov_b32_e32 v5, 0
	s_and_not1_b32 s0, s19, exec_lo
	s_and_b32 s1, vcc_lo, exec_lo
	s_delay_alu instid0(SALU_CYCLE_1)
	s_or_b32 s19, s0, s1
; %bb.583:
	s_or_b32 exec_lo, exec_lo, s22
	s_and_saveexec_b32 s0, s19
	s_cbranch_execz .LBB22_585
; %bb.584:
	v_and_b32_e32 v4, 0xffff, v7
	v_lshlrev_b32_e32 v7, 24, v7
	s_delay_alu instid0(VALU_DEP_2) | instskip(NEXT) | instid1(VALU_DEP_2)
	v_and_b32_e32 v5, 3, v4
	v_and_b32_e32 v7, 0x80000000, v7
	s_delay_alu instid0(VALU_DEP_2) | instskip(NEXT) | instid1(VALU_DEP_1)
	v_clz_i32_u32_e32 v10, v5
	v_min_u32_e32 v10, 32, v10
	s_delay_alu instid0(VALU_DEP_1) | instskip(SKIP_1) | instid1(VALU_DEP_2)
	v_subrev_nc_u32_e32 v11, 29, v10
	v_sub_nc_u32_e32 v10, 30, v10
	v_lshlrev_b32_e32 v11, v11, v4
	v_bfe_u32 v4, v4, 2, 5
	s_delay_alu instid0(VALU_DEP_2) | instskip(NEXT) | instid1(VALU_DEP_2)
	v_and_b32_e32 v11, 3, v11
	v_cmp_eq_u32_e32 vcc_lo, 0, v4
	s_delay_alu instid0(VALU_DEP_2) | instskip(NEXT) | instid1(VALU_DEP_1)
	v_dual_cndmask_b32 v4, v4, v10 :: v_dual_cndmask_b32 v5, v5, v11
	v_lshl_add_u32 v4, v4, 23, 0x37800000
	s_delay_alu instid0(VALU_DEP_2) | instskip(NEXT) | instid1(VALU_DEP_1)
	v_lshlrev_b32_e32 v5, 21, v5
	v_or3_b32 v4, v7, v4, v5
	s_delay_alu instid0(VALU_DEP_1)
	v_cvt_f64_f32_e32 v[4:5], v4
.LBB22_585:
	s_or_b32 exec_lo, exec_lo, s0
	s_mov_b32 s0, 0
	s_branch .LBB22_589
.LBB22_586:
	s_mov_b32 s1, -1
                                        ; implicit-def: $vgpr4_vgpr5
	s_branch .LBB22_595
.LBB22_587:
	s_mov_b32 s0, -1
                                        ; implicit-def: $vgpr4_vgpr5
	s_branch .LBB22_592
.LBB22_588:
	s_mov_b32 s0, -1
                                        ; implicit-def: $vgpr4_vgpr5
.LBB22_589:
	s_delay_alu instid0(SALU_CYCLE_1)
	s_and_b32 vcc_lo, exec_lo, s0
	s_cbranch_vccz .LBB22_591
; %bb.590:
	global_load_u8 v4, v[0:1], off
	s_waitcnt vmcnt(0)
	v_lshlrev_b32_e32 v4, 24, v4
	s_delay_alu instid0(VALU_DEP_1) | instskip(NEXT) | instid1(VALU_DEP_1)
	v_and_b32_e32 v5, 0x7f000000, v4
	v_clz_i32_u32_e32 v7, v5
	v_add_nc_u32_e32 v11, 0x1000000, v5
	v_cmp_ne_u32_e32 vcc_lo, 0, v5
	s_delay_alu instid0(VALU_DEP_3) | instskip(NEXT) | instid1(VALU_DEP_1)
	v_min_u32_e32 v7, 32, v7
	v_sub_nc_u32_e64 v7, v7, 4 clamp
	s_delay_alu instid0(VALU_DEP_1) | instskip(SKIP_1) | instid1(VALU_DEP_2)
	v_lshlrev_b32_e32 v10, v7, v5
	v_lshlrev_b32_e32 v7, 23, v7
	v_lshrrev_b32_e32 v10, 4, v10
	s_delay_alu instid0(VALU_DEP_1) | instskip(SKIP_1) | instid1(VALU_DEP_2)
	v_sub_nc_u32_e32 v7, v10, v7
	v_ashrrev_i32_e32 v10, 8, v11
	v_add_nc_u32_e32 v7, 0x3c000000, v7
	s_delay_alu instid0(VALU_DEP_1) | instskip(NEXT) | instid1(VALU_DEP_1)
	v_and_or_b32 v7, 0x7f800000, v10, v7
	v_cndmask_b32_e32 v5, 0, v7, vcc_lo
	s_delay_alu instid0(VALU_DEP_1) | instskip(NEXT) | instid1(VALU_DEP_1)
	v_and_or_b32 v4, 0x80000000, v4, v5
	v_cvt_f64_f32_e32 v[4:5], v4
.LBB22_591:
	s_mov_b32 s0, 0
.LBB22_592:
	s_delay_alu instid0(SALU_CYCLE_1)
	s_and_not1_b32 vcc_lo, exec_lo, s0
	s_cbranch_vccnz .LBB22_594
; %bb.593:
	global_load_u8 v4, v[0:1], off
	s_waitcnt vmcnt(0)
	v_lshlrev_b32_e32 v5, 25, v4
	v_lshlrev_b16 v4, 8, v4
	s_delay_alu instid0(VALU_DEP_1) | instskip(SKIP_1) | instid1(VALU_DEP_2)
	v_and_or_b32 v10, 0x7f00, v4, 0.5
	v_bfe_i32 v4, v4, 0, 16
	v_add_f32_e32 v10, -0.5, v10
	v_lshrrev_b32_e32 v7, 4, v5
	v_cmp_gt_u32_e32 vcc_lo, 0x8000000, v5
	s_delay_alu instid0(VALU_DEP_2) | instskip(NEXT) | instid1(VALU_DEP_1)
	v_or_b32_e32 v7, 0x70000000, v7
	v_mul_f32_e32 v7, 0x7800000, v7
	s_delay_alu instid0(VALU_DEP_1) | instskip(NEXT) | instid1(VALU_DEP_1)
	v_cndmask_b32_e32 v5, v7, v10, vcc_lo
	v_and_or_b32 v4, 0x80000000, v4, v5
	s_delay_alu instid0(VALU_DEP_1)
	v_cvt_f64_f32_e32 v[4:5], v4
.LBB22_594:
	s_mov_b32 s1, 0
	s_mov_b32 s0, -1
.LBB22_595:
	s_and_not1_b32 vcc_lo, exec_lo, s1
	s_cbranch_vccnz .LBB22_606
; %bb.596:
	v_cmp_lt_i16_e32 vcc_lo, 14, v6
	s_cbranch_vccz .LBB22_599
; %bb.597:
	v_cmp_eq_u16_e32 vcc_lo, 15, v6
	s_cbranch_vccz .LBB22_600
; %bb.598:
	global_load_u16 v4, v[0:1], off
	s_mov_b32 s0, -1
	s_mov_b32 s20, 0
	s_waitcnt vmcnt(0)
	v_lshlrev_b32_e32 v4, 16, v4
	s_delay_alu instid0(VALU_DEP_1)
	v_cvt_f64_f32_e32 v[4:5], v4
	s_branch .LBB22_601
.LBB22_599:
	s_mov_b32 s1, -1
                                        ; implicit-def: $vgpr4_vgpr5
	s_branch .LBB22_602
.LBB22_600:
	s_mov_b32 s20, -1
                                        ; implicit-def: $vgpr4_vgpr5
.LBB22_601:
	s_mov_b32 s1, 0
.LBB22_602:
	s_delay_alu instid0(SALU_CYCLE_1)
	s_and_b32 vcc_lo, exec_lo, s1
	s_cbranch_vccz .LBB22_606
; %bb.603:
	v_cmp_eq_u16_e32 vcc_lo, 11, v6
	s_cbranch_vccz .LBB22_605
; %bb.604:
	global_load_u8 v4, v[0:1], off
	s_mov_b32 s20, 0
	s_mov_b32 s0, -1
	s_waitcnt vmcnt(0)
	v_cmp_ne_u16_e32 vcc_lo, 0, v4
	v_mov_b32_e32 v4, 0
	v_cndmask_b32_e64 v5, 0, 0x3ff00000, vcc_lo
	s_branch .LBB22_606
.LBB22_605:
	s_mov_b32 s20, -1
                                        ; implicit-def: $vgpr4_vgpr5
.LBB22_606:
	s_mov_b32 s1, 0
.LBB22_607:
	s_delay_alu instid0(SALU_CYCLE_1)
	s_and_b32 vcc_lo, exec_lo, s1
	s_cbranch_vccz .LBB22_656
; %bb.608:
	v_cmp_gt_i16_e32 vcc_lo, 5, v6
	s_cbranch_vccnz .LBB22_613
; %bb.609:
	v_cmp_gt_i16_e32 vcc_lo, 8, v6
	s_cbranch_vccnz .LBB22_614
	;; [unrolled: 3-line block ×3, first 2 shown]
; %bb.611:
	v_cmp_lt_i16_e32 vcc_lo, 9, v6
	s_cbranch_vccz .LBB22_616
; %bb.612:
	global_load_b64 v[4:5], v[0:1], off
	s_mov_b32 s0, 0
	s_branch .LBB22_617
.LBB22_613:
	s_mov_b32 s0, -1
                                        ; implicit-def: $vgpr4_vgpr5
	s_branch .LBB22_635
.LBB22_614:
	s_mov_b32 s0, -1
                                        ; implicit-def: $vgpr4_vgpr5
	s_branch .LBB22_623
.LBB22_615:
	s_mov_b32 s0, -1
                                        ; implicit-def: $vgpr4_vgpr5
	s_branch .LBB22_620
.LBB22_616:
	s_mov_b32 s0, -1
                                        ; implicit-def: $vgpr4_vgpr5
.LBB22_617:
	s_delay_alu instid0(SALU_CYCLE_1)
	s_and_not1_b32 vcc_lo, exec_lo, s0
	s_cbranch_vccnz .LBB22_619
; %bb.618:
	global_load_b32 v4, v[0:1], off
	s_waitcnt vmcnt(0)
	v_cvt_f64_f32_e32 v[4:5], v4
.LBB22_619:
	s_mov_b32 s0, 0
.LBB22_620:
	s_delay_alu instid0(SALU_CYCLE_1)
	s_and_not1_b32 vcc_lo, exec_lo, s0
	s_cbranch_vccnz .LBB22_622
; %bb.621:
	global_load_b32 v4, v[0:1], off
	s_waitcnt vmcnt(0)
	v_cvt_f32_f16_e32 v4, v4
	s_delay_alu instid0(VALU_DEP_1)
	v_cvt_f64_f32_e32 v[4:5], v4
.LBB22_622:
	s_mov_b32 s0, 0
.LBB22_623:
	s_delay_alu instid0(SALU_CYCLE_1)
	s_and_not1_b32 vcc_lo, exec_lo, s0
	s_cbranch_vccnz .LBB22_634
; %bb.624:
	v_cmp_gt_i16_e32 vcc_lo, 6, v6
	s_cbranch_vccnz .LBB22_627
; %bb.625:
	v_cmp_lt_i16_e32 vcc_lo, 6, v6
	s_cbranch_vccz .LBB22_628
; %bb.626:
	global_load_b64 v[4:5], v[0:1], off
	s_mov_b32 s0, 0
	s_branch .LBB22_629
.LBB22_627:
	s_mov_b32 s0, -1
                                        ; implicit-def: $vgpr4_vgpr5
	s_branch .LBB22_632
.LBB22_628:
	s_mov_b32 s0, -1
                                        ; implicit-def: $vgpr4_vgpr5
.LBB22_629:
	s_delay_alu instid0(SALU_CYCLE_1)
	s_and_not1_b32 vcc_lo, exec_lo, s0
	s_cbranch_vccnz .LBB22_631
; %bb.630:
	global_load_b32 v4, v[0:1], off
	s_waitcnt vmcnt(0)
	v_cvt_f64_f32_e32 v[4:5], v4
.LBB22_631:
	s_mov_b32 s0, 0
.LBB22_632:
	s_delay_alu instid0(SALU_CYCLE_1)
	s_and_not1_b32 vcc_lo, exec_lo, s0
	s_cbranch_vccnz .LBB22_634
; %bb.633:
	global_load_u16 v4, v[0:1], off
	s_waitcnt vmcnt(0)
	v_cvt_f32_f16_e32 v4, v4
	s_delay_alu instid0(VALU_DEP_1)
	v_cvt_f64_f32_e32 v[4:5], v4
.LBB22_634:
	s_mov_b32 s0, 0
.LBB22_635:
	s_delay_alu instid0(SALU_CYCLE_1)
	s_and_not1_b32 vcc_lo, exec_lo, s0
	s_cbranch_vccnz .LBB22_655
; %bb.636:
	v_cmp_gt_i16_e32 vcc_lo, 2, v6
	s_cbranch_vccnz .LBB22_640
; %bb.637:
	v_cmp_gt_i16_e32 vcc_lo, 3, v6
	s_cbranch_vccnz .LBB22_641
; %bb.638:
	v_cmp_lt_i16_e32 vcc_lo, 3, v6
	s_cbranch_vccz .LBB22_642
; %bb.639:
	global_load_b64 v[4:5], v[0:1], off
	s_mov_b32 s0, 0
	s_waitcnt vmcnt(0)
	v_cvt_f64_i32_e32 v[10:11], v5
	v_cvt_f64_u32_e32 v[4:5], v4
	s_delay_alu instid0(VALU_DEP_2) | instskip(NEXT) | instid1(VALU_DEP_1)
	v_ldexp_f64 v[10:11], v[10:11], 32
	v_add_f64 v[4:5], v[10:11], v[4:5]
	s_branch .LBB22_643
.LBB22_640:
	s_mov_b32 s0, -1
                                        ; implicit-def: $vgpr4_vgpr5
	s_branch .LBB22_649
.LBB22_641:
	s_mov_b32 s0, -1
                                        ; implicit-def: $vgpr4_vgpr5
	s_branch .LBB22_646
.LBB22_642:
	s_mov_b32 s0, -1
                                        ; implicit-def: $vgpr4_vgpr5
.LBB22_643:
	s_delay_alu instid0(SALU_CYCLE_1)
	s_and_not1_b32 vcc_lo, exec_lo, s0
	s_cbranch_vccnz .LBB22_645
; %bb.644:
	global_load_b32 v4, v[0:1], off
	s_waitcnt vmcnt(0)
	v_cvt_f64_i32_e32 v[4:5], v4
.LBB22_645:
	s_mov_b32 s0, 0
.LBB22_646:
	s_delay_alu instid0(SALU_CYCLE_1)
	s_and_not1_b32 vcc_lo, exec_lo, s0
	s_cbranch_vccnz .LBB22_648
; %bb.647:
	global_load_i16 v4, v[0:1], off
	s_waitcnt vmcnt(0)
	v_cvt_f64_i32_e32 v[4:5], v4
.LBB22_648:
	s_mov_b32 s0, 0
.LBB22_649:
	s_delay_alu instid0(SALU_CYCLE_1)
	s_and_not1_b32 vcc_lo, exec_lo, s0
	s_cbranch_vccnz .LBB22_655
; %bb.650:
	v_cmp_lt_i16_e32 vcc_lo, 0, v6
	s_mov_b32 s0, 0
	s_cbranch_vccz .LBB22_652
; %bb.651:
	global_load_i8 v4, v[0:1], off
	s_waitcnt vmcnt(0)
	v_cvt_f64_i32_e32 v[4:5], v4
	s_branch .LBB22_653
.LBB22_652:
	s_mov_b32 s0, -1
                                        ; implicit-def: $vgpr4_vgpr5
.LBB22_653:
	s_delay_alu instid0(SALU_CYCLE_1)
	s_and_not1_b32 vcc_lo, exec_lo, s0
	s_cbranch_vccnz .LBB22_655
; %bb.654:
	global_load_u8 v0, v[0:1], off
	s_waitcnt vmcnt(0)
	v_cvt_f64_u32_e32 v[4:5], v0
.LBB22_655:
	s_mov_b32 s0, -1
.LBB22_656:
	s_delay_alu instid0(SALU_CYCLE_1)
	s_and_not1_b32 vcc_lo, exec_lo, s0
	s_cbranch_vccnz .LBB22_676
; %bb.657:
	s_waitcnt vmcnt(0)
	s_delay_alu instid0(VALU_DEP_1) | instskip(SKIP_2) | instid1(VALU_DEP_2)
	v_trunc_f64_e32 v[0:1], v[4:5]
	v_cmp_class_f64_e64 vcc_lo, v[4:5], 0x1f8
	s_mov_b32 s19, exec_lo
	v_ldexp_f64 v[6:7], v[0:1], 0xffffffe0
	s_delay_alu instid0(VALU_DEP_1) | instskip(NEXT) | instid1(VALU_DEP_1)
	v_floor_f64_e32 v[6:7], v[6:7]
	v_fma_f64 v[0:1], 0xc1f00000, v[6:7], v[0:1]
	v_cvt_i32_f64_e32 v6, v[6:7]
	s_delay_alu instid0(VALU_DEP_2) | instskip(NEXT) | instid1(VALU_DEP_1)
	v_cvt_u32_f64_e32 v0, v[0:1]
	v_dual_cndmask_b32 v5, -1, v6 :: v_dual_cndmask_b32 v4, -1, v0
	v_mov_b32_e32 v0, 0
	v_mov_b32_e32 v1, 0
	s_delay_alu instid0(VALU_DEP_3)
	v_cmpx_lt_i64_e32 -1, v[4:5]
	s_cbranch_execz .LBB22_669
; %bb.658:
	v_mov_b32_e32 v0, 0
	v_mov_b32_e32 v1, 0x3ff00000
	s_mov_b32 s22, exec_lo
	v_cmpx_lt_i64_e32 0, v[4:5]
	s_cbranch_execz .LBB22_668
; %bb.659:
                                        ; implicit-def: $vgpr0_vgpr1
	s_mov_b32 s0, exec_lo
	v_cmpx_ne_u64_e32 1, v[4:5]
	s_xor_b32 s23, exec_lo, s0
	s_cbranch_execz .LBB22_665
; %bb.660:
	v_mov_b32_e32 v0, 0
	v_mov_b32_e32 v1, 0x7ff80000
	s_mov_b32 s24, exec_lo
	v_cmpx_gt_u64_e32 0x201, v[4:5]
	s_cbranch_execz .LBB22_664
; %bb.661:
	v_add_f64 v[2:3], v[2:3], v[2:3]
	v_mov_b32_e32 v6, 0
	v_lshlrev_b64 v[4:5], 1, v[4:5]
	v_mov_b32_e32 v7, 0x3ff00000
	s_mov_b64 s[0:1], 2
	s_mov_b32 s25, 0
	s_delay_alu instid0(VALU_DEP_4)
	v_dual_mov_b32 v0, v2 :: v_dual_mov_b32 v1, v3
.LBB22_662:                             ; =>This Inner Loop Header: Depth=1
	v_cvt_f64_u32_e32 v[10:11], s1
	v_cvt_f64_u32_e32 v[12:13], s0
	s_add_u32 s0, s0, 2
	s_addc_u32 s1, s1, 0
	s_delay_alu instid0(SALU_CYCLE_1) | instskip(SKIP_1) | instid1(VALU_DEP_3)
	v_cmp_ge_u64_e32 vcc_lo, s[0:1], v[4:5]
	s_or_b32 s25, vcc_lo, s25
	v_ldexp_f64 v[10:11], v[10:11], 32
	s_delay_alu instid0(VALU_DEP_1) | instskip(NEXT) | instid1(VALU_DEP_1)
	v_add_f64 v[10:11], v[10:11], v[12:13]
	v_mul_f64 v[6:7], v[6:7], v[10:11]
	v_dual_mov_b32 v11, v1 :: v_dual_mov_b32 v10, v0
	s_delay_alu instid0(VALU_DEP_1)
	v_fma_f64 v[0:1], v[2:3], v[10:11], -v[6:7]
	v_dual_mov_b32 v6, v10 :: v_dual_mov_b32 v7, v11
	s_and_not1_b32 exec_lo, exec_lo, s25
	s_cbranch_execnz .LBB22_662
; %bb.663:
	s_or_b32 exec_lo, exec_lo, s25
.LBB22_664:
	s_delay_alu instid0(SALU_CYCLE_1)
	s_or_b32 exec_lo, exec_lo, s24
                                        ; implicit-def: $vgpr2_vgpr3
.LBB22_665:
	s_and_not1_saveexec_b32 s0, s23
; %bb.666:
	v_add_f64 v[0:1], v[2:3], v[2:3]
; %bb.667:
	s_or_b32 exec_lo, exec_lo, s0
.LBB22_668:
	s_delay_alu instid0(SALU_CYCLE_1)
	s_or_b32 exec_lo, exec_lo, s22
.LBB22_669:
	s_delay_alu instid0(SALU_CYCLE_1) | instskip(SKIP_2) | instid1(VALU_DEP_1)
	s_or_b32 exec_lo, exec_lo, s19
	v_mul_lo_u32 v2, v15, s8
	v_and_b32_e32 v6, 0xff, v14
	v_cmp_gt_i16_e32 vcc_lo, 11, v6
	s_delay_alu instid0(VALU_DEP_3) | instskip(SKIP_1) | instid1(VALU_DEP_1)
	v_ashrrev_i32_e32 v3, 31, v2
	v_add_co_u32 v4, s0, s4, v2
	v_add_co_ci_u32_e64 v5, s0, s5, v3, s0
	s_cbranch_vccnz .LBB22_677
; %bb.670:
	v_cmp_lt_i16_e32 vcc_lo, 25, v6
	s_cbranch_vccz .LBB22_678
; %bb.671:
	v_cmp_lt_i16_e32 vcc_lo, 28, v6
	s_cbranch_vccz .LBB22_679
	;; [unrolled: 3-line block ×4, first 2 shown]
; %bb.674:
	v_cmp_eq_u16_e32 vcc_lo, 46, v6
	s_mov_b32 s19, 0
	s_mov_b32 s0, -1
	s_mov_b32 s1, 0
	s_cbranch_vccz .LBB22_682
; %bb.675:
	v_cvt_f32_f64_e32 v2, v[0:1]
	s_mov_b32 s1, -1
	s_mov_b32 s0, 0
	s_delay_alu instid0(VALU_DEP_1) | instskip(SKIP_1) | instid1(VALU_DEP_2)
	v_bfe_u32 v3, v2, 16, 1
	v_cmp_o_f32_e32 vcc_lo, v2, v2
	v_add3_u32 v3, v2, v3, 0x7fff
	s_delay_alu instid0(VALU_DEP_1) | instskip(NEXT) | instid1(VALU_DEP_1)
	v_lshrrev_b32_e32 v3, 16, v3
	v_cndmask_b32_e32 v2, 0x7fc0, v3, vcc_lo
	global_store_b32 v[4:5], v2, off
	s_branch .LBB22_682
.LBB22_676:
	s_mov_b32 s1, 0
	s_mov_b32 s0, s13
	s_branch .LBB22_793
.LBB22_677:
	s_mov_b32 s19, -1
	s_mov_b32 s1, 0
	s_mov_b32 s0, s13
	s_branch .LBB22_751
.LBB22_678:
	s_mov_b32 s19, -1
	s_mov_b32 s1, 0
	s_mov_b32 s0, s13
	s_branch .LBB22_709
.LBB22_679:
	s_mov_b32 s19, -1
	s_mov_b32 s1, 0
	s_mov_b32 s0, s13
	s_branch .LBB22_692
.LBB22_680:
	s_mov_b32 s19, -1
	s_mov_b32 s1, 0
	s_mov_b32 s0, s13
	s_branch .LBB22_688
.LBB22_681:
	s_mov_b32 s19, -1
	s_mov_b32 s1, 0
	s_mov_b32 s0, s13
.LBB22_682:
	s_and_b32 vcc_lo, exec_lo, s19
	s_cbranch_vccz .LBB22_687
; %bb.683:
	v_cmp_eq_u16_e32 vcc_lo, 44, v6
	s_mov_b32 s0, -1
	s_cbranch_vccz .LBB22_687
; %bb.684:
	v_cvt_f32_f64_e32 v2, v[0:1]
	v_mov_b32_e32 v3, 0xff
	s_mov_b32 s1, exec_lo
	s_delay_alu instid0(VALU_DEP_2) | instskip(NEXT) | instid1(VALU_DEP_1)
	v_bfe_u32 v7, v2, 23, 8
	v_cmpx_ne_u32_e32 0xff, v7
; %bb.685:
	v_and_b32_e32 v3, 0x400000, v2
	v_and_or_b32 v7, 0x3fffff, v2, v7
	v_lshrrev_b32_e32 v2, 23, v2
	s_delay_alu instid0(VALU_DEP_3) | instskip(NEXT) | instid1(VALU_DEP_3)
	v_cmp_ne_u32_e32 vcc_lo, 0, v3
	v_cmp_ne_u32_e64 s0, 0, v7
	s_delay_alu instid0(VALU_DEP_1) | instskip(NEXT) | instid1(SALU_CYCLE_1)
	s_and_b32 s0, vcc_lo, s0
	v_cndmask_b32_e64 v3, 0, 1, s0
	s_delay_alu instid0(VALU_DEP_1)
	v_add_nc_u32_e32 v3, v2, v3
; %bb.686:
	s_or_b32 exec_lo, exec_lo, s1
	s_mov_b32 s1, -1
	s_mov_b32 s0, 0
	global_store_b8 v[4:5], v3, off
.LBB22_687:
	s_mov_b32 s19, 0
.LBB22_688:
	s_delay_alu instid0(SALU_CYCLE_1)
	s_and_b32 vcc_lo, exec_lo, s19
	s_cbranch_vccz .LBB22_691
; %bb.689:
	v_cmp_eq_u16_e32 vcc_lo, 29, v6
	s_mov_b32 s0, -1
	s_cbranch_vccz .LBB22_691
; %bb.690:
	v_trunc_f64_e32 v[2:3], v[0:1]
	s_mov_b32 s1, -1
	s_mov_b32 s0, 0
	s_mov_b32 s19, 0
	s_delay_alu instid0(VALU_DEP_1) | instskip(NEXT) | instid1(VALU_DEP_1)
	v_ldexp_f64 v[10:11], v[2:3], 0xffffffe0
	v_floor_f64_e32 v[10:11], v[10:11]
	s_delay_alu instid0(VALU_DEP_1) | instskip(SKIP_1) | instid1(VALU_DEP_2)
	v_fma_f64 v[2:3], 0xc1f00000, v[10:11], v[2:3]
	v_cvt_u32_f64_e32 v11, v[10:11]
	v_cvt_u32_f64_e32 v10, v[2:3]
	global_store_b64 v[4:5], v[10:11], off
	s_branch .LBB22_692
.LBB22_691:
	s_mov_b32 s19, 0
.LBB22_692:
	s_delay_alu instid0(SALU_CYCLE_1)
	s_and_b32 vcc_lo, exec_lo, s19
	s_cbranch_vccz .LBB22_708
; %bb.693:
	v_cmp_gt_i16_e32 vcc_lo, 27, v6
	s_mov_b32 s1, -1
	s_cbranch_vccnz .LBB22_699
; %bb.694:
	v_cmp_lt_i16_e32 vcc_lo, 27, v6
	s_cbranch_vccz .LBB22_696
; %bb.695:
	v_cvt_u32_f64_e32 v2, v[0:1]
	s_mov_b32 s1, 0
	global_store_b32 v[4:5], v2, off
.LBB22_696:
	s_and_not1_b32 vcc_lo, exec_lo, s1
	s_cbranch_vccnz .LBB22_698
; %bb.697:
	v_cvt_u32_f64_e32 v2, v[0:1]
	global_store_b16 v[4:5], v2, off
.LBB22_698:
	s_mov_b32 s1, 0
.LBB22_699:
	s_delay_alu instid0(SALU_CYCLE_1)
	s_and_not1_b32 vcc_lo, exec_lo, s1
	s_cbranch_vccnz .LBB22_707
; %bb.700:
	v_cvt_f32_f64_e32 v2, v[0:1]
	v_mov_b32_e32 v7, 0x80
	s_mov_b32 s1, exec_lo
	s_delay_alu instid0(VALU_DEP_2) | instskip(NEXT) | instid1(VALU_DEP_1)
	v_and_b32_e32 v3, 0x7fffffff, v2
	v_cmpx_gt_u32_e32 0x43800000, v3
	s_cbranch_execz .LBB22_706
; %bb.701:
	v_cmp_lt_u32_e32 vcc_lo, 0x3bffffff, v3
	s_mov_b32 s19, 0
                                        ; implicit-def: $vgpr3
	s_and_saveexec_b32 s22, vcc_lo
	s_delay_alu instid0(SALU_CYCLE_1)
	s_xor_b32 s22, exec_lo, s22
	s_cbranch_execz .LBB22_809
; %bb.702:
	v_bfe_u32 v3, v2, 20, 1
	s_mov_b32 s19, exec_lo
	s_delay_alu instid0(VALU_DEP_1) | instskip(NEXT) | instid1(VALU_DEP_1)
	v_add3_u32 v3, v2, v3, 0x487ffff
	v_lshrrev_b32_e32 v3, 20, v3
	s_or_saveexec_b32 s22, s22
                                        ; implicit-def: $sgpr23
	s_delay_alu instid0(SALU_CYCLE_1)
	s_xor_b32 exec_lo, exec_lo, s22
	s_cbranch_execnz .LBB22_810
.LBB22_703:
	s_or_b32 exec_lo, exec_lo, s22
	v_mov_b32_e32 v7, s23
	s_and_saveexec_b32 s22, s19
.LBB22_704:
	v_lshrrev_b32_e32 v2, 24, v2
	s_delay_alu instid0(VALU_DEP_1)
	v_and_or_b32 v7, 0x80, v2, v3
.LBB22_705:
	s_or_b32 exec_lo, exec_lo, s22
.LBB22_706:
	s_delay_alu instid0(SALU_CYCLE_1)
	s_or_b32 exec_lo, exec_lo, s1
	global_store_b8 v[4:5], v7, off
.LBB22_707:
	s_mov_b32 s1, -1
.LBB22_708:
	s_mov_b32 s19, 0
.LBB22_709:
	s_delay_alu instid0(SALU_CYCLE_1)
	s_and_b32 vcc_lo, exec_lo, s19
	s_cbranch_vccz .LBB22_750
; %bb.710:
	v_cmp_lt_i16_e32 vcc_lo, 22, v6
	s_mov_b32 s19, -1
	s_cbranch_vccz .LBB22_742
; %bb.711:
	v_cmp_gt_i16_e32 vcc_lo, 24, v6
	s_mov_b32 s1, -1
	s_cbranch_vccnz .LBB22_731
; %bb.712:
	v_cmp_lt_i16_e32 vcc_lo, 24, v6
	s_cbranch_vccz .LBB22_720
; %bb.713:
	v_cvt_f32_f64_e32 v2, v[0:1]
	v_mov_b32_e32 v7, 0x80
	s_mov_b32 s1, exec_lo
	s_delay_alu instid0(VALU_DEP_2) | instskip(NEXT) | instid1(VALU_DEP_1)
	v_and_b32_e32 v3, 0x7fffffff, v2
	v_cmpx_gt_u32_e32 0x47800000, v3
	s_cbranch_execz .LBB22_719
; %bb.714:
	v_cmp_lt_u32_e32 vcc_lo, 0x37ffffff, v3
	s_mov_b32 s19, 0
                                        ; implicit-def: $vgpr3
	s_and_saveexec_b32 s22, vcc_lo
	s_delay_alu instid0(SALU_CYCLE_1)
	s_xor_b32 s22, exec_lo, s22
	s_cbranch_execz .LBB22_941
; %bb.715:
	v_bfe_u32 v3, v2, 21, 1
	s_mov_b32 s19, exec_lo
	s_delay_alu instid0(VALU_DEP_1) | instskip(NEXT) | instid1(VALU_DEP_1)
	v_add3_u32 v3, v2, v3, 0x88fffff
	v_lshrrev_b32_e32 v3, 21, v3
	s_or_saveexec_b32 s22, s22
                                        ; implicit-def: $sgpr23
	s_delay_alu instid0(SALU_CYCLE_1)
	s_xor_b32 exec_lo, exec_lo, s22
	s_cbranch_execnz .LBB22_942
.LBB22_716:
	s_or_b32 exec_lo, exec_lo, s22
	v_mov_b32_e32 v7, s23
	s_and_saveexec_b32 s22, s19
.LBB22_717:
	v_lshrrev_b32_e32 v2, 24, v2
	s_delay_alu instid0(VALU_DEP_1)
	v_and_or_b32 v7, 0x80, v2, v3
.LBB22_718:
	s_or_b32 exec_lo, exec_lo, s22
.LBB22_719:
	s_delay_alu instid0(SALU_CYCLE_1)
	s_or_b32 exec_lo, exec_lo, s1
	s_mov_b32 s1, 0
	global_store_b8 v[4:5], v7, off
.LBB22_720:
	s_and_b32 vcc_lo, exec_lo, s1
	s_cbranch_vccz .LBB22_730
; %bb.721:
	v_cvt_f32_f64_e32 v2, v[0:1]
	s_mov_b32 s1, exec_lo
                                        ; implicit-def: $vgpr3
	s_delay_alu instid0(VALU_DEP_1) | instskip(NEXT) | instid1(VALU_DEP_1)
	v_and_b32_e32 v7, 0x7fffffff, v2
	v_cmpx_gt_u32_e32 0x43f00000, v7
	s_xor_b32 s1, exec_lo, s1
	s_cbranch_execz .LBB22_727
; %bb.722:
	s_mov_b32 s19, exec_lo
                                        ; implicit-def: $vgpr3
	v_cmpx_lt_u32_e32 0x3c7fffff, v7
	s_xor_b32 s19, exec_lo, s19
; %bb.723:
	v_bfe_u32 v3, v2, 20, 1
	s_delay_alu instid0(VALU_DEP_1) | instskip(NEXT) | instid1(VALU_DEP_1)
	v_add3_u32 v3, v2, v3, 0x407ffff
	v_and_b32_e32 v7, 0xff00000, v3
	v_lshrrev_b32_e32 v3, 20, v3
	s_delay_alu instid0(VALU_DEP_2) | instskip(NEXT) | instid1(VALU_DEP_2)
	v_cmp_ne_u32_e32 vcc_lo, 0x7f00000, v7
	v_cndmask_b32_e32 v3, 0x7e, v3, vcc_lo
; %bb.724:
	s_and_not1_saveexec_b32 s19, s19
; %bb.725:
	v_add_f32_e64 v3, 0x46800000, |v2|
; %bb.726:
	s_or_b32 exec_lo, exec_lo, s19
                                        ; implicit-def: $vgpr7
.LBB22_727:
	s_and_not1_saveexec_b32 s1, s1
; %bb.728:
	v_mov_b32_e32 v3, 0x7f
	v_cmp_lt_u32_e32 vcc_lo, 0x7f800000, v7
	s_delay_alu instid0(VALU_DEP_2)
	v_cndmask_b32_e32 v3, 0x7e, v3, vcc_lo
; %bb.729:
	s_or_b32 exec_lo, exec_lo, s1
	v_lshrrev_b32_e32 v2, 24, v2
	s_delay_alu instid0(VALU_DEP_1)
	v_and_or_b32 v2, 0x80, v2, v3
	global_store_b8 v[4:5], v2, off
.LBB22_730:
	s_mov_b32 s1, 0
.LBB22_731:
	s_delay_alu instid0(SALU_CYCLE_1)
	s_and_not1_b32 vcc_lo, exec_lo, s1
	s_cbranch_vccnz .LBB22_741
; %bb.732:
	v_cvt_f32_f64_e32 v2, v[0:1]
	s_mov_b32 s1, exec_lo
                                        ; implicit-def: $vgpr3
	s_delay_alu instid0(VALU_DEP_1) | instskip(NEXT) | instid1(VALU_DEP_1)
	v_and_b32_e32 v7, 0x7fffffff, v2
	v_cmpx_gt_u32_e32 0x47800000, v7
	s_xor_b32 s1, exec_lo, s1
	s_cbranch_execz .LBB22_738
; %bb.733:
	s_mov_b32 s19, exec_lo
                                        ; implicit-def: $vgpr3
	v_cmpx_lt_u32_e32 0x387fffff, v7
	s_xor_b32 s19, exec_lo, s19
; %bb.734:
	v_bfe_u32 v3, v2, 21, 1
	s_delay_alu instid0(VALU_DEP_1) | instskip(NEXT) | instid1(VALU_DEP_1)
	v_add3_u32 v3, v2, v3, 0x80fffff
	v_lshrrev_b32_e32 v3, 21, v3
; %bb.735:
	s_and_not1_saveexec_b32 s19, s19
; %bb.736:
	v_add_f32_e64 v3, 0x43000000, |v2|
; %bb.737:
	s_or_b32 exec_lo, exec_lo, s19
                                        ; implicit-def: $vgpr7
.LBB22_738:
	s_and_not1_saveexec_b32 s1, s1
; %bb.739:
	v_mov_b32_e32 v3, 0x7f
	v_cmp_lt_u32_e32 vcc_lo, 0x7f800000, v7
	s_delay_alu instid0(VALU_DEP_2)
	v_cndmask_b32_e32 v3, 0x7c, v3, vcc_lo
; %bb.740:
	s_or_b32 exec_lo, exec_lo, s1
	v_lshrrev_b32_e32 v2, 24, v2
	s_delay_alu instid0(VALU_DEP_1)
	v_and_or_b32 v2, 0x80, v2, v3
	global_store_b8 v[4:5], v2, off
.LBB22_741:
	s_mov_b32 s19, 0
	s_mov_b32 s1, -1
.LBB22_742:
	s_and_not1_b32 vcc_lo, exec_lo, s19
	s_cbranch_vccnz .LBB22_750
; %bb.743:
	v_cmp_lt_i16_e32 vcc_lo, 14, v6
	s_mov_b32 s19, -1
	s_cbranch_vccz .LBB22_747
; %bb.744:
	v_cmp_eq_u16_e32 vcc_lo, 15, v6
	s_mov_b32 s0, -1
	s_cbranch_vccz .LBB22_746
; %bb.745:
	v_cvt_f32_f64_e32 v2, v[0:1]
	s_mov_b32 s1, -1
	s_mov_b32 s0, 0
	s_delay_alu instid0(VALU_DEP_1) | instskip(SKIP_1) | instid1(VALU_DEP_2)
	v_bfe_u32 v3, v2, 16, 1
	v_cmp_o_f32_e32 vcc_lo, v2, v2
	v_add3_u32 v3, v2, v3, 0x7fff
	s_delay_alu instid0(VALU_DEP_1) | instskip(NEXT) | instid1(VALU_DEP_1)
	v_lshrrev_b32_e32 v3, 16, v3
	v_cndmask_b32_e32 v2, 0x7fc0, v3, vcc_lo
	global_store_b16 v[4:5], v2, off
.LBB22_746:
	s_mov_b32 s19, 0
.LBB22_747:
	s_delay_alu instid0(SALU_CYCLE_1)
	s_and_b32 vcc_lo, exec_lo, s19
	s_cbranch_vccz .LBB22_750
; %bb.748:
	v_cmp_eq_u16_e32 vcc_lo, 11, v6
	s_mov_b32 s0, -1
	s_cbranch_vccz .LBB22_750
; %bb.749:
	v_cmp_neq_f64_e32 vcc_lo, 0, v[0:1]
	s_mov_b32 s1, -1
	s_mov_b32 s0, 0
	v_cndmask_b32_e64 v2, 0, 1, vcc_lo
	global_store_b8 v[4:5], v2, off
.LBB22_750:
	s_mov_b32 s19, 0
.LBB22_751:
	s_delay_alu instid0(SALU_CYCLE_1)
	s_and_b32 vcc_lo, exec_lo, s19
	s_cbranch_vccz .LBB22_790
; %bb.752:
	v_cmp_gt_i16_e32 vcc_lo, 5, v6
	s_mov_b32 s1, -1
	s_cbranch_vccnz .LBB22_773
; %bb.753:
	v_cmp_gt_i16_e32 vcc_lo, 8, v6
	s_cbranch_vccnz .LBB22_763
; %bb.754:
	v_cmp_gt_i16_e32 vcc_lo, 9, v6
	s_cbranch_vccnz .LBB22_760
; %bb.755:
	v_cmp_lt_i16_e32 vcc_lo, 9, v6
	s_cbranch_vccz .LBB22_757
; %bb.756:
	v_mov_b32_e32 v2, 0
	s_mov_b32 s1, 0
	s_delay_alu instid0(VALU_DEP_1)
	v_mov_b32_e32 v3, v2
	global_store_b128 v[4:5], v[0:3], off
.LBB22_757:
	s_and_not1_b32 vcc_lo, exec_lo, s1
	s_cbranch_vccnz .LBB22_759
; %bb.758:
	v_cvt_f32_f64_e32 v2, v[0:1]
	v_mov_b32_e32 v3, 0
	global_store_b64 v[4:5], v[2:3], off
.LBB22_759:
	s_mov_b32 s1, 0
.LBB22_760:
	s_delay_alu instid0(SALU_CYCLE_1)
	s_and_not1_b32 vcc_lo, exec_lo, s1
	s_cbranch_vccnz .LBB22_762
; %bb.761:
	v_cvt_f32_f64_e32 v2, v[0:1]
	s_delay_alu instid0(VALU_DEP_1) | instskip(NEXT) | instid1(VALU_DEP_1)
	v_cvt_f16_f32_e32 v2, v2
	v_and_b32_e32 v2, 0xffff, v2
	global_store_b32 v[4:5], v2, off
.LBB22_762:
	s_mov_b32 s1, 0
.LBB22_763:
	s_delay_alu instid0(SALU_CYCLE_1)
	s_and_not1_b32 vcc_lo, exec_lo, s1
	s_cbranch_vccnz .LBB22_772
; %bb.764:
	v_cmp_gt_i16_e32 vcc_lo, 6, v6
	s_mov_b32 s1, -1
	s_cbranch_vccnz .LBB22_770
; %bb.765:
	v_cmp_lt_i16_e32 vcc_lo, 6, v6
	s_cbranch_vccz .LBB22_767
; %bb.766:
	s_mov_b32 s1, 0
	global_store_b64 v[4:5], v[0:1], off
.LBB22_767:
	s_and_not1_b32 vcc_lo, exec_lo, s1
	s_cbranch_vccnz .LBB22_769
; %bb.768:
	v_cvt_f32_f64_e32 v2, v[0:1]
	global_store_b32 v[4:5], v2, off
.LBB22_769:
	s_mov_b32 s1, 0
.LBB22_770:
	s_delay_alu instid0(SALU_CYCLE_1)
	s_and_not1_b32 vcc_lo, exec_lo, s1
	s_cbranch_vccnz .LBB22_772
; %bb.771:
	v_cvt_f32_f64_e32 v2, v[0:1]
	s_delay_alu instid0(VALU_DEP_1)
	v_cvt_f16_f32_e32 v2, v2
	global_store_b16 v[4:5], v2, off
.LBB22_772:
	s_mov_b32 s1, 0
.LBB22_773:
	s_delay_alu instid0(SALU_CYCLE_1)
	s_and_not1_b32 vcc_lo, exec_lo, s1
	s_cbranch_vccnz .LBB22_789
; %bb.774:
	v_cmp_gt_i16_e32 vcc_lo, 2, v6
	s_mov_b32 s1, -1
	s_cbranch_vccnz .LBB22_784
; %bb.775:
	v_cmp_gt_i16_e32 vcc_lo, 3, v6
	s_cbranch_vccnz .LBB22_781
; %bb.776:
	v_cmp_lt_i16_e32 vcc_lo, 3, v6
	s_cbranch_vccz .LBB22_778
; %bb.777:
	v_trunc_f64_e32 v[2:3], v[0:1]
	s_mov_b32 s1, 0
	s_delay_alu instid0(VALU_DEP_1) | instskip(NEXT) | instid1(VALU_DEP_1)
	v_ldexp_f64 v[10:11], v[2:3], 0xffffffe0
	v_floor_f64_e32 v[10:11], v[10:11]
	s_delay_alu instid0(VALU_DEP_1) | instskip(SKIP_1) | instid1(VALU_DEP_2)
	v_fma_f64 v[2:3], 0xc1f00000, v[10:11], v[2:3]
	v_cvt_i32_f64_e32 v11, v[10:11]
	v_cvt_u32_f64_e32 v10, v[2:3]
	global_store_b64 v[4:5], v[10:11], off
.LBB22_778:
	s_and_not1_b32 vcc_lo, exec_lo, s1
	s_cbranch_vccnz .LBB22_780
; %bb.779:
	v_cvt_i32_f64_e32 v2, v[0:1]
	global_store_b32 v[4:5], v2, off
.LBB22_780:
	s_mov_b32 s1, 0
.LBB22_781:
	s_delay_alu instid0(SALU_CYCLE_1)
	s_and_not1_b32 vcc_lo, exec_lo, s1
	s_cbranch_vccnz .LBB22_783
; %bb.782:
	v_cvt_i32_f64_e32 v2, v[0:1]
	global_store_b16 v[4:5], v2, off
.LBB22_783:
	s_mov_b32 s1, 0
.LBB22_784:
	s_delay_alu instid0(SALU_CYCLE_1)
	s_and_not1_b32 vcc_lo, exec_lo, s1
	s_cbranch_vccnz .LBB22_789
; %bb.785:
	v_cmp_lt_i16_e32 vcc_lo, 0, v6
	s_mov_b32 s1, -1
	s_cbranch_vccz .LBB22_787
; %bb.786:
	v_cvt_i32_f64_e32 v2, v[0:1]
	s_mov_b32 s1, 0
	global_store_b8 v[4:5], v2, off
.LBB22_787:
	s_and_not1_b32 vcc_lo, exec_lo, s1
	s_cbranch_vccnz .LBB22_789
; %bb.788:
	v_trunc_f64_e32 v[0:1], v[0:1]
	s_delay_alu instid0(VALU_DEP_1) | instskip(NEXT) | instid1(VALU_DEP_1)
	v_ldexp_f64 v[2:3], v[0:1], 0xffffffe0
	v_floor_f64_e32 v[2:3], v[2:3]
	s_delay_alu instid0(VALU_DEP_1) | instskip(NEXT) | instid1(VALU_DEP_1)
	v_fma_f64 v[0:1], 0xc1f00000, v[2:3], v[0:1]
	v_cvt_u32_f64_e32 v0, v[0:1]
	global_store_b8 v[4:5], v0, off
.LBB22_789:
	s_mov_b32 s1, -1
.LBB22_790:
	s_delay_alu instid0(SALU_CYCLE_1)
	s_and_not1_b32 vcc_lo, exec_lo, s1
	s_cbranch_vccnz .LBB22_792
; %bb.791:
	v_add_nc_u32_e32 v15, 0x80, v15
	s_mov_b32 s1, -1
	s_branch .LBB22_794
.LBB22_792:
	s_mov_b32 s1, 0
.LBB22_793:
                                        ; implicit-def: $vgpr15
.LBB22_794:
	s_and_not1_b32 s19, s13, exec_lo
	s_and_b32 s0, s0, exec_lo
	s_and_b32 s20, s20, exec_lo
	s_or_b32 s19, s19, s0
	s_and_not1_b32 s0, s15, exec_lo
	s_and_not1_b32 s22, s16, exec_lo
	s_and_b32 s18, s18, exec_lo
	s_or_b32 s20, s0, s20
	s_or_b32 s18, s22, s18
	s_or_not1_b32 s23, s1, exec_lo
.LBB22_795:
	s_or_b32 exec_lo, exec_lo, s21
	s_mov_b32 s1, 0
	s_mov_b32 s22, 0
	;; [unrolled: 1-line block ×3, first 2 shown]
                                        ; implicit-def: $vgpr4
                                        ; implicit-def: $vgpr0_vgpr1
                                        ; implicit-def: $vgpr2_vgpr3
	s_and_saveexec_b32 s21, s23
	s_cbranch_execz .LBB22_1282
; %bb.796:
	s_mov_b32 s27, -1
	s_mov_b32 s23, s18
	s_mov_b32 s24, s20
	;; [unrolled: 1-line block ×3, first 2 shown]
	s_mov_b32 s22, exec_lo
	v_cmpx_gt_i32_e64 s14, v15
	s_cbranch_execz .LBB22_1198
; %bb.797:
	v_mul_lo_u32 v0, v15, s9
	s_waitcnt vmcnt(0)
	v_and_b32_e32 v4, 0xff, v9
	s_delay_alu instid0(VALU_DEP_1) | instskip(NEXT) | instid1(VALU_DEP_3)
	v_cmp_gt_i16_e32 vcc_lo, 11, v4
	v_ashrrev_i32_e32 v1, 31, v0
	v_add_co_u32 v0, s0, s6, v0
	s_delay_alu instid0(VALU_DEP_1)
	v_add_co_ci_u32_e64 v1, s0, s7, v1, s0
	s_cbranch_vccnz .LBB22_804
; %bb.798:
	v_cmp_lt_i16_e32 vcc_lo, 25, v4
	s_cbranch_vccz .LBB22_805
; %bb.799:
	v_cmp_lt_i16_e32 vcc_lo, 28, v4
	s_cbranch_vccz .LBB22_806
	;; [unrolled: 3-line block ×4, first 2 shown]
; %bb.802:
	v_cmp_eq_u16_e32 vcc_lo, 46, v4
	s_cbranch_vccz .LBB22_811
; %bb.803:
	global_load_b32 v2, v[0:1], off
	s_mov_b32 s0, -1
	s_mov_b32 s23, 0
	s_waitcnt vmcnt(0)
	v_lshlrev_b32_e32 v2, 16, v2
	s_delay_alu instid0(VALU_DEP_1)
	v_cvt_f64_f32_e32 v[2:3], v2
	s_branch .LBB22_813
.LBB22_804:
	s_mov_b32 s1, -1
	s_mov_b32 s0, 0
	s_mov_b32 s23, s18
                                        ; implicit-def: $vgpr2_vgpr3
	s_branch .LBB22_878
.LBB22_805:
	s_mov_b32 s1, -1
	s_mov_b32 s0, 0
	s_mov_b32 s23, s18
                                        ; implicit-def: $vgpr2_vgpr3
	s_branch .LBB22_844
.LBB22_806:
	s_mov_b32 s1, -1
	s_mov_b32 s0, 0
	s_mov_b32 s23, s18
                                        ; implicit-def: $vgpr2_vgpr3
	s_branch .LBB22_823
.LBB22_807:
	s_mov_b32 s1, -1
	s_mov_b32 s0, 0
	s_mov_b32 s23, s18
                                        ; implicit-def: $vgpr2_vgpr3
	s_branch .LBB22_818
.LBB22_808:
	s_mov_b32 s1, -1
	s_mov_b32 s0, 0
	s_mov_b32 s23, s18
	s_branch .LBB22_812
.LBB22_809:
	s_or_saveexec_b32 s22, s22
                                        ; implicit-def: $sgpr23
	s_delay_alu instid0(SALU_CYCLE_1)
	s_xor_b32 exec_lo, exec_lo, s22
	s_cbranch_execz .LBB22_703
.LBB22_810:
	v_add_f32_e64 v3, 0x46000000, |v2|
	s_and_not1_b32 s19, s19, exec_lo
	s_mov_b32 s23, 0
	s_delay_alu instid0(VALU_DEP_1) | instskip(NEXT) | instid1(VALU_DEP_1)
	v_and_b32_e32 v3, 0xff, v3
	v_cmp_ne_u32_e32 vcc_lo, 0, v3
	s_and_b32 s24, vcc_lo, exec_lo
	s_delay_alu instid0(SALU_CYCLE_1)
	s_or_b32 s19, s19, s24
	s_or_b32 exec_lo, exec_lo, s22
	v_mov_b32_e32 v7, s23
	s_and_saveexec_b32 s22, s19
	s_cbranch_execnz .LBB22_704
	s_branch .LBB22_705
.LBB22_811:
	s_mov_b32 s23, -1
	s_mov_b32 s0, 0
.LBB22_812:
                                        ; implicit-def: $vgpr2_vgpr3
.LBB22_813:
	s_and_b32 vcc_lo, exec_lo, s1
	s_cbranch_vccz .LBB22_817
; %bb.814:
	v_cmp_eq_u16_e32 vcc_lo, 44, v4
	s_cbranch_vccz .LBB22_816
; %bb.815:
	global_load_u8 v5, v[0:1], off
	s_mov_b32 s23, 0
	s_mov_b32 s0, -1
	s_waitcnt vmcnt(0)
	v_cmp_ne_u32_e32 vcc_lo, 0xff, v5
	v_lshlrev_b32_e32 v2, 23, v5
	s_delay_alu instid0(VALU_DEP_1) | instskip(NEXT) | instid1(VALU_DEP_1)
	v_cvt_f64_f32_e32 v[2:3], v2
	v_cndmask_b32_e32 v3, 0x7ff80000, v3, vcc_lo
	s_delay_alu instid0(VALU_DEP_2) | instskip(SKIP_1) | instid1(VALU_DEP_3)
	v_cndmask_b32_e32 v2, 0x20000000, v2, vcc_lo
	v_cmp_ne_u32_e32 vcc_lo, 0, v5
	v_cndmask_b32_e32 v3, 0x38000000, v3, vcc_lo
	s_delay_alu instid0(VALU_DEP_3)
	v_cndmask_b32_e32 v2, 0, v2, vcc_lo
	s_branch .LBB22_817
.LBB22_816:
	s_mov_b32 s23, -1
                                        ; implicit-def: $vgpr2_vgpr3
.LBB22_817:
	s_mov_b32 s1, 0
.LBB22_818:
	s_delay_alu instid0(SALU_CYCLE_1)
	s_and_b32 vcc_lo, exec_lo, s1
	s_cbranch_vccz .LBB22_822
; %bb.819:
	v_cmp_eq_u16_e32 vcc_lo, 29, v4
	s_cbranch_vccz .LBB22_821
; %bb.820:
	global_load_b64 v[2:3], v[0:1], off
	s_mov_b32 s0, -1
	s_mov_b32 s23, 0
	s_mov_b32 s1, 0
	s_waitcnt vmcnt(0)
	v_cvt_f64_u32_e32 v[5:6], v3
	v_cvt_f64_u32_e32 v[2:3], v2
	s_delay_alu instid0(VALU_DEP_2) | instskip(NEXT) | instid1(VALU_DEP_1)
	v_ldexp_f64 v[5:6], v[5:6], 32
	v_add_f64 v[2:3], v[5:6], v[2:3]
	s_branch .LBB22_823
.LBB22_821:
	s_mov_b32 s23, -1
                                        ; implicit-def: $vgpr2_vgpr3
.LBB22_822:
	s_mov_b32 s1, 0
.LBB22_823:
	s_delay_alu instid0(SALU_CYCLE_1)
	s_and_b32 vcc_lo, exec_lo, s1
	s_cbranch_vccz .LBB22_843
; %bb.824:
	v_cmp_gt_i16_e32 vcc_lo, 27, v4
	s_cbranch_vccnz .LBB22_827
; %bb.825:
	v_cmp_lt_i16_e32 vcc_lo, 27, v4
	s_cbranch_vccz .LBB22_828
; %bb.826:
	global_load_b32 v2, v[0:1], off
	s_mov_b32 s0, 0
	s_waitcnt vmcnt(0)
	v_cvt_f64_u32_e32 v[2:3], v2
	s_branch .LBB22_829
.LBB22_827:
	s_mov_b32 s0, -1
                                        ; implicit-def: $vgpr2_vgpr3
	s_branch .LBB22_832
.LBB22_828:
	s_mov_b32 s0, -1
                                        ; implicit-def: $vgpr2_vgpr3
.LBB22_829:
	s_delay_alu instid0(SALU_CYCLE_1)
	s_and_not1_b32 vcc_lo, exec_lo, s0
	s_cbranch_vccnz .LBB22_831
; %bb.830:
	global_load_u16 v2, v[0:1], off
	s_waitcnt vmcnt(0)
	v_cvt_f64_u32_e32 v[2:3], v2
.LBB22_831:
	s_mov_b32 s0, 0
.LBB22_832:
	s_delay_alu instid0(SALU_CYCLE_1)
	s_and_not1_b32 vcc_lo, exec_lo, s0
	s_cbranch_vccnz .LBB22_842
; %bb.833:
	global_load_u8 v5, v[0:1], off
	s_mov_b32 s24, 0
	s_mov_b32 s25, exec_lo
                                        ; implicit-def: $sgpr0_sgpr1
	s_waitcnt vmcnt(0)
	v_cmpx_lt_i16_e32 0x7f, v5
	s_xor_b32 s25, exec_lo, s25
	s_cbranch_execz .LBB22_837
; %bb.834:
	s_mov_b32 s26, -1
	s_mov_b32 s24, exec_lo
                                        ; implicit-def: $sgpr0_sgpr1
	v_cmpx_eq_u16_e32 0x80, v5
; %bb.835:
	s_mov_b32 s1, 0x7ff80000
	s_brev_b32 s0, 4
	s_xor_b32 s26, exec_lo, -1
; %bb.836:
	s_or_b32 exec_lo, exec_lo, s24
	s_delay_alu instid0(SALU_CYCLE_1)
	s_and_b32 s24, s26, exec_lo
.LBB22_837:
	s_or_saveexec_b32 s25, s25
	v_dual_mov_b32 v3, s1 :: v_dual_mov_b32 v2, s0
	s_xor_b32 exec_lo, exec_lo, s25
; %bb.838:
	v_cmp_ne_u16_e32 vcc_lo, 0, v5
	v_mov_b32_e32 v2, 0
	v_mov_b32_e32 v3, 0
	s_and_not1_b32 s0, s24, exec_lo
	s_and_b32 s1, vcc_lo, exec_lo
	s_delay_alu instid0(SALU_CYCLE_1)
	s_or_b32 s24, s0, s1
; %bb.839:
	s_or_b32 exec_lo, exec_lo, s25
	s_and_saveexec_b32 s0, s24
	s_cbranch_execz .LBB22_841
; %bb.840:
	v_and_b32_e32 v2, 0xffff, v5
	v_lshlrev_b32_e32 v5, 24, v5
	s_delay_alu instid0(VALU_DEP_2) | instskip(NEXT) | instid1(VALU_DEP_2)
	v_and_b32_e32 v3, 7, v2
	v_and_b32_e32 v5, 0x80000000, v5
	s_delay_alu instid0(VALU_DEP_2) | instskip(NEXT) | instid1(VALU_DEP_1)
	v_clz_i32_u32_e32 v6, v3
	v_min_u32_e32 v6, 32, v6
	s_delay_alu instid0(VALU_DEP_1) | instskip(SKIP_1) | instid1(VALU_DEP_2)
	v_subrev_nc_u32_e32 v7, 28, v6
	v_sub_nc_u32_e32 v6, 29, v6
	v_lshlrev_b32_e32 v7, v7, v2
	v_bfe_u32 v2, v2, 3, 4
	s_delay_alu instid0(VALU_DEP_1) | instskip(NEXT) | instid1(VALU_DEP_3)
	v_cmp_eq_u32_e32 vcc_lo, 0, v2
	v_dual_cndmask_b32 v2, v2, v6 :: v_dual_and_b32 v7, 7, v7
	s_delay_alu instid0(VALU_DEP_1) | instskip(NEXT) | instid1(VALU_DEP_2)
	v_cndmask_b32_e32 v3, v3, v7, vcc_lo
	v_lshl_add_u32 v2, v2, 23, 0x3b800000
	s_delay_alu instid0(VALU_DEP_2) | instskip(NEXT) | instid1(VALU_DEP_1)
	v_lshlrev_b32_e32 v3, 20, v3
	v_or3_b32 v2, v5, v2, v3
	s_delay_alu instid0(VALU_DEP_1)
	v_cvt_f64_f32_e32 v[2:3], v2
.LBB22_841:
	s_or_b32 exec_lo, exec_lo, s0
.LBB22_842:
	s_mov_b32 s0, -1
.LBB22_843:
	s_mov_b32 s1, 0
.LBB22_844:
	s_delay_alu instid0(SALU_CYCLE_1)
	s_and_b32 vcc_lo, exec_lo, s1
	s_cbranch_vccz .LBB22_877
; %bb.845:
	v_cmp_lt_i16_e32 vcc_lo, 22, v4
	s_cbranch_vccz .LBB22_857
; %bb.846:
	v_cmp_gt_i16_e32 vcc_lo, 24, v4
	s_cbranch_vccnz .LBB22_858
; %bb.847:
	v_cmp_lt_i16_e32 vcc_lo, 24, v4
	s_cbranch_vccz .LBB22_859
; %bb.848:
	global_load_u8 v5, v[0:1], off
	s_mov_b32 s24, 0
	s_mov_b32 s25, exec_lo
                                        ; implicit-def: $sgpr0_sgpr1
	s_waitcnt vmcnt(0)
	v_cmpx_lt_i16_e32 0x7f, v5
	s_xor_b32 s25, exec_lo, s25
	s_cbranch_execz .LBB22_852
; %bb.849:
	s_mov_b32 s26, -1
	s_mov_b32 s24, exec_lo
                                        ; implicit-def: $sgpr0_sgpr1
	v_cmpx_eq_u16_e32 0x80, v5
; %bb.850:
	s_mov_b32 s1, 0x7ff80000
	s_brev_b32 s0, 4
	s_xor_b32 s26, exec_lo, -1
; %bb.851:
	s_or_b32 exec_lo, exec_lo, s24
	s_delay_alu instid0(SALU_CYCLE_1)
	s_and_b32 s24, s26, exec_lo
.LBB22_852:
	s_or_saveexec_b32 s25, s25
	v_dual_mov_b32 v3, s1 :: v_dual_mov_b32 v2, s0
	s_xor_b32 exec_lo, exec_lo, s25
; %bb.853:
	v_cmp_ne_u16_e32 vcc_lo, 0, v5
	v_mov_b32_e32 v2, 0
	v_mov_b32_e32 v3, 0
	s_and_not1_b32 s0, s24, exec_lo
	s_and_b32 s1, vcc_lo, exec_lo
	s_delay_alu instid0(SALU_CYCLE_1)
	s_or_b32 s24, s0, s1
; %bb.854:
	s_or_b32 exec_lo, exec_lo, s25
	s_and_saveexec_b32 s0, s24
	s_cbranch_execz .LBB22_856
; %bb.855:
	v_and_b32_e32 v2, 0xffff, v5
	v_lshlrev_b32_e32 v5, 24, v5
	s_delay_alu instid0(VALU_DEP_2) | instskip(NEXT) | instid1(VALU_DEP_2)
	v_and_b32_e32 v3, 3, v2
	v_and_b32_e32 v5, 0x80000000, v5
	s_delay_alu instid0(VALU_DEP_2) | instskip(NEXT) | instid1(VALU_DEP_1)
	v_clz_i32_u32_e32 v6, v3
	v_min_u32_e32 v6, 32, v6
	s_delay_alu instid0(VALU_DEP_1) | instskip(SKIP_1) | instid1(VALU_DEP_2)
	v_subrev_nc_u32_e32 v7, 29, v6
	v_sub_nc_u32_e32 v6, 30, v6
	v_lshlrev_b32_e32 v7, v7, v2
	v_bfe_u32 v2, v2, 2, 5
	s_delay_alu instid0(VALU_DEP_1) | instskip(NEXT) | instid1(VALU_DEP_3)
	v_cmp_eq_u32_e32 vcc_lo, 0, v2
	v_dual_cndmask_b32 v2, v2, v6 :: v_dual_and_b32 v7, 3, v7
	s_delay_alu instid0(VALU_DEP_1) | instskip(NEXT) | instid1(VALU_DEP_2)
	v_cndmask_b32_e32 v3, v3, v7, vcc_lo
	v_lshl_add_u32 v2, v2, 23, 0x37800000
	s_delay_alu instid0(VALU_DEP_2) | instskip(NEXT) | instid1(VALU_DEP_1)
	v_lshlrev_b32_e32 v3, 21, v3
	v_or3_b32 v2, v5, v2, v3
	s_delay_alu instid0(VALU_DEP_1)
	v_cvt_f64_f32_e32 v[2:3], v2
.LBB22_856:
	s_or_b32 exec_lo, exec_lo, s0
	s_mov_b32 s0, 0
	s_branch .LBB22_860
.LBB22_857:
	s_mov_b32 s1, -1
                                        ; implicit-def: $vgpr2_vgpr3
	s_branch .LBB22_866
.LBB22_858:
	s_mov_b32 s0, -1
                                        ; implicit-def: $vgpr2_vgpr3
	s_branch .LBB22_863
.LBB22_859:
	s_mov_b32 s0, -1
                                        ; implicit-def: $vgpr2_vgpr3
.LBB22_860:
	s_delay_alu instid0(SALU_CYCLE_1)
	s_and_b32 vcc_lo, exec_lo, s0
	s_cbranch_vccz .LBB22_862
; %bb.861:
	global_load_u8 v2, v[0:1], off
	s_waitcnt vmcnt(0)
	v_lshlrev_b32_e32 v2, 24, v2
	s_delay_alu instid0(VALU_DEP_1) | instskip(NEXT) | instid1(VALU_DEP_1)
	v_and_b32_e32 v3, 0x7f000000, v2
	v_clz_i32_u32_e32 v5, v3
	v_add_nc_u32_e32 v7, 0x1000000, v3
	v_cmp_ne_u32_e32 vcc_lo, 0, v3
	s_delay_alu instid0(VALU_DEP_3) | instskip(NEXT) | instid1(VALU_DEP_1)
	v_min_u32_e32 v5, 32, v5
	v_sub_nc_u32_e64 v5, v5, 4 clamp
	s_delay_alu instid0(VALU_DEP_1) | instskip(SKIP_1) | instid1(VALU_DEP_2)
	v_lshlrev_b32_e32 v6, v5, v3
	v_lshlrev_b32_e32 v5, 23, v5
	v_lshrrev_b32_e32 v6, 4, v6
	s_delay_alu instid0(VALU_DEP_1) | instskip(SKIP_1) | instid1(VALU_DEP_2)
	v_sub_nc_u32_e32 v5, v6, v5
	v_ashrrev_i32_e32 v6, 8, v7
	v_add_nc_u32_e32 v5, 0x3c000000, v5
	s_delay_alu instid0(VALU_DEP_1) | instskip(NEXT) | instid1(VALU_DEP_1)
	v_and_or_b32 v5, 0x7f800000, v6, v5
	v_cndmask_b32_e32 v3, 0, v5, vcc_lo
	s_delay_alu instid0(VALU_DEP_1) | instskip(NEXT) | instid1(VALU_DEP_1)
	v_and_or_b32 v2, 0x80000000, v2, v3
	v_cvt_f64_f32_e32 v[2:3], v2
.LBB22_862:
	s_mov_b32 s0, 0
.LBB22_863:
	s_delay_alu instid0(SALU_CYCLE_1)
	s_and_not1_b32 vcc_lo, exec_lo, s0
	s_cbranch_vccnz .LBB22_865
; %bb.864:
	global_load_u8 v2, v[0:1], off
	s_waitcnt vmcnt(0)
	v_lshlrev_b32_e32 v3, 25, v2
	v_lshlrev_b16 v2, 8, v2
	s_delay_alu instid0(VALU_DEP_2) | instskip(NEXT) | instid1(VALU_DEP_2)
	v_lshrrev_b32_e32 v5, 4, v3
	v_and_or_b32 v6, 0x7f00, v2, 0.5
	v_cmp_gt_u32_e32 vcc_lo, 0x8000000, v3
	v_bfe_i32 v2, v2, 0, 16
	s_delay_alu instid0(VALU_DEP_4) | instskip(NEXT) | instid1(VALU_DEP_1)
	v_or_b32_e32 v5, 0x70000000, v5
	v_dual_add_f32 v6, -0.5, v6 :: v_dual_mul_f32 v5, 0x7800000, v5
	s_delay_alu instid0(VALU_DEP_1) | instskip(NEXT) | instid1(VALU_DEP_1)
	v_cndmask_b32_e32 v3, v5, v6, vcc_lo
	v_and_or_b32 v2, 0x80000000, v2, v3
	s_delay_alu instid0(VALU_DEP_1)
	v_cvt_f64_f32_e32 v[2:3], v2
.LBB22_865:
	s_mov_b32 s1, 0
	s_mov_b32 s0, -1
.LBB22_866:
	s_and_not1_b32 vcc_lo, exec_lo, s1
	s_cbranch_vccnz .LBB22_877
; %bb.867:
	v_cmp_lt_i16_e32 vcc_lo, 14, v4
	s_cbranch_vccz .LBB22_870
; %bb.868:
	v_cmp_eq_u16_e32 vcc_lo, 15, v4
	s_cbranch_vccz .LBB22_871
; %bb.869:
	global_load_u16 v2, v[0:1], off
	s_mov_b32 s0, -1
	s_mov_b32 s23, 0
	s_waitcnt vmcnt(0)
	v_lshlrev_b32_e32 v2, 16, v2
	s_delay_alu instid0(VALU_DEP_1)
	v_cvt_f64_f32_e32 v[2:3], v2
	s_branch .LBB22_872
.LBB22_870:
	s_mov_b32 s1, -1
                                        ; implicit-def: $vgpr2_vgpr3
	s_branch .LBB22_873
.LBB22_871:
	s_mov_b32 s23, -1
                                        ; implicit-def: $vgpr2_vgpr3
.LBB22_872:
	s_mov_b32 s1, 0
.LBB22_873:
	s_delay_alu instid0(SALU_CYCLE_1)
	s_and_b32 vcc_lo, exec_lo, s1
	s_cbranch_vccz .LBB22_877
; %bb.874:
	v_cmp_eq_u16_e32 vcc_lo, 11, v4
	s_cbranch_vccz .LBB22_876
; %bb.875:
	global_load_u8 v2, v[0:1], off
	s_mov_b32 s23, 0
	s_mov_b32 s0, -1
	s_waitcnt vmcnt(0)
	v_cmp_ne_u16_e32 vcc_lo, 0, v2
	v_mov_b32_e32 v2, 0
	v_cndmask_b32_e64 v3, 0, 0x3ff00000, vcc_lo
	s_branch .LBB22_877
.LBB22_876:
	s_mov_b32 s23, -1
                                        ; implicit-def: $vgpr2_vgpr3
.LBB22_877:
	s_mov_b32 s1, 0
.LBB22_878:
	s_delay_alu instid0(SALU_CYCLE_1)
	s_and_b32 vcc_lo, exec_lo, s1
	s_cbranch_vccz .LBB22_927
; %bb.879:
	v_cmp_gt_i16_e32 vcc_lo, 5, v4
	s_cbranch_vccnz .LBB22_884
; %bb.880:
	v_cmp_gt_i16_e32 vcc_lo, 8, v4
	s_cbranch_vccnz .LBB22_885
	;; [unrolled: 3-line block ×3, first 2 shown]
; %bb.882:
	v_cmp_lt_i16_e32 vcc_lo, 9, v4
	s_cbranch_vccz .LBB22_887
; %bb.883:
	global_load_b64 v[2:3], v[0:1], off
	s_mov_b32 s0, 0
	s_branch .LBB22_888
.LBB22_884:
	s_mov_b32 s0, -1
                                        ; implicit-def: $vgpr2_vgpr3
	s_branch .LBB22_906
.LBB22_885:
	s_mov_b32 s0, -1
                                        ; implicit-def: $vgpr2_vgpr3
	s_branch .LBB22_894
.LBB22_886:
	s_mov_b32 s0, -1
                                        ; implicit-def: $vgpr2_vgpr3
	s_branch .LBB22_891
.LBB22_887:
	s_mov_b32 s0, -1
                                        ; implicit-def: $vgpr2_vgpr3
.LBB22_888:
	s_delay_alu instid0(SALU_CYCLE_1)
	s_and_not1_b32 vcc_lo, exec_lo, s0
	s_cbranch_vccnz .LBB22_890
; %bb.889:
	global_load_b32 v2, v[0:1], off
	s_waitcnt vmcnt(0)
	v_cvt_f64_f32_e32 v[2:3], v2
.LBB22_890:
	s_mov_b32 s0, 0
.LBB22_891:
	s_delay_alu instid0(SALU_CYCLE_1)
	s_and_not1_b32 vcc_lo, exec_lo, s0
	s_cbranch_vccnz .LBB22_893
; %bb.892:
	global_load_b32 v2, v[0:1], off
	s_waitcnt vmcnt(0)
	v_cvt_f32_f16_e32 v2, v2
	s_delay_alu instid0(VALU_DEP_1)
	v_cvt_f64_f32_e32 v[2:3], v2
.LBB22_893:
	s_mov_b32 s0, 0
.LBB22_894:
	s_delay_alu instid0(SALU_CYCLE_1)
	s_and_not1_b32 vcc_lo, exec_lo, s0
	s_cbranch_vccnz .LBB22_905
; %bb.895:
	v_cmp_gt_i16_e32 vcc_lo, 6, v4
	s_cbranch_vccnz .LBB22_898
; %bb.896:
	v_cmp_lt_i16_e32 vcc_lo, 6, v4
	s_cbranch_vccz .LBB22_899
; %bb.897:
	global_load_b64 v[2:3], v[0:1], off
	s_mov_b32 s0, 0
	s_branch .LBB22_900
.LBB22_898:
	s_mov_b32 s0, -1
                                        ; implicit-def: $vgpr2_vgpr3
	s_branch .LBB22_903
.LBB22_899:
	s_mov_b32 s0, -1
                                        ; implicit-def: $vgpr2_vgpr3
.LBB22_900:
	s_delay_alu instid0(SALU_CYCLE_1)
	s_and_not1_b32 vcc_lo, exec_lo, s0
	s_cbranch_vccnz .LBB22_902
; %bb.901:
	global_load_b32 v2, v[0:1], off
	s_waitcnt vmcnt(0)
	v_cvt_f64_f32_e32 v[2:3], v2
.LBB22_902:
	s_mov_b32 s0, 0
.LBB22_903:
	s_delay_alu instid0(SALU_CYCLE_1)
	s_and_not1_b32 vcc_lo, exec_lo, s0
	s_cbranch_vccnz .LBB22_905
; %bb.904:
	global_load_u16 v2, v[0:1], off
	s_waitcnt vmcnt(0)
	v_cvt_f32_f16_e32 v2, v2
	s_delay_alu instid0(VALU_DEP_1)
	v_cvt_f64_f32_e32 v[2:3], v2
.LBB22_905:
	s_mov_b32 s0, 0
.LBB22_906:
	s_delay_alu instid0(SALU_CYCLE_1)
	s_and_not1_b32 vcc_lo, exec_lo, s0
	s_cbranch_vccnz .LBB22_926
; %bb.907:
	v_cmp_gt_i16_e32 vcc_lo, 2, v4
	s_cbranch_vccnz .LBB22_911
; %bb.908:
	v_cmp_gt_i16_e32 vcc_lo, 3, v4
	s_cbranch_vccnz .LBB22_912
; %bb.909:
	v_cmp_lt_i16_e32 vcc_lo, 3, v4
	s_cbranch_vccz .LBB22_913
; %bb.910:
	global_load_b64 v[2:3], v[0:1], off
	s_mov_b32 s0, 0
	s_waitcnt vmcnt(0)
	v_cvt_f64_i32_e32 v[5:6], v3
	v_cvt_f64_u32_e32 v[2:3], v2
	s_delay_alu instid0(VALU_DEP_2) | instskip(NEXT) | instid1(VALU_DEP_1)
	v_ldexp_f64 v[5:6], v[5:6], 32
	v_add_f64 v[2:3], v[5:6], v[2:3]
	s_branch .LBB22_914
.LBB22_911:
	s_mov_b32 s0, -1
                                        ; implicit-def: $vgpr2_vgpr3
	s_branch .LBB22_920
.LBB22_912:
	s_mov_b32 s0, -1
                                        ; implicit-def: $vgpr2_vgpr3
	s_branch .LBB22_917
.LBB22_913:
	s_mov_b32 s0, -1
                                        ; implicit-def: $vgpr2_vgpr3
.LBB22_914:
	s_delay_alu instid0(SALU_CYCLE_1)
	s_and_not1_b32 vcc_lo, exec_lo, s0
	s_cbranch_vccnz .LBB22_916
; %bb.915:
	global_load_b32 v2, v[0:1], off
	s_waitcnt vmcnt(0)
	v_cvt_f64_i32_e32 v[2:3], v2
.LBB22_916:
	s_mov_b32 s0, 0
.LBB22_917:
	s_delay_alu instid0(SALU_CYCLE_1)
	s_and_not1_b32 vcc_lo, exec_lo, s0
	s_cbranch_vccnz .LBB22_919
; %bb.918:
	global_load_i16 v2, v[0:1], off
	s_waitcnt vmcnt(0)
	v_cvt_f64_i32_e32 v[2:3], v2
.LBB22_919:
	s_mov_b32 s0, 0
.LBB22_920:
	s_delay_alu instid0(SALU_CYCLE_1)
	s_and_not1_b32 vcc_lo, exec_lo, s0
	s_cbranch_vccnz .LBB22_926
; %bb.921:
	v_cmp_lt_i16_e32 vcc_lo, 0, v4
	s_mov_b32 s0, 0
	s_cbranch_vccz .LBB22_923
; %bb.922:
	global_load_i8 v2, v[0:1], off
	s_waitcnt vmcnt(0)
	v_cvt_f64_i32_e32 v[2:3], v2
	s_branch .LBB22_924
.LBB22_923:
	s_mov_b32 s0, -1
                                        ; implicit-def: $vgpr2_vgpr3
.LBB22_924:
	s_delay_alu instid0(SALU_CYCLE_1)
	s_and_not1_b32 vcc_lo, exec_lo, s0
	s_cbranch_vccnz .LBB22_926
; %bb.925:
	global_load_u8 v0, v[0:1], off
	s_waitcnt vmcnt(0)
	v_cvt_f64_u32_e32 v[2:3], v0
.LBB22_926:
	s_mov_b32 s0, -1
.LBB22_927:
	s_delay_alu instid0(SALU_CYCLE_1)
	s_and_not1_b32 vcc_lo, exec_lo, s0
	s_cbranch_vccnz .LBB22_935
; %bb.928:
	v_mul_lo_u32 v0, v15, s10
	v_and_b32_e32 v6, 0xff, v8
	s_delay_alu instid0(VALU_DEP_1) | instskip(NEXT) | instid1(VALU_DEP_3)
	v_cmp_gt_i16_e32 vcc_lo, 11, v6
	v_ashrrev_i32_e32 v1, 31, v0
	v_add_co_u32 v0, s0, s2, v0
	s_delay_alu instid0(VALU_DEP_1)
	v_add_co_ci_u32_e64 v1, s0, s3, v1, s0
	s_cbranch_vccnz .LBB22_936
; %bb.929:
	v_cmp_lt_i16_e32 vcc_lo, 25, v6
	s_cbranch_vccz .LBB22_937
; %bb.930:
	v_cmp_lt_i16_e32 vcc_lo, 28, v6
	s_cbranch_vccz .LBB22_938
	;; [unrolled: 3-line block ×4, first 2 shown]
; %bb.933:
	v_cmp_eq_u16_e32 vcc_lo, 46, v6
	s_mov_b32 s1, 0
	s_cbranch_vccz .LBB22_943
; %bb.934:
	global_load_b32 v4, v[0:1], off
	s_mov_b32 s0, -1
	s_mov_b32 s24, 0
	s_waitcnt vmcnt(0)
	v_lshlrev_b32_e32 v4, 16, v4
	s_delay_alu instid0(VALU_DEP_1)
	v_cvt_f64_f32_e32 v[4:5], v4
	s_branch .LBB22_945
.LBB22_935:
	s_mov_b32 s1, 0
	s_mov_b32 s0, s19
	;; [unrolled: 1-line block ×3, first 2 shown]
	s_branch .LBB22_1196
.LBB22_936:
	s_mov_b32 s1, -1
	s_mov_b32 s0, 0
	s_mov_b32 s24, s20
                                        ; implicit-def: $vgpr4_vgpr5
	s_branch .LBB22_1010
.LBB22_937:
	s_mov_b32 s1, -1
	s_mov_b32 s0, 0
	s_mov_b32 s24, s20
                                        ; implicit-def: $vgpr4_vgpr5
	s_branch .LBB22_976
.LBB22_938:
	s_mov_b32 s1, -1
	s_mov_b32 s0, 0
	s_mov_b32 s24, s20
                                        ; implicit-def: $vgpr4_vgpr5
	s_branch .LBB22_955
.LBB22_939:
	s_mov_b32 s1, -1
	s_mov_b32 s0, 0
	s_mov_b32 s24, s20
                                        ; implicit-def: $vgpr4_vgpr5
	s_branch .LBB22_950
.LBB22_940:
	s_mov_b32 s1, -1
	s_mov_b32 s0, 0
	s_mov_b32 s24, s20
	s_branch .LBB22_944
.LBB22_941:
	s_or_saveexec_b32 s22, s22
                                        ; implicit-def: $sgpr23
	s_delay_alu instid0(SALU_CYCLE_1)
	s_xor_b32 exec_lo, exec_lo, s22
	s_cbranch_execz .LBB22_716
.LBB22_942:
	v_add_f32_e64 v3, 0x42800000, |v2|
	s_and_not1_b32 s19, s19, exec_lo
	s_mov_b32 s23, 0
	s_delay_alu instid0(VALU_DEP_1) | instskip(NEXT) | instid1(VALU_DEP_1)
	v_and_b32_e32 v3, 0xff, v3
	v_cmp_ne_u32_e32 vcc_lo, 0, v3
	s_and_b32 s24, vcc_lo, exec_lo
	s_delay_alu instid0(SALU_CYCLE_1)
	s_or_b32 s19, s19, s24
	s_or_b32 exec_lo, exec_lo, s22
	v_mov_b32_e32 v7, s23
	s_and_saveexec_b32 s22, s19
	s_cbranch_execnz .LBB22_717
	s_branch .LBB22_718
.LBB22_943:
	s_mov_b32 s24, -1
	s_mov_b32 s0, 0
.LBB22_944:
                                        ; implicit-def: $vgpr4_vgpr5
.LBB22_945:
	s_and_b32 vcc_lo, exec_lo, s1
	s_cbranch_vccz .LBB22_949
; %bb.946:
	v_cmp_eq_u16_e32 vcc_lo, 44, v6
	s_cbranch_vccz .LBB22_948
; %bb.947:
	global_load_u8 v7, v[0:1], off
	s_mov_b32 s24, 0
	s_mov_b32 s0, -1
	s_waitcnt vmcnt(0)
	v_cmp_ne_u32_e32 vcc_lo, 0xff, v7
	v_lshlrev_b32_e32 v4, 23, v7
	s_delay_alu instid0(VALU_DEP_1) | instskip(NEXT) | instid1(VALU_DEP_1)
	v_cvt_f64_f32_e32 v[4:5], v4
	v_cndmask_b32_e32 v5, 0x7ff80000, v5, vcc_lo
	s_delay_alu instid0(VALU_DEP_2) | instskip(SKIP_1) | instid1(VALU_DEP_3)
	v_cndmask_b32_e32 v4, 0x20000000, v4, vcc_lo
	v_cmp_ne_u32_e32 vcc_lo, 0, v7
	v_cndmask_b32_e32 v5, 0x38000000, v5, vcc_lo
	s_delay_alu instid0(VALU_DEP_3)
	v_cndmask_b32_e32 v4, 0, v4, vcc_lo
	s_branch .LBB22_949
.LBB22_948:
	s_mov_b32 s24, -1
                                        ; implicit-def: $vgpr4_vgpr5
.LBB22_949:
	s_mov_b32 s1, 0
.LBB22_950:
	s_delay_alu instid0(SALU_CYCLE_1)
	s_and_b32 vcc_lo, exec_lo, s1
	s_cbranch_vccz .LBB22_954
; %bb.951:
	v_cmp_eq_u16_e32 vcc_lo, 29, v6
	s_cbranch_vccz .LBB22_953
; %bb.952:
	global_load_b64 v[4:5], v[0:1], off
	s_mov_b32 s0, -1
	s_mov_b32 s24, 0
	s_mov_b32 s1, 0
	s_waitcnt vmcnt(0)
	v_cvt_f64_u32_e32 v[10:11], v5
	v_cvt_f64_u32_e32 v[4:5], v4
	s_delay_alu instid0(VALU_DEP_2) | instskip(NEXT) | instid1(VALU_DEP_1)
	v_ldexp_f64 v[10:11], v[10:11], 32
	v_add_f64 v[4:5], v[10:11], v[4:5]
	s_branch .LBB22_955
.LBB22_953:
	s_mov_b32 s24, -1
                                        ; implicit-def: $vgpr4_vgpr5
.LBB22_954:
	s_mov_b32 s1, 0
.LBB22_955:
	s_delay_alu instid0(SALU_CYCLE_1)
	s_and_b32 vcc_lo, exec_lo, s1
	s_cbranch_vccz .LBB22_975
; %bb.956:
	v_cmp_gt_i16_e32 vcc_lo, 27, v6
	s_cbranch_vccnz .LBB22_959
; %bb.957:
	v_cmp_lt_i16_e32 vcc_lo, 27, v6
	s_cbranch_vccz .LBB22_960
; %bb.958:
	global_load_b32 v4, v[0:1], off
	s_mov_b32 s0, 0
	s_waitcnt vmcnt(0)
	v_cvt_f64_u32_e32 v[4:5], v4
	s_branch .LBB22_961
.LBB22_959:
	s_mov_b32 s0, -1
                                        ; implicit-def: $vgpr4_vgpr5
	s_branch .LBB22_964
.LBB22_960:
	s_mov_b32 s0, -1
                                        ; implicit-def: $vgpr4_vgpr5
.LBB22_961:
	s_delay_alu instid0(SALU_CYCLE_1)
	s_and_not1_b32 vcc_lo, exec_lo, s0
	s_cbranch_vccnz .LBB22_963
; %bb.962:
	global_load_u16 v4, v[0:1], off
	s_waitcnt vmcnt(0)
	v_cvt_f64_u32_e32 v[4:5], v4
.LBB22_963:
	s_mov_b32 s0, 0
.LBB22_964:
	s_delay_alu instid0(SALU_CYCLE_1)
	s_and_not1_b32 vcc_lo, exec_lo, s0
	s_cbranch_vccnz .LBB22_974
; %bb.965:
	global_load_u8 v7, v[0:1], off
	s_mov_b32 s25, 0
	s_mov_b32 s26, exec_lo
                                        ; implicit-def: $sgpr0_sgpr1
	s_waitcnt vmcnt(0)
	v_cmpx_lt_i16_e32 0x7f, v7
	s_xor_b32 s26, exec_lo, s26
	s_cbranch_execz .LBB22_969
; %bb.966:
	s_mov_b32 s25, exec_lo
                                        ; implicit-def: $sgpr0_sgpr1
	v_cmpx_eq_u16_e32 0x80, v7
; %bb.967:
	s_mov_b32 s1, 0x7ff80000
	s_brev_b32 s0, 4
	s_xor_b32 s27, exec_lo, -1
; %bb.968:
	s_or_b32 exec_lo, exec_lo, s25
	s_delay_alu instid0(SALU_CYCLE_1)
	s_and_b32 s25, s27, exec_lo
.LBB22_969:
	s_or_saveexec_b32 s26, s26
	v_dual_mov_b32 v5, s1 :: v_dual_mov_b32 v4, s0
	s_xor_b32 exec_lo, exec_lo, s26
; %bb.970:
	v_cmp_ne_u16_e32 vcc_lo, 0, v7
	v_mov_b32_e32 v4, 0
	v_mov_b32_e32 v5, 0
	s_and_not1_b32 s0, s25, exec_lo
	s_and_b32 s1, vcc_lo, exec_lo
	s_delay_alu instid0(SALU_CYCLE_1)
	s_or_b32 s25, s0, s1
; %bb.971:
	s_or_b32 exec_lo, exec_lo, s26
	s_and_saveexec_b32 s0, s25
	s_cbranch_execz .LBB22_973
; %bb.972:
	v_and_b32_e32 v4, 0xffff, v7
	v_lshlrev_b32_e32 v7, 24, v7
	s_delay_alu instid0(VALU_DEP_2) | instskip(NEXT) | instid1(VALU_DEP_2)
	v_and_b32_e32 v5, 7, v4
	v_and_b32_e32 v7, 0x80000000, v7
	s_delay_alu instid0(VALU_DEP_2) | instskip(NEXT) | instid1(VALU_DEP_1)
	v_clz_i32_u32_e32 v10, v5
	v_min_u32_e32 v10, 32, v10
	s_delay_alu instid0(VALU_DEP_1) | instskip(SKIP_1) | instid1(VALU_DEP_2)
	v_subrev_nc_u32_e32 v11, 28, v10
	v_sub_nc_u32_e32 v10, 29, v10
	v_lshlrev_b32_e32 v11, v11, v4
	v_bfe_u32 v4, v4, 3, 4
	s_delay_alu instid0(VALU_DEP_2) | instskip(NEXT) | instid1(VALU_DEP_2)
	v_and_b32_e32 v11, 7, v11
	v_cmp_eq_u32_e32 vcc_lo, 0, v4
	s_delay_alu instid0(VALU_DEP_2) | instskip(NEXT) | instid1(VALU_DEP_1)
	v_dual_cndmask_b32 v4, v4, v10 :: v_dual_cndmask_b32 v5, v5, v11
	v_lshl_add_u32 v4, v4, 23, 0x3b800000
	s_delay_alu instid0(VALU_DEP_2) | instskip(NEXT) | instid1(VALU_DEP_1)
	v_lshlrev_b32_e32 v5, 20, v5
	v_or3_b32 v4, v7, v4, v5
	s_delay_alu instid0(VALU_DEP_1)
	v_cvt_f64_f32_e32 v[4:5], v4
.LBB22_973:
	s_or_b32 exec_lo, exec_lo, s0
.LBB22_974:
	s_mov_b32 s0, -1
.LBB22_975:
	s_mov_b32 s1, 0
.LBB22_976:
	s_delay_alu instid0(SALU_CYCLE_1)
	s_and_b32 vcc_lo, exec_lo, s1
	s_cbranch_vccz .LBB22_1009
; %bb.977:
	v_cmp_lt_i16_e32 vcc_lo, 22, v6
	s_cbranch_vccz .LBB22_989
; %bb.978:
	v_cmp_gt_i16_e32 vcc_lo, 24, v6
	s_cbranch_vccnz .LBB22_990
; %bb.979:
	v_cmp_lt_i16_e32 vcc_lo, 24, v6
	s_cbranch_vccz .LBB22_991
; %bb.980:
	global_load_u8 v7, v[0:1], off
	s_mov_b32 s25, 0
	s_mov_b32 s26, exec_lo
                                        ; implicit-def: $sgpr0_sgpr1
	s_waitcnt vmcnt(0)
	v_cmpx_lt_i16_e32 0x7f, v7
	s_xor_b32 s26, exec_lo, s26
	s_cbranch_execz .LBB22_984
; %bb.981:
	s_mov_b32 s27, -1
	s_mov_b32 s25, exec_lo
                                        ; implicit-def: $sgpr0_sgpr1
	v_cmpx_eq_u16_e32 0x80, v7
; %bb.982:
	s_mov_b32 s1, 0x7ff80000
	s_brev_b32 s0, 4
	s_xor_b32 s27, exec_lo, -1
; %bb.983:
	s_or_b32 exec_lo, exec_lo, s25
	s_delay_alu instid0(SALU_CYCLE_1)
	s_and_b32 s25, s27, exec_lo
.LBB22_984:
	s_or_saveexec_b32 s26, s26
	v_dual_mov_b32 v5, s1 :: v_dual_mov_b32 v4, s0
	s_xor_b32 exec_lo, exec_lo, s26
; %bb.985:
	v_cmp_ne_u16_e32 vcc_lo, 0, v7
	v_mov_b32_e32 v4, 0
	v_mov_b32_e32 v5, 0
	s_and_not1_b32 s0, s25, exec_lo
	s_and_b32 s1, vcc_lo, exec_lo
	s_delay_alu instid0(SALU_CYCLE_1)
	s_or_b32 s25, s0, s1
; %bb.986:
	s_or_b32 exec_lo, exec_lo, s26
	s_and_saveexec_b32 s0, s25
	s_cbranch_execz .LBB22_988
; %bb.987:
	v_and_b32_e32 v4, 0xffff, v7
	v_lshlrev_b32_e32 v7, 24, v7
	s_delay_alu instid0(VALU_DEP_2) | instskip(NEXT) | instid1(VALU_DEP_2)
	v_and_b32_e32 v5, 3, v4
	v_and_b32_e32 v7, 0x80000000, v7
	s_delay_alu instid0(VALU_DEP_2) | instskip(NEXT) | instid1(VALU_DEP_1)
	v_clz_i32_u32_e32 v10, v5
	v_min_u32_e32 v10, 32, v10
	s_delay_alu instid0(VALU_DEP_1) | instskip(SKIP_1) | instid1(VALU_DEP_2)
	v_subrev_nc_u32_e32 v11, 29, v10
	v_sub_nc_u32_e32 v10, 30, v10
	v_lshlrev_b32_e32 v11, v11, v4
	v_bfe_u32 v4, v4, 2, 5
	s_delay_alu instid0(VALU_DEP_2) | instskip(NEXT) | instid1(VALU_DEP_2)
	v_and_b32_e32 v11, 3, v11
	v_cmp_eq_u32_e32 vcc_lo, 0, v4
	s_delay_alu instid0(VALU_DEP_2) | instskip(NEXT) | instid1(VALU_DEP_1)
	v_dual_cndmask_b32 v4, v4, v10 :: v_dual_cndmask_b32 v5, v5, v11
	v_lshl_add_u32 v4, v4, 23, 0x37800000
	s_delay_alu instid0(VALU_DEP_2) | instskip(NEXT) | instid1(VALU_DEP_1)
	v_lshlrev_b32_e32 v5, 21, v5
	v_or3_b32 v4, v7, v4, v5
	s_delay_alu instid0(VALU_DEP_1)
	v_cvt_f64_f32_e32 v[4:5], v4
.LBB22_988:
	s_or_b32 exec_lo, exec_lo, s0
	s_mov_b32 s0, 0
	s_branch .LBB22_992
.LBB22_989:
	s_mov_b32 s1, -1
                                        ; implicit-def: $vgpr4_vgpr5
	s_branch .LBB22_998
.LBB22_990:
	s_mov_b32 s0, -1
                                        ; implicit-def: $vgpr4_vgpr5
	s_branch .LBB22_995
.LBB22_991:
	s_mov_b32 s0, -1
                                        ; implicit-def: $vgpr4_vgpr5
.LBB22_992:
	s_delay_alu instid0(SALU_CYCLE_1)
	s_and_b32 vcc_lo, exec_lo, s0
	s_cbranch_vccz .LBB22_994
; %bb.993:
	global_load_u8 v4, v[0:1], off
	s_waitcnt vmcnt(0)
	v_lshlrev_b32_e32 v4, 24, v4
	s_delay_alu instid0(VALU_DEP_1) | instskip(NEXT) | instid1(VALU_DEP_1)
	v_and_b32_e32 v5, 0x7f000000, v4
	v_clz_i32_u32_e32 v7, v5
	v_add_nc_u32_e32 v11, 0x1000000, v5
	v_cmp_ne_u32_e32 vcc_lo, 0, v5
	s_delay_alu instid0(VALU_DEP_3) | instskip(NEXT) | instid1(VALU_DEP_1)
	v_min_u32_e32 v7, 32, v7
	v_sub_nc_u32_e64 v7, v7, 4 clamp
	s_delay_alu instid0(VALU_DEP_1) | instskip(SKIP_1) | instid1(VALU_DEP_2)
	v_lshlrev_b32_e32 v10, v7, v5
	v_lshlrev_b32_e32 v7, 23, v7
	v_lshrrev_b32_e32 v10, 4, v10
	s_delay_alu instid0(VALU_DEP_1) | instskip(SKIP_1) | instid1(VALU_DEP_2)
	v_sub_nc_u32_e32 v7, v10, v7
	v_ashrrev_i32_e32 v10, 8, v11
	v_add_nc_u32_e32 v7, 0x3c000000, v7
	s_delay_alu instid0(VALU_DEP_1) | instskip(NEXT) | instid1(VALU_DEP_1)
	v_and_or_b32 v7, 0x7f800000, v10, v7
	v_cndmask_b32_e32 v5, 0, v7, vcc_lo
	s_delay_alu instid0(VALU_DEP_1) | instskip(NEXT) | instid1(VALU_DEP_1)
	v_and_or_b32 v4, 0x80000000, v4, v5
	v_cvt_f64_f32_e32 v[4:5], v4
.LBB22_994:
	s_mov_b32 s0, 0
.LBB22_995:
	s_delay_alu instid0(SALU_CYCLE_1)
	s_and_not1_b32 vcc_lo, exec_lo, s0
	s_cbranch_vccnz .LBB22_997
; %bb.996:
	global_load_u8 v4, v[0:1], off
	s_waitcnt vmcnt(0)
	v_lshlrev_b32_e32 v5, 25, v4
	v_lshlrev_b16 v4, 8, v4
	s_delay_alu instid0(VALU_DEP_1) | instskip(SKIP_1) | instid1(VALU_DEP_2)
	v_and_or_b32 v10, 0x7f00, v4, 0.5
	v_bfe_i32 v4, v4, 0, 16
	v_add_f32_e32 v10, -0.5, v10
	v_lshrrev_b32_e32 v7, 4, v5
	v_cmp_gt_u32_e32 vcc_lo, 0x8000000, v5
	s_delay_alu instid0(VALU_DEP_2) | instskip(NEXT) | instid1(VALU_DEP_1)
	v_or_b32_e32 v7, 0x70000000, v7
	v_mul_f32_e32 v7, 0x7800000, v7
	s_delay_alu instid0(VALU_DEP_1) | instskip(NEXT) | instid1(VALU_DEP_1)
	v_cndmask_b32_e32 v5, v7, v10, vcc_lo
	v_and_or_b32 v4, 0x80000000, v4, v5
	s_delay_alu instid0(VALU_DEP_1)
	v_cvt_f64_f32_e32 v[4:5], v4
.LBB22_997:
	s_mov_b32 s1, 0
	s_mov_b32 s0, -1
.LBB22_998:
	s_and_not1_b32 vcc_lo, exec_lo, s1
	s_cbranch_vccnz .LBB22_1009
; %bb.999:
	v_cmp_lt_i16_e32 vcc_lo, 14, v6
	s_cbranch_vccz .LBB22_1002
; %bb.1000:
	v_cmp_eq_u16_e32 vcc_lo, 15, v6
	s_cbranch_vccz .LBB22_1003
; %bb.1001:
	global_load_u16 v4, v[0:1], off
	s_mov_b32 s0, -1
	s_mov_b32 s24, 0
	s_waitcnt vmcnt(0)
	v_lshlrev_b32_e32 v4, 16, v4
	s_delay_alu instid0(VALU_DEP_1)
	v_cvt_f64_f32_e32 v[4:5], v4
	s_branch .LBB22_1004
.LBB22_1002:
	s_mov_b32 s1, -1
                                        ; implicit-def: $vgpr4_vgpr5
	s_branch .LBB22_1005
.LBB22_1003:
	s_mov_b32 s24, -1
                                        ; implicit-def: $vgpr4_vgpr5
.LBB22_1004:
	s_mov_b32 s1, 0
.LBB22_1005:
	s_delay_alu instid0(SALU_CYCLE_1)
	s_and_b32 vcc_lo, exec_lo, s1
	s_cbranch_vccz .LBB22_1009
; %bb.1006:
	v_cmp_eq_u16_e32 vcc_lo, 11, v6
	s_cbranch_vccz .LBB22_1008
; %bb.1007:
	global_load_u8 v4, v[0:1], off
	s_mov_b32 s24, 0
	s_mov_b32 s0, -1
	s_waitcnt vmcnt(0)
	v_cmp_ne_u16_e32 vcc_lo, 0, v4
	v_mov_b32_e32 v4, 0
	v_cndmask_b32_e64 v5, 0, 0x3ff00000, vcc_lo
	s_branch .LBB22_1009
.LBB22_1008:
	s_mov_b32 s24, -1
                                        ; implicit-def: $vgpr4_vgpr5
.LBB22_1009:
	s_mov_b32 s1, 0
.LBB22_1010:
	s_delay_alu instid0(SALU_CYCLE_1)
	s_and_b32 vcc_lo, exec_lo, s1
	s_cbranch_vccz .LBB22_1059
; %bb.1011:
	v_cmp_gt_i16_e32 vcc_lo, 5, v6
	s_cbranch_vccnz .LBB22_1016
; %bb.1012:
	v_cmp_gt_i16_e32 vcc_lo, 8, v6
	s_cbranch_vccnz .LBB22_1017
	;; [unrolled: 3-line block ×3, first 2 shown]
; %bb.1014:
	v_cmp_lt_i16_e32 vcc_lo, 9, v6
	s_cbranch_vccz .LBB22_1019
; %bb.1015:
	global_load_b64 v[4:5], v[0:1], off
	s_mov_b32 s0, 0
	s_branch .LBB22_1020
.LBB22_1016:
	s_mov_b32 s0, -1
                                        ; implicit-def: $vgpr4_vgpr5
	s_branch .LBB22_1038
.LBB22_1017:
	s_mov_b32 s0, -1
                                        ; implicit-def: $vgpr4_vgpr5
	s_branch .LBB22_1026
.LBB22_1018:
	s_mov_b32 s0, -1
                                        ; implicit-def: $vgpr4_vgpr5
	s_branch .LBB22_1023
.LBB22_1019:
	s_mov_b32 s0, -1
                                        ; implicit-def: $vgpr4_vgpr5
.LBB22_1020:
	s_delay_alu instid0(SALU_CYCLE_1)
	s_and_not1_b32 vcc_lo, exec_lo, s0
	s_cbranch_vccnz .LBB22_1022
; %bb.1021:
	global_load_b32 v4, v[0:1], off
	s_waitcnt vmcnt(0)
	v_cvt_f64_f32_e32 v[4:5], v4
.LBB22_1022:
	s_mov_b32 s0, 0
.LBB22_1023:
	s_delay_alu instid0(SALU_CYCLE_1)
	s_and_not1_b32 vcc_lo, exec_lo, s0
	s_cbranch_vccnz .LBB22_1025
; %bb.1024:
	global_load_b32 v4, v[0:1], off
	s_waitcnt vmcnt(0)
	v_cvt_f32_f16_e32 v4, v4
	s_delay_alu instid0(VALU_DEP_1)
	v_cvt_f64_f32_e32 v[4:5], v4
.LBB22_1025:
	s_mov_b32 s0, 0
.LBB22_1026:
	s_delay_alu instid0(SALU_CYCLE_1)
	s_and_not1_b32 vcc_lo, exec_lo, s0
	s_cbranch_vccnz .LBB22_1037
; %bb.1027:
	v_cmp_gt_i16_e32 vcc_lo, 6, v6
	s_cbranch_vccnz .LBB22_1030
; %bb.1028:
	v_cmp_lt_i16_e32 vcc_lo, 6, v6
	s_cbranch_vccz .LBB22_1031
; %bb.1029:
	global_load_b64 v[4:5], v[0:1], off
	s_mov_b32 s0, 0
	s_branch .LBB22_1032
.LBB22_1030:
	s_mov_b32 s0, -1
                                        ; implicit-def: $vgpr4_vgpr5
	s_branch .LBB22_1035
.LBB22_1031:
	s_mov_b32 s0, -1
                                        ; implicit-def: $vgpr4_vgpr5
.LBB22_1032:
	s_delay_alu instid0(SALU_CYCLE_1)
	s_and_not1_b32 vcc_lo, exec_lo, s0
	s_cbranch_vccnz .LBB22_1034
; %bb.1033:
	global_load_b32 v4, v[0:1], off
	s_waitcnt vmcnt(0)
	v_cvt_f64_f32_e32 v[4:5], v4
.LBB22_1034:
	s_mov_b32 s0, 0
.LBB22_1035:
	s_delay_alu instid0(SALU_CYCLE_1)
	s_and_not1_b32 vcc_lo, exec_lo, s0
	s_cbranch_vccnz .LBB22_1037
; %bb.1036:
	global_load_u16 v4, v[0:1], off
	s_waitcnt vmcnt(0)
	v_cvt_f32_f16_e32 v4, v4
	s_delay_alu instid0(VALU_DEP_1)
	v_cvt_f64_f32_e32 v[4:5], v4
.LBB22_1037:
	s_mov_b32 s0, 0
.LBB22_1038:
	s_delay_alu instid0(SALU_CYCLE_1)
	s_and_not1_b32 vcc_lo, exec_lo, s0
	s_cbranch_vccnz .LBB22_1058
; %bb.1039:
	v_cmp_gt_i16_e32 vcc_lo, 2, v6
	s_cbranch_vccnz .LBB22_1043
; %bb.1040:
	v_cmp_gt_i16_e32 vcc_lo, 3, v6
	s_cbranch_vccnz .LBB22_1044
; %bb.1041:
	v_cmp_lt_i16_e32 vcc_lo, 3, v6
	s_cbranch_vccz .LBB22_1045
; %bb.1042:
	global_load_b64 v[4:5], v[0:1], off
	s_mov_b32 s0, 0
	s_waitcnt vmcnt(0)
	v_cvt_f64_i32_e32 v[10:11], v5
	v_cvt_f64_u32_e32 v[4:5], v4
	s_delay_alu instid0(VALU_DEP_2) | instskip(NEXT) | instid1(VALU_DEP_1)
	v_ldexp_f64 v[10:11], v[10:11], 32
	v_add_f64 v[4:5], v[10:11], v[4:5]
	s_branch .LBB22_1046
.LBB22_1043:
	s_mov_b32 s0, -1
                                        ; implicit-def: $vgpr4_vgpr5
	s_branch .LBB22_1052
.LBB22_1044:
	s_mov_b32 s0, -1
                                        ; implicit-def: $vgpr4_vgpr5
	s_branch .LBB22_1049
.LBB22_1045:
	s_mov_b32 s0, -1
                                        ; implicit-def: $vgpr4_vgpr5
.LBB22_1046:
	s_delay_alu instid0(SALU_CYCLE_1)
	s_and_not1_b32 vcc_lo, exec_lo, s0
	s_cbranch_vccnz .LBB22_1048
; %bb.1047:
	global_load_b32 v4, v[0:1], off
	s_waitcnt vmcnt(0)
	v_cvt_f64_i32_e32 v[4:5], v4
.LBB22_1048:
	s_mov_b32 s0, 0
.LBB22_1049:
	s_delay_alu instid0(SALU_CYCLE_1)
	s_and_not1_b32 vcc_lo, exec_lo, s0
	s_cbranch_vccnz .LBB22_1051
; %bb.1050:
	global_load_i16 v4, v[0:1], off
	s_waitcnt vmcnt(0)
	v_cvt_f64_i32_e32 v[4:5], v4
.LBB22_1051:
	s_mov_b32 s0, 0
.LBB22_1052:
	s_delay_alu instid0(SALU_CYCLE_1)
	s_and_not1_b32 vcc_lo, exec_lo, s0
	s_cbranch_vccnz .LBB22_1058
; %bb.1053:
	v_cmp_lt_i16_e32 vcc_lo, 0, v6
	s_mov_b32 s0, 0
	s_cbranch_vccz .LBB22_1055
; %bb.1054:
	global_load_i8 v4, v[0:1], off
	s_waitcnt vmcnt(0)
	v_cvt_f64_i32_e32 v[4:5], v4
	s_branch .LBB22_1056
.LBB22_1055:
	s_mov_b32 s0, -1
                                        ; implicit-def: $vgpr4_vgpr5
.LBB22_1056:
	s_delay_alu instid0(SALU_CYCLE_1)
	s_and_not1_b32 vcc_lo, exec_lo, s0
	s_cbranch_vccnz .LBB22_1058
; %bb.1057:
	global_load_u8 v0, v[0:1], off
	s_waitcnt vmcnt(0)
	v_cvt_f64_u32_e32 v[4:5], v0
.LBB22_1058:
	s_mov_b32 s0, -1
.LBB22_1059:
	s_delay_alu instid0(SALU_CYCLE_1)
	s_and_not1_b32 vcc_lo, exec_lo, s0
	s_cbranch_vccnz .LBB22_1079
; %bb.1060:
	s_waitcnt vmcnt(0)
	s_delay_alu instid0(VALU_DEP_1) | instskip(SKIP_2) | instid1(VALU_DEP_2)
	v_trunc_f64_e32 v[0:1], v[4:5]
	v_cmp_class_f64_e64 vcc_lo, v[4:5], 0x1f8
	s_mov_b32 s25, exec_lo
	v_ldexp_f64 v[6:7], v[0:1], 0xffffffe0
	s_delay_alu instid0(VALU_DEP_1) | instskip(NEXT) | instid1(VALU_DEP_1)
	v_floor_f64_e32 v[6:7], v[6:7]
	v_fma_f64 v[0:1], 0xc1f00000, v[6:7], v[0:1]
	v_cvt_i32_f64_e32 v6, v[6:7]
	s_delay_alu instid0(VALU_DEP_2) | instskip(NEXT) | instid1(VALU_DEP_1)
	v_cvt_u32_f64_e32 v0, v[0:1]
	v_dual_cndmask_b32 v5, -1, v6 :: v_dual_cndmask_b32 v4, -1, v0
	v_mov_b32_e32 v0, 0
	v_mov_b32_e32 v1, 0
	s_delay_alu instid0(VALU_DEP_3)
	v_cmpx_lt_i64_e32 -1, v[4:5]
	s_cbranch_execz .LBB22_1072
; %bb.1061:
	v_mov_b32_e32 v0, 0
	v_mov_b32_e32 v1, 0x3ff00000
	s_mov_b32 s26, exec_lo
	v_cmpx_lt_i64_e32 0, v[4:5]
	s_cbranch_execz .LBB22_1071
; %bb.1062:
                                        ; implicit-def: $vgpr0_vgpr1
	s_mov_b32 s0, exec_lo
	v_cmpx_ne_u64_e32 1, v[4:5]
	s_xor_b32 s27, exec_lo, s0
	s_cbranch_execz .LBB22_1068
; %bb.1063:
	v_mov_b32_e32 v0, 0
	v_mov_b32_e32 v1, 0x7ff80000
	s_mov_b32 s28, exec_lo
	v_cmpx_gt_u64_e32 0x201, v[4:5]
	s_cbranch_execz .LBB22_1067
; %bb.1064:
	v_add_f64 v[2:3], v[2:3], v[2:3]
	v_mov_b32_e32 v6, 0
	v_lshlrev_b64 v[4:5], 1, v[4:5]
	v_mov_b32_e32 v7, 0x3ff00000
	s_mov_b64 s[0:1], 2
	s_mov_b32 s29, 0
	s_delay_alu instid0(VALU_DEP_4)
	v_dual_mov_b32 v0, v2 :: v_dual_mov_b32 v1, v3
.LBB22_1065:                            ; =>This Inner Loop Header: Depth=1
	v_cvt_f64_u32_e32 v[10:11], s1
	v_cvt_f64_u32_e32 v[12:13], s0
	s_add_u32 s0, s0, 2
	s_addc_u32 s1, s1, 0
	s_delay_alu instid0(SALU_CYCLE_1) | instskip(SKIP_1) | instid1(VALU_DEP_3)
	v_cmp_ge_u64_e32 vcc_lo, s[0:1], v[4:5]
	s_or_b32 s29, vcc_lo, s29
	v_ldexp_f64 v[10:11], v[10:11], 32
	s_delay_alu instid0(VALU_DEP_1) | instskip(NEXT) | instid1(VALU_DEP_1)
	v_add_f64 v[10:11], v[10:11], v[12:13]
	v_mul_f64 v[6:7], v[6:7], v[10:11]
	v_dual_mov_b32 v11, v1 :: v_dual_mov_b32 v10, v0
	s_delay_alu instid0(VALU_DEP_1)
	v_fma_f64 v[0:1], v[2:3], v[10:11], -v[6:7]
	v_dual_mov_b32 v6, v10 :: v_dual_mov_b32 v7, v11
	s_and_not1_b32 exec_lo, exec_lo, s29
	s_cbranch_execnz .LBB22_1065
; %bb.1066:
	s_or_b32 exec_lo, exec_lo, s29
.LBB22_1067:
	s_delay_alu instid0(SALU_CYCLE_1)
	s_or_b32 exec_lo, exec_lo, s28
                                        ; implicit-def: $vgpr2_vgpr3
.LBB22_1068:
	s_and_not1_saveexec_b32 s0, s27
; %bb.1069:
	v_add_f64 v[0:1], v[2:3], v[2:3]
; %bb.1070:
	s_or_b32 exec_lo, exec_lo, s0
.LBB22_1071:
	s_delay_alu instid0(SALU_CYCLE_1)
	s_or_b32 exec_lo, exec_lo, s26
.LBB22_1072:
	s_delay_alu instid0(SALU_CYCLE_1) | instskip(SKIP_2) | instid1(VALU_DEP_1)
	s_or_b32 exec_lo, exec_lo, s25
	v_mul_lo_u32 v2, v15, s8
	v_and_b32_e32 v6, 0xff, v14
	v_cmp_gt_i16_e32 vcc_lo, 11, v6
	s_delay_alu instid0(VALU_DEP_3) | instskip(SKIP_1) | instid1(VALU_DEP_1)
	v_ashrrev_i32_e32 v3, 31, v2
	v_add_co_u32 v4, s0, s4, v2
	v_add_co_ci_u32_e64 v5, s0, s5, v3, s0
	s_cbranch_vccnz .LBB22_1080
; %bb.1073:
	v_cmp_lt_i16_e32 vcc_lo, 25, v6
	s_cbranch_vccz .LBB22_1081
; %bb.1074:
	v_cmp_lt_i16_e32 vcc_lo, 28, v6
	s_cbranch_vccz .LBB22_1082
	;; [unrolled: 3-line block ×4, first 2 shown]
; %bb.1077:
	v_cmp_eq_u16_e32 vcc_lo, 46, v6
	s_mov_b32 s25, 0
	s_mov_b32 s0, -1
	s_mov_b32 s1, 0
	s_cbranch_vccz .LBB22_1085
; %bb.1078:
	v_cvt_f32_f64_e32 v2, v[0:1]
	s_mov_b32 s1, -1
	s_mov_b32 s0, 0
	s_delay_alu instid0(VALU_DEP_1) | instskip(SKIP_1) | instid1(VALU_DEP_2)
	v_bfe_u32 v3, v2, 16, 1
	v_cmp_o_f32_e32 vcc_lo, v2, v2
	v_add3_u32 v3, v2, v3, 0x7fff
	s_delay_alu instid0(VALU_DEP_1) | instskip(NEXT) | instid1(VALU_DEP_1)
	v_lshrrev_b32_e32 v3, 16, v3
	v_cndmask_b32_e32 v2, 0x7fc0, v3, vcc_lo
	global_store_b32 v[4:5], v2, off
	s_branch .LBB22_1085
.LBB22_1079:
	s_mov_b32 s1, 0
	s_mov_b32 s0, s19
	s_branch .LBB22_1196
.LBB22_1080:
	s_mov_b32 s25, -1
	s_mov_b32 s1, 0
	s_mov_b32 s0, s19
	s_branch .LBB22_1154
.LBB22_1081:
	s_mov_b32 s25, -1
	s_mov_b32 s1, 0
	s_mov_b32 s0, s19
	s_branch .LBB22_1112
.LBB22_1082:
	s_mov_b32 s25, -1
	s_mov_b32 s1, 0
	s_mov_b32 s0, s19
	s_branch .LBB22_1095
.LBB22_1083:
	s_mov_b32 s25, -1
	s_mov_b32 s1, 0
	s_mov_b32 s0, s19
	s_branch .LBB22_1091
.LBB22_1084:
	s_mov_b32 s25, -1
	s_mov_b32 s1, 0
	s_mov_b32 s0, s19
.LBB22_1085:
	s_and_b32 vcc_lo, exec_lo, s25
	s_cbranch_vccz .LBB22_1090
; %bb.1086:
	v_cmp_eq_u16_e32 vcc_lo, 44, v6
	s_mov_b32 s0, -1
	s_cbranch_vccz .LBB22_1090
; %bb.1087:
	v_cvt_f32_f64_e32 v2, v[0:1]
	v_mov_b32_e32 v3, 0xff
	s_mov_b32 s1, exec_lo
	s_delay_alu instid0(VALU_DEP_2) | instskip(NEXT) | instid1(VALU_DEP_1)
	v_bfe_u32 v7, v2, 23, 8
	v_cmpx_ne_u32_e32 0xff, v7
; %bb.1088:
	v_and_b32_e32 v3, 0x400000, v2
	v_and_or_b32 v7, 0x3fffff, v2, v7
	v_lshrrev_b32_e32 v2, 23, v2
	s_delay_alu instid0(VALU_DEP_3) | instskip(NEXT) | instid1(VALU_DEP_3)
	v_cmp_ne_u32_e32 vcc_lo, 0, v3
	v_cmp_ne_u32_e64 s0, 0, v7
	s_delay_alu instid0(VALU_DEP_1) | instskip(NEXT) | instid1(SALU_CYCLE_1)
	s_and_b32 s0, vcc_lo, s0
	v_cndmask_b32_e64 v3, 0, 1, s0
	s_delay_alu instid0(VALU_DEP_1)
	v_add_nc_u32_e32 v3, v2, v3
; %bb.1089:
	s_or_b32 exec_lo, exec_lo, s1
	s_mov_b32 s1, -1
	s_mov_b32 s0, 0
	global_store_b8 v[4:5], v3, off
.LBB22_1090:
	s_mov_b32 s25, 0
.LBB22_1091:
	s_delay_alu instid0(SALU_CYCLE_1)
	s_and_b32 vcc_lo, exec_lo, s25
	s_cbranch_vccz .LBB22_1094
; %bb.1092:
	v_cmp_eq_u16_e32 vcc_lo, 29, v6
	s_mov_b32 s0, -1
	s_cbranch_vccz .LBB22_1094
; %bb.1093:
	v_trunc_f64_e32 v[2:3], v[0:1]
	s_mov_b32 s1, -1
	s_mov_b32 s0, 0
	s_mov_b32 s25, 0
	s_delay_alu instid0(VALU_DEP_1) | instskip(NEXT) | instid1(VALU_DEP_1)
	v_ldexp_f64 v[10:11], v[2:3], 0xffffffe0
	v_floor_f64_e32 v[10:11], v[10:11]
	s_delay_alu instid0(VALU_DEP_1) | instskip(SKIP_1) | instid1(VALU_DEP_2)
	v_fma_f64 v[2:3], 0xc1f00000, v[10:11], v[2:3]
	v_cvt_u32_f64_e32 v11, v[10:11]
	v_cvt_u32_f64_e32 v10, v[2:3]
	global_store_b64 v[4:5], v[10:11], off
	s_branch .LBB22_1095
.LBB22_1094:
	s_mov_b32 s25, 0
.LBB22_1095:
	s_delay_alu instid0(SALU_CYCLE_1)
	s_and_b32 vcc_lo, exec_lo, s25
	s_cbranch_vccz .LBB22_1111
; %bb.1096:
	v_cmp_gt_i16_e32 vcc_lo, 27, v6
	s_mov_b32 s1, -1
	s_cbranch_vccnz .LBB22_1102
; %bb.1097:
	v_cvt_u32_f64_e32 v2, v[0:1]
	v_cmp_lt_i16_e32 vcc_lo, 27, v6
	s_cbranch_vccz .LBB22_1099
; %bb.1098:
	s_mov_b32 s1, 0
	global_store_b32 v[4:5], v2, off
.LBB22_1099:
	s_and_not1_b32 vcc_lo, exec_lo, s1
	s_cbranch_vccnz .LBB22_1101
; %bb.1100:
	global_store_b16 v[4:5], v2, off
.LBB22_1101:
	s_mov_b32 s1, 0
.LBB22_1102:
	s_delay_alu instid0(SALU_CYCLE_1)
	s_and_not1_b32 vcc_lo, exec_lo, s1
	s_cbranch_vccnz .LBB22_1110
; %bb.1103:
	v_cvt_f32_f64_e32 v2, v[0:1]
	v_mov_b32_e32 v7, 0x80
	s_mov_b32 s1, exec_lo
	s_delay_alu instid0(VALU_DEP_2) | instskip(NEXT) | instid1(VALU_DEP_1)
	v_and_b32_e32 v3, 0x7fffffff, v2
	v_cmpx_gt_u32_e32 0x43800000, v3
	s_cbranch_execz .LBB22_1109
; %bb.1104:
	v_cmp_lt_u32_e32 vcc_lo, 0x3bffffff, v3
	s_mov_b32 s25, 0
                                        ; implicit-def: $vgpr3
	s_and_saveexec_b32 s26, vcc_lo
	s_delay_alu instid0(SALU_CYCLE_1)
	s_xor_b32 s26, exec_lo, s26
	s_cbranch_execz .LBB22_1212
; %bb.1105:
	v_bfe_u32 v3, v2, 20, 1
	s_mov_b32 s25, exec_lo
	s_delay_alu instid0(VALU_DEP_1) | instskip(NEXT) | instid1(VALU_DEP_1)
	v_add3_u32 v3, v2, v3, 0x487ffff
	v_lshrrev_b32_e32 v3, 20, v3
	s_or_saveexec_b32 s26, s26
                                        ; implicit-def: $sgpr27
	s_delay_alu instid0(SALU_CYCLE_1)
	s_xor_b32 exec_lo, exec_lo, s26
	s_cbranch_execnz .LBB22_1213
.LBB22_1106:
	s_or_b32 exec_lo, exec_lo, s26
	v_mov_b32_e32 v7, s27
	s_and_saveexec_b32 s26, s25
.LBB22_1107:
	v_lshrrev_b32_e32 v2, 24, v2
	s_delay_alu instid0(VALU_DEP_1)
	v_and_or_b32 v7, 0x80, v2, v3
.LBB22_1108:
	s_or_b32 exec_lo, exec_lo, s26
.LBB22_1109:
	s_delay_alu instid0(SALU_CYCLE_1)
	s_or_b32 exec_lo, exec_lo, s1
	global_store_b8 v[4:5], v7, off
.LBB22_1110:
	s_mov_b32 s1, -1
.LBB22_1111:
	s_mov_b32 s25, 0
.LBB22_1112:
	s_delay_alu instid0(SALU_CYCLE_1)
	s_and_b32 vcc_lo, exec_lo, s25
	s_cbranch_vccz .LBB22_1153
; %bb.1113:
	v_cmp_lt_i16_e32 vcc_lo, 22, v6
	s_mov_b32 s25, -1
	s_cbranch_vccz .LBB22_1145
; %bb.1114:
	v_cmp_gt_i16_e32 vcc_lo, 24, v6
	s_mov_b32 s1, -1
	s_cbranch_vccnz .LBB22_1134
; %bb.1115:
	v_cmp_lt_i16_e32 vcc_lo, 24, v6
	s_cbranch_vccz .LBB22_1123
; %bb.1116:
	v_cvt_f32_f64_e32 v2, v[0:1]
	v_mov_b32_e32 v7, 0x80
	s_mov_b32 s1, exec_lo
	s_delay_alu instid0(VALU_DEP_2) | instskip(NEXT) | instid1(VALU_DEP_1)
	v_and_b32_e32 v3, 0x7fffffff, v2
	v_cmpx_gt_u32_e32 0x47800000, v3
	s_cbranch_execz .LBB22_1122
; %bb.1117:
	v_cmp_lt_u32_e32 vcc_lo, 0x37ffffff, v3
	s_mov_b32 s25, 0
                                        ; implicit-def: $vgpr3
	s_and_saveexec_b32 s26, vcc_lo
	s_delay_alu instid0(SALU_CYCLE_1)
	s_xor_b32 s26, exec_lo, s26
	s_cbranch_execz .LBB22_2303
; %bb.1118:
	v_bfe_u32 v3, v2, 21, 1
	s_mov_b32 s25, exec_lo
	s_delay_alu instid0(VALU_DEP_1) | instskip(NEXT) | instid1(VALU_DEP_1)
	v_add3_u32 v3, v2, v3, 0x88fffff
	v_lshrrev_b32_e32 v3, 21, v3
	s_or_saveexec_b32 s26, s26
                                        ; implicit-def: $sgpr27
	s_delay_alu instid0(SALU_CYCLE_1)
	s_xor_b32 exec_lo, exec_lo, s26
	s_cbranch_execnz .LBB22_2304
.LBB22_1119:
	s_or_b32 exec_lo, exec_lo, s26
	v_mov_b32_e32 v7, s27
	s_and_saveexec_b32 s26, s25
.LBB22_1120:
	v_lshrrev_b32_e32 v2, 24, v2
	s_delay_alu instid0(VALU_DEP_1)
	v_and_or_b32 v7, 0x80, v2, v3
.LBB22_1121:
	s_or_b32 exec_lo, exec_lo, s26
.LBB22_1122:
	s_delay_alu instid0(SALU_CYCLE_1)
	s_or_b32 exec_lo, exec_lo, s1
	s_mov_b32 s1, 0
	global_store_b8 v[4:5], v7, off
.LBB22_1123:
	s_and_b32 vcc_lo, exec_lo, s1
	s_cbranch_vccz .LBB22_1133
; %bb.1124:
	v_cvt_f32_f64_e32 v2, v[0:1]
	s_mov_b32 s1, exec_lo
                                        ; implicit-def: $vgpr3
	s_delay_alu instid0(VALU_DEP_1) | instskip(NEXT) | instid1(VALU_DEP_1)
	v_and_b32_e32 v7, 0x7fffffff, v2
	v_cmpx_gt_u32_e32 0x43f00000, v7
	s_xor_b32 s1, exec_lo, s1
	s_cbranch_execz .LBB22_1130
; %bb.1125:
	s_mov_b32 s25, exec_lo
                                        ; implicit-def: $vgpr3
	v_cmpx_lt_u32_e32 0x3c7fffff, v7
	s_xor_b32 s25, exec_lo, s25
; %bb.1126:
	v_bfe_u32 v3, v2, 20, 1
	s_delay_alu instid0(VALU_DEP_1) | instskip(NEXT) | instid1(VALU_DEP_1)
	v_add3_u32 v3, v2, v3, 0x407ffff
	v_and_b32_e32 v7, 0xff00000, v3
	v_lshrrev_b32_e32 v3, 20, v3
	s_delay_alu instid0(VALU_DEP_2) | instskip(NEXT) | instid1(VALU_DEP_2)
	v_cmp_ne_u32_e32 vcc_lo, 0x7f00000, v7
	v_cndmask_b32_e32 v3, 0x7e, v3, vcc_lo
; %bb.1127:
	s_and_not1_saveexec_b32 s25, s25
; %bb.1128:
	v_add_f32_e64 v3, 0x46800000, |v2|
; %bb.1129:
	s_or_b32 exec_lo, exec_lo, s25
                                        ; implicit-def: $vgpr7
.LBB22_1130:
	s_and_not1_saveexec_b32 s1, s1
; %bb.1131:
	v_mov_b32_e32 v3, 0x7f
	v_cmp_lt_u32_e32 vcc_lo, 0x7f800000, v7
	s_delay_alu instid0(VALU_DEP_2)
	v_cndmask_b32_e32 v3, 0x7e, v3, vcc_lo
; %bb.1132:
	s_or_b32 exec_lo, exec_lo, s1
	v_lshrrev_b32_e32 v2, 24, v2
	s_delay_alu instid0(VALU_DEP_1)
	v_and_or_b32 v2, 0x80, v2, v3
	global_store_b8 v[4:5], v2, off
.LBB22_1133:
	s_mov_b32 s1, 0
.LBB22_1134:
	s_delay_alu instid0(SALU_CYCLE_1)
	s_and_not1_b32 vcc_lo, exec_lo, s1
	s_cbranch_vccnz .LBB22_1144
; %bb.1135:
	v_cvt_f32_f64_e32 v2, v[0:1]
	s_mov_b32 s1, exec_lo
                                        ; implicit-def: $vgpr3
	s_delay_alu instid0(VALU_DEP_1) | instskip(NEXT) | instid1(VALU_DEP_1)
	v_and_b32_e32 v7, 0x7fffffff, v2
	v_cmpx_gt_u32_e32 0x47800000, v7
	s_xor_b32 s1, exec_lo, s1
	s_cbranch_execz .LBB22_1141
; %bb.1136:
	s_mov_b32 s25, exec_lo
                                        ; implicit-def: $vgpr3
	v_cmpx_lt_u32_e32 0x387fffff, v7
	s_xor_b32 s25, exec_lo, s25
; %bb.1137:
	v_bfe_u32 v3, v2, 21, 1
	s_delay_alu instid0(VALU_DEP_1) | instskip(NEXT) | instid1(VALU_DEP_1)
	v_add3_u32 v3, v2, v3, 0x80fffff
	v_lshrrev_b32_e32 v3, 21, v3
; %bb.1138:
	s_and_not1_saveexec_b32 s25, s25
; %bb.1139:
	v_add_f32_e64 v3, 0x43000000, |v2|
; %bb.1140:
	s_or_b32 exec_lo, exec_lo, s25
                                        ; implicit-def: $vgpr7
.LBB22_1141:
	s_and_not1_saveexec_b32 s1, s1
; %bb.1142:
	v_mov_b32_e32 v3, 0x7f
	v_cmp_lt_u32_e32 vcc_lo, 0x7f800000, v7
	s_delay_alu instid0(VALU_DEP_2)
	v_cndmask_b32_e32 v3, 0x7c, v3, vcc_lo
; %bb.1143:
	s_or_b32 exec_lo, exec_lo, s1
	v_lshrrev_b32_e32 v2, 24, v2
	s_delay_alu instid0(VALU_DEP_1)
	v_and_or_b32 v2, 0x80, v2, v3
	global_store_b8 v[4:5], v2, off
.LBB22_1144:
	s_mov_b32 s25, 0
	s_mov_b32 s1, -1
.LBB22_1145:
	s_and_not1_b32 vcc_lo, exec_lo, s25
	s_cbranch_vccnz .LBB22_1153
; %bb.1146:
	v_cmp_lt_i16_e32 vcc_lo, 14, v6
	s_mov_b32 s25, -1
	s_cbranch_vccz .LBB22_1150
; %bb.1147:
	v_cmp_eq_u16_e32 vcc_lo, 15, v6
	s_mov_b32 s0, -1
	s_cbranch_vccz .LBB22_1149
; %bb.1148:
	v_cvt_f32_f64_e32 v2, v[0:1]
	s_mov_b32 s1, -1
	s_mov_b32 s0, 0
	s_delay_alu instid0(VALU_DEP_1) | instskip(SKIP_1) | instid1(VALU_DEP_2)
	v_bfe_u32 v3, v2, 16, 1
	v_cmp_o_f32_e32 vcc_lo, v2, v2
	v_add3_u32 v3, v2, v3, 0x7fff
	s_delay_alu instid0(VALU_DEP_1) | instskip(NEXT) | instid1(VALU_DEP_1)
	v_lshrrev_b32_e32 v3, 16, v3
	v_cndmask_b32_e32 v2, 0x7fc0, v3, vcc_lo
	global_store_b16 v[4:5], v2, off
.LBB22_1149:
	s_mov_b32 s25, 0
.LBB22_1150:
	s_delay_alu instid0(SALU_CYCLE_1)
	s_and_b32 vcc_lo, exec_lo, s25
	s_cbranch_vccz .LBB22_1153
; %bb.1151:
	v_cmp_eq_u16_e32 vcc_lo, 11, v6
	s_mov_b32 s0, -1
	s_cbranch_vccz .LBB22_1153
; %bb.1152:
	v_cmp_neq_f64_e32 vcc_lo, 0, v[0:1]
	s_mov_b32 s1, -1
	s_mov_b32 s0, 0
	v_cndmask_b32_e64 v2, 0, 1, vcc_lo
	global_store_b8 v[4:5], v2, off
.LBB22_1153:
	s_mov_b32 s25, 0
.LBB22_1154:
	s_delay_alu instid0(SALU_CYCLE_1)
	s_and_b32 vcc_lo, exec_lo, s25
	s_cbranch_vccz .LBB22_1193
; %bb.1155:
	v_cmp_gt_i16_e32 vcc_lo, 5, v6
	s_mov_b32 s1, -1
	s_cbranch_vccnz .LBB22_1176
; %bb.1156:
	v_cmp_gt_i16_e32 vcc_lo, 8, v6
	s_cbranch_vccnz .LBB22_1166
; %bb.1157:
	v_cmp_gt_i16_e32 vcc_lo, 9, v6
	s_cbranch_vccnz .LBB22_1163
; %bb.1158:
	v_cmp_lt_i16_e32 vcc_lo, 9, v6
	s_cbranch_vccz .LBB22_1160
; %bb.1159:
	v_mov_b32_e32 v2, 0
	s_mov_b32 s1, 0
	s_delay_alu instid0(VALU_DEP_1)
	v_mov_b32_e32 v3, v2
	global_store_b128 v[4:5], v[0:3], off
.LBB22_1160:
	s_and_not1_b32 vcc_lo, exec_lo, s1
	s_cbranch_vccnz .LBB22_1162
; %bb.1161:
	v_cvt_f32_f64_e32 v2, v[0:1]
	v_mov_b32_e32 v3, 0
	global_store_b64 v[4:5], v[2:3], off
.LBB22_1162:
	s_mov_b32 s1, 0
.LBB22_1163:
	s_delay_alu instid0(SALU_CYCLE_1)
	s_and_not1_b32 vcc_lo, exec_lo, s1
	s_cbranch_vccnz .LBB22_1165
; %bb.1164:
	v_cvt_f32_f64_e32 v2, v[0:1]
	s_delay_alu instid0(VALU_DEP_1) | instskip(NEXT) | instid1(VALU_DEP_1)
	v_cvt_f16_f32_e32 v2, v2
	v_and_b32_e32 v2, 0xffff, v2
	global_store_b32 v[4:5], v2, off
.LBB22_1165:
	s_mov_b32 s1, 0
.LBB22_1166:
	s_delay_alu instid0(SALU_CYCLE_1)
	s_and_not1_b32 vcc_lo, exec_lo, s1
	s_cbranch_vccnz .LBB22_1175
; %bb.1167:
	v_cmp_gt_i16_e32 vcc_lo, 6, v6
	s_mov_b32 s1, -1
	s_cbranch_vccnz .LBB22_1173
; %bb.1168:
	v_cmp_lt_i16_e32 vcc_lo, 6, v6
	s_cbranch_vccz .LBB22_1170
; %bb.1169:
	s_mov_b32 s1, 0
	global_store_b64 v[4:5], v[0:1], off
.LBB22_1170:
	s_and_not1_b32 vcc_lo, exec_lo, s1
	s_cbranch_vccnz .LBB22_1172
; %bb.1171:
	v_cvt_f32_f64_e32 v2, v[0:1]
	global_store_b32 v[4:5], v2, off
.LBB22_1172:
	s_mov_b32 s1, 0
.LBB22_1173:
	s_delay_alu instid0(SALU_CYCLE_1)
	s_and_not1_b32 vcc_lo, exec_lo, s1
	s_cbranch_vccnz .LBB22_1175
; %bb.1174:
	v_cvt_f32_f64_e32 v2, v[0:1]
	s_delay_alu instid0(VALU_DEP_1)
	v_cvt_f16_f32_e32 v2, v2
	global_store_b16 v[4:5], v2, off
.LBB22_1175:
	s_mov_b32 s1, 0
.LBB22_1176:
	s_delay_alu instid0(SALU_CYCLE_1)
	s_and_not1_b32 vcc_lo, exec_lo, s1
	s_cbranch_vccnz .LBB22_1192
; %bb.1177:
	v_cmp_gt_i16_e32 vcc_lo, 2, v6
	s_mov_b32 s1, -1
	s_cbranch_vccnz .LBB22_1187
; %bb.1178:
	v_cmp_gt_i16_e32 vcc_lo, 3, v6
	s_cbranch_vccnz .LBB22_1184
; %bb.1179:
	v_cmp_lt_i16_e32 vcc_lo, 3, v6
	s_cbranch_vccz .LBB22_1181
; %bb.1180:
	v_trunc_f64_e32 v[2:3], v[0:1]
	s_mov_b32 s1, 0
	s_delay_alu instid0(VALU_DEP_1) | instskip(NEXT) | instid1(VALU_DEP_1)
	v_ldexp_f64 v[10:11], v[2:3], 0xffffffe0
	v_floor_f64_e32 v[10:11], v[10:11]
	s_delay_alu instid0(VALU_DEP_1) | instskip(SKIP_1) | instid1(VALU_DEP_2)
	v_fma_f64 v[2:3], 0xc1f00000, v[10:11], v[2:3]
	v_cvt_i32_f64_e32 v11, v[10:11]
	v_cvt_u32_f64_e32 v10, v[2:3]
	global_store_b64 v[4:5], v[10:11], off
.LBB22_1181:
	s_and_not1_b32 vcc_lo, exec_lo, s1
	s_cbranch_vccnz .LBB22_1183
; %bb.1182:
	v_cvt_i32_f64_e32 v2, v[0:1]
	global_store_b32 v[4:5], v2, off
.LBB22_1183:
	s_mov_b32 s1, 0
.LBB22_1184:
	s_delay_alu instid0(SALU_CYCLE_1)
	s_and_not1_b32 vcc_lo, exec_lo, s1
	s_cbranch_vccnz .LBB22_1186
; %bb.1185:
	v_cvt_i32_f64_e32 v2, v[0:1]
	global_store_b16 v[4:5], v2, off
.LBB22_1186:
	s_mov_b32 s1, 0
.LBB22_1187:
	s_delay_alu instid0(SALU_CYCLE_1)
	s_and_not1_b32 vcc_lo, exec_lo, s1
	s_cbranch_vccnz .LBB22_1192
; %bb.1188:
	v_cmp_lt_i16_e32 vcc_lo, 0, v6
	s_mov_b32 s1, -1
	s_cbranch_vccz .LBB22_1190
; %bb.1189:
	v_cvt_i32_f64_e32 v2, v[0:1]
	s_mov_b32 s1, 0
	global_store_b8 v[4:5], v2, off
.LBB22_1190:
	s_and_not1_b32 vcc_lo, exec_lo, s1
	s_cbranch_vccnz .LBB22_1192
; %bb.1191:
	v_trunc_f64_e32 v[0:1], v[0:1]
	s_delay_alu instid0(VALU_DEP_1) | instskip(NEXT) | instid1(VALU_DEP_1)
	v_ldexp_f64 v[2:3], v[0:1], 0xffffffe0
	v_floor_f64_e32 v[2:3], v[2:3]
	s_delay_alu instid0(VALU_DEP_1) | instskip(NEXT) | instid1(VALU_DEP_1)
	v_fma_f64 v[0:1], 0xc1f00000, v[2:3], v[0:1]
	v_cvt_u32_f64_e32 v0, v[0:1]
	global_store_b8 v[4:5], v0, off
.LBB22_1192:
	s_mov_b32 s1, -1
.LBB22_1193:
	s_delay_alu instid0(SALU_CYCLE_1)
	s_and_not1_b32 vcc_lo, exec_lo, s1
	s_cbranch_vccnz .LBB22_1195
; %bb.1194:
	v_add_nc_u32_e32 v15, 0x80, v15
	s_mov_b32 s1, -1
	s_branch .LBB22_1197
.LBB22_1195:
	s_mov_b32 s1, 0
.LBB22_1196:
                                        ; implicit-def: $vgpr15
.LBB22_1197:
	s_and_not1_b32 s25, s19, exec_lo
	s_and_b32 s0, s0, exec_lo
	s_and_b32 s24, s24, exec_lo
	s_or_b32 s25, s25, s0
	s_and_not1_b32 s0, s20, exec_lo
	s_and_not1_b32 s26, s18, exec_lo
	s_and_b32 s23, s23, exec_lo
	s_or_b32 s24, s0, s24
	s_or_b32 s23, s26, s23
	s_or_not1_b32 s27, s1, exec_lo
.LBB22_1198:
	s_or_b32 exec_lo, exec_lo, s22
	s_mov_b32 s1, 0
	s_mov_b32 s26, 0
	;; [unrolled: 1-line block ×3, first 2 shown]
                                        ; implicit-def: $vgpr4
                                        ; implicit-def: $vgpr0_vgpr1
                                        ; implicit-def: $vgpr2_vgpr3
	s_and_saveexec_b32 s22, s27
	s_cbranch_execz .LBB22_1281
; %bb.1199:
	v_cmp_gt_i32_e32 vcc_lo, s14, v15
	s_mov_b32 s27, s23
	s_mov_b32 s28, 0
                                        ; implicit-def: $vgpr4
                                        ; implicit-def: $vgpr0_vgpr1
                                        ; implicit-def: $vgpr2_vgpr3
	s_and_saveexec_b32 s14, vcc_lo
	s_cbranch_execz .LBB22_1280
; %bb.1200:
	v_mul_lo_u32 v0, v15, s9
	s_waitcnt vmcnt(0)
	v_and_b32_e32 v4, 0xff, v9
	s_delay_alu instid0(VALU_DEP_1) | instskip(NEXT) | instid1(VALU_DEP_3)
	v_cmp_gt_i16_e32 vcc_lo, 11, v4
	v_ashrrev_i32_e32 v1, 31, v0
	v_add_co_u32 v0, s0, s6, v0
	s_delay_alu instid0(VALU_DEP_1)
	v_add_co_ci_u32_e64 v1, s0, s7, v1, s0
	s_cbranch_vccnz .LBB22_1207
; %bb.1201:
	v_cmp_lt_i16_e32 vcc_lo, 25, v4
	s_mov_b32 s27, 0
	s_cbranch_vccz .LBB22_1208
; %bb.1202:
	v_cmp_lt_i16_e32 vcc_lo, 28, v4
	s_cbranch_vccz .LBB22_1209
; %bb.1203:
	v_cmp_lt_i16_e32 vcc_lo, 43, v4
	;; [unrolled: 3-line block ×3, first 2 shown]
	s_cbranch_vccz .LBB22_1211
; %bb.1205:
	v_cmp_eq_u16_e32 vcc_lo, 46, v4
	s_cbranch_vccz .LBB22_1214
; %bb.1206:
	global_load_b32 v2, v[0:1], off
	s_mov_b32 s0, -1
	s_waitcnt vmcnt(0)
	v_lshlrev_b32_e32 v2, 16, v2
	s_delay_alu instid0(VALU_DEP_1)
	v_cvt_f64_f32_e32 v[2:3], v2
	s_branch .LBB22_1216
.LBB22_1207:
	s_mov_b32 s1, -1
	s_mov_b32 s0, 0
	s_mov_b32 s27, 0
	;; [unrolled: 1-line block ×3, first 2 shown]
                                        ; implicit-def: $vgpr2_vgpr3
	s_branch .LBB22_1279
.LBB22_1208:
	s_mov_b32 s1, -1
	s_mov_b32 s0, 0
	s_mov_b32 s26, s23
                                        ; implicit-def: $vgpr2_vgpr3
	s_branch .LBB22_1247
.LBB22_1209:
	s_mov_b32 s1, -1
	s_mov_b32 s0, 0
	s_mov_b32 s26, s23
                                        ; implicit-def: $vgpr2_vgpr3
	s_branch .LBB22_1226
.LBB22_1210:
	s_mov_b32 s1, -1
	s_mov_b32 s0, 0
	s_mov_b32 s26, s23
                                        ; implicit-def: $vgpr2_vgpr3
	s_branch .LBB22_1221
.LBB22_1211:
	s_mov_b32 s1, -1
	s_mov_b32 s0, 0
	s_mov_b32 s26, s23
	s_branch .LBB22_1215
.LBB22_1212:
	s_or_saveexec_b32 s26, s26
                                        ; implicit-def: $sgpr27
	s_delay_alu instid0(SALU_CYCLE_1)
	s_xor_b32 exec_lo, exec_lo, s26
	s_cbranch_execz .LBB22_1106
.LBB22_1213:
	v_add_f32_e64 v3, 0x46000000, |v2|
	s_and_not1_b32 s25, s25, exec_lo
	s_mov_b32 s27, 0
	s_delay_alu instid0(VALU_DEP_1) | instskip(NEXT) | instid1(VALU_DEP_1)
	v_and_b32_e32 v3, 0xff, v3
	v_cmp_ne_u32_e32 vcc_lo, 0, v3
	s_and_b32 s28, vcc_lo, exec_lo
	s_delay_alu instid0(SALU_CYCLE_1)
	s_or_b32 s25, s25, s28
	s_or_b32 exec_lo, exec_lo, s26
	v_mov_b32_e32 v7, s27
	s_and_saveexec_b32 s26, s25
	s_cbranch_execnz .LBB22_1107
	s_branch .LBB22_1108
.LBB22_1214:
	s_mov_b32 s26, -1
	s_mov_b32 s0, 0
.LBB22_1215:
                                        ; implicit-def: $vgpr2_vgpr3
.LBB22_1216:
	s_and_b32 vcc_lo, exec_lo, s1
	s_cbranch_vccz .LBB22_1220
; %bb.1217:
	v_cmp_eq_u16_e32 vcc_lo, 44, v4
	s_cbranch_vccz .LBB22_1219
; %bb.1218:
	global_load_u8 v5, v[0:1], off
	s_mov_b32 s26, 0
	s_mov_b32 s0, -1
	s_waitcnt vmcnt(0)
	v_cmp_ne_u32_e32 vcc_lo, 0xff, v5
	v_lshlrev_b32_e32 v2, 23, v5
	s_delay_alu instid0(VALU_DEP_1) | instskip(NEXT) | instid1(VALU_DEP_1)
	v_cvt_f64_f32_e32 v[2:3], v2
	v_cndmask_b32_e32 v3, 0x7ff80000, v3, vcc_lo
	s_delay_alu instid0(VALU_DEP_2) | instskip(SKIP_1) | instid1(VALU_DEP_3)
	v_cndmask_b32_e32 v2, 0x20000000, v2, vcc_lo
	v_cmp_ne_u32_e32 vcc_lo, 0, v5
	v_cndmask_b32_e32 v3, 0x38000000, v3, vcc_lo
	s_delay_alu instid0(VALU_DEP_3)
	v_cndmask_b32_e32 v2, 0, v2, vcc_lo
	s_branch .LBB22_1220
.LBB22_1219:
	s_mov_b32 s26, -1
                                        ; implicit-def: $vgpr2_vgpr3
.LBB22_1220:
	s_mov_b32 s1, 0
.LBB22_1221:
	s_delay_alu instid0(SALU_CYCLE_1)
	s_and_b32 vcc_lo, exec_lo, s1
	s_cbranch_vccz .LBB22_1225
; %bb.1222:
	v_cmp_eq_u16_e32 vcc_lo, 29, v4
	s_cbranch_vccz .LBB22_1224
; %bb.1223:
	global_load_b64 v[2:3], v[0:1], off
	s_mov_b32 s26, 0
	s_mov_b32 s0, -1
	s_mov_b32 s1, 0
	s_waitcnt vmcnt(0)
	v_cvt_f64_u32_e32 v[5:6], v3
	v_cvt_f64_u32_e32 v[2:3], v2
	s_delay_alu instid0(VALU_DEP_2) | instskip(NEXT) | instid1(VALU_DEP_1)
	v_ldexp_f64 v[5:6], v[5:6], 32
	v_add_f64 v[2:3], v[5:6], v[2:3]
	s_branch .LBB22_1226
.LBB22_1224:
	s_mov_b32 s26, -1
                                        ; implicit-def: $vgpr2_vgpr3
.LBB22_1225:
	s_mov_b32 s1, 0
.LBB22_1226:
	s_delay_alu instid0(SALU_CYCLE_1)
	s_and_b32 vcc_lo, exec_lo, s1
	s_cbranch_vccz .LBB22_1246
; %bb.1227:
	v_cmp_gt_i16_e32 vcc_lo, 27, v4
	s_cbranch_vccnz .LBB22_1230
; %bb.1228:
	v_cmp_lt_i16_e32 vcc_lo, 27, v4
	s_cbranch_vccz .LBB22_1231
; %bb.1229:
	global_load_b32 v2, v[0:1], off
	s_mov_b32 s0, 0
	s_waitcnt vmcnt(0)
	v_cvt_f64_u32_e32 v[2:3], v2
	s_branch .LBB22_1232
.LBB22_1230:
	s_mov_b32 s0, -1
                                        ; implicit-def: $vgpr2_vgpr3
	s_branch .LBB22_1235
.LBB22_1231:
	s_mov_b32 s0, -1
                                        ; implicit-def: $vgpr2_vgpr3
.LBB22_1232:
	s_delay_alu instid0(SALU_CYCLE_1)
	s_and_not1_b32 vcc_lo, exec_lo, s0
	s_cbranch_vccnz .LBB22_1234
; %bb.1233:
	global_load_u16 v2, v[0:1], off
	s_waitcnt vmcnt(0)
	v_cvt_f64_u32_e32 v[2:3], v2
.LBB22_1234:
	s_mov_b32 s0, 0
.LBB22_1235:
	s_delay_alu instid0(SALU_CYCLE_1)
	s_and_not1_b32 vcc_lo, exec_lo, s0
	s_cbranch_vccnz .LBB22_1245
; %bb.1236:
	global_load_u8 v5, v[0:1], off
	s_mov_b32 s29, exec_lo
                                        ; implicit-def: $sgpr0_sgpr1
	s_waitcnt vmcnt(0)
	v_cmpx_lt_i16_e32 0x7f, v5
	s_xor_b32 s29, exec_lo, s29
	s_cbranch_execz .LBB22_1240
; %bb.1237:
	s_mov_b32 s30, -1
	s_mov_b32 s28, exec_lo
                                        ; implicit-def: $sgpr0_sgpr1
	v_cmpx_eq_u16_e32 0x80, v5
; %bb.1238:
	s_mov_b32 s1, 0x7ff80000
	s_brev_b32 s0, 4
	s_xor_b32 s30, exec_lo, -1
; %bb.1239:
	s_or_b32 exec_lo, exec_lo, s28
	s_delay_alu instid0(SALU_CYCLE_1)
	s_and_b32 s28, s30, exec_lo
.LBB22_1240:
	s_or_saveexec_b32 s29, s29
	v_dual_mov_b32 v3, s1 :: v_dual_mov_b32 v2, s0
	s_xor_b32 exec_lo, exec_lo, s29
; %bb.1241:
	v_cmp_ne_u16_e32 vcc_lo, 0, v5
	v_mov_b32_e32 v2, 0
	v_mov_b32_e32 v3, 0
	s_and_not1_b32 s0, s28, exec_lo
	s_and_b32 s1, vcc_lo, exec_lo
	s_delay_alu instid0(SALU_CYCLE_1)
	s_or_b32 s28, s0, s1
; %bb.1242:
	s_or_b32 exec_lo, exec_lo, s29
	s_and_saveexec_b32 s0, s28
	s_cbranch_execz .LBB22_1244
; %bb.1243:
	v_and_b32_e32 v2, 0xffff, v5
	v_lshlrev_b32_e32 v5, 24, v5
	s_delay_alu instid0(VALU_DEP_2) | instskip(NEXT) | instid1(VALU_DEP_2)
	v_and_b32_e32 v3, 7, v2
	v_and_b32_e32 v5, 0x80000000, v5
	s_delay_alu instid0(VALU_DEP_2) | instskip(NEXT) | instid1(VALU_DEP_1)
	v_clz_i32_u32_e32 v6, v3
	v_min_u32_e32 v6, 32, v6
	s_delay_alu instid0(VALU_DEP_1) | instskip(SKIP_1) | instid1(VALU_DEP_2)
	v_subrev_nc_u32_e32 v7, 28, v6
	v_sub_nc_u32_e32 v6, 29, v6
	v_lshlrev_b32_e32 v7, v7, v2
	v_bfe_u32 v2, v2, 3, 4
	s_delay_alu instid0(VALU_DEP_1) | instskip(NEXT) | instid1(VALU_DEP_3)
	v_cmp_eq_u32_e32 vcc_lo, 0, v2
	v_dual_cndmask_b32 v2, v2, v6 :: v_dual_and_b32 v7, 7, v7
	s_delay_alu instid0(VALU_DEP_1) | instskip(NEXT) | instid1(VALU_DEP_2)
	v_cndmask_b32_e32 v3, v3, v7, vcc_lo
	v_lshl_add_u32 v2, v2, 23, 0x3b800000
	s_delay_alu instid0(VALU_DEP_2) | instskip(NEXT) | instid1(VALU_DEP_1)
	v_lshlrev_b32_e32 v3, 20, v3
	v_or3_b32 v2, v5, v2, v3
	s_delay_alu instid0(VALU_DEP_1)
	v_cvt_f64_f32_e32 v[2:3], v2
.LBB22_1244:
	s_or_b32 exec_lo, exec_lo, s0
.LBB22_1245:
	s_mov_b32 s0, -1
.LBB22_1246:
	s_mov_b32 s1, 0
.LBB22_1247:
	s_delay_alu instid0(SALU_CYCLE_1)
	s_and_b32 vcc_lo, exec_lo, s1
	s_cbranch_vccz .LBB22_1278
; %bb.1248:
	v_cmp_lt_i16_e32 vcc_lo, 22, v4
	s_cbranch_vccz .LBB22_1260
; %bb.1249:
	v_cmp_gt_i16_e32 vcc_lo, 24, v4
	s_cbranch_vccnz .LBB22_1261
; %bb.1250:
	v_cmp_lt_i16_e32 vcc_lo, 24, v4
	s_cbranch_vccz .LBB22_1262
; %bb.1251:
	global_load_u8 v5, v[0:1], off
	s_mov_b32 s28, exec_lo
                                        ; implicit-def: $sgpr0_sgpr1
	s_waitcnt vmcnt(0)
	v_cmpx_lt_i16_e32 0x7f, v5
	s_xor_b32 s28, exec_lo, s28
	s_cbranch_execz .LBB22_1255
; %bb.1252:
	s_mov_b32 s29, -1
	s_mov_b32 s27, exec_lo
                                        ; implicit-def: $sgpr0_sgpr1
	v_cmpx_eq_u16_e32 0x80, v5
; %bb.1253:
	s_mov_b32 s1, 0x7ff80000
	s_brev_b32 s0, 4
	s_xor_b32 s29, exec_lo, -1
; %bb.1254:
	s_or_b32 exec_lo, exec_lo, s27
	s_delay_alu instid0(SALU_CYCLE_1)
	s_and_b32 s27, s29, exec_lo
.LBB22_1255:
	s_or_saveexec_b32 s28, s28
	v_dual_mov_b32 v3, s1 :: v_dual_mov_b32 v2, s0
	s_xor_b32 exec_lo, exec_lo, s28
; %bb.1256:
	v_cmp_ne_u16_e32 vcc_lo, 0, v5
	v_mov_b32_e32 v2, 0
	v_mov_b32_e32 v3, 0
	s_and_not1_b32 s0, s27, exec_lo
	s_and_b32 s1, vcc_lo, exec_lo
	s_delay_alu instid0(SALU_CYCLE_1)
	s_or_b32 s27, s0, s1
; %bb.1257:
	s_or_b32 exec_lo, exec_lo, s28
	s_and_saveexec_b32 s0, s27
	s_cbranch_execz .LBB22_1259
; %bb.1258:
	v_and_b32_e32 v2, 0xffff, v5
	v_lshlrev_b32_e32 v5, 24, v5
	s_delay_alu instid0(VALU_DEP_2) | instskip(NEXT) | instid1(VALU_DEP_2)
	v_and_b32_e32 v3, 3, v2
	v_and_b32_e32 v5, 0x80000000, v5
	s_delay_alu instid0(VALU_DEP_2) | instskip(NEXT) | instid1(VALU_DEP_1)
	v_clz_i32_u32_e32 v6, v3
	v_min_u32_e32 v6, 32, v6
	s_delay_alu instid0(VALU_DEP_1) | instskip(SKIP_1) | instid1(VALU_DEP_2)
	v_subrev_nc_u32_e32 v7, 29, v6
	v_sub_nc_u32_e32 v6, 30, v6
	v_lshlrev_b32_e32 v7, v7, v2
	v_bfe_u32 v2, v2, 2, 5
	s_delay_alu instid0(VALU_DEP_1) | instskip(NEXT) | instid1(VALU_DEP_3)
	v_cmp_eq_u32_e32 vcc_lo, 0, v2
	v_dual_cndmask_b32 v2, v2, v6 :: v_dual_and_b32 v7, 3, v7
	s_delay_alu instid0(VALU_DEP_1) | instskip(NEXT) | instid1(VALU_DEP_2)
	v_cndmask_b32_e32 v3, v3, v7, vcc_lo
	v_lshl_add_u32 v2, v2, 23, 0x37800000
	s_delay_alu instid0(VALU_DEP_2) | instskip(NEXT) | instid1(VALU_DEP_1)
	v_lshlrev_b32_e32 v3, 21, v3
	v_or3_b32 v2, v5, v2, v3
	s_delay_alu instid0(VALU_DEP_1)
	v_cvt_f64_f32_e32 v[2:3], v2
.LBB22_1259:
	s_or_b32 exec_lo, exec_lo, s0
	s_mov_b32 s0, 0
	s_branch .LBB22_1263
.LBB22_1260:
	s_mov_b32 s1, -1
                                        ; implicit-def: $vgpr2_vgpr3
	s_branch .LBB22_1269
.LBB22_1261:
	s_mov_b32 s0, -1
                                        ; implicit-def: $vgpr2_vgpr3
	s_branch .LBB22_1266
.LBB22_1262:
	s_mov_b32 s0, -1
                                        ; implicit-def: $vgpr2_vgpr3
.LBB22_1263:
	s_delay_alu instid0(SALU_CYCLE_1)
	s_and_b32 vcc_lo, exec_lo, s0
	s_cbranch_vccz .LBB22_1265
; %bb.1264:
	global_load_u8 v2, v[0:1], off
	s_waitcnt vmcnt(0)
	v_lshlrev_b32_e32 v2, 24, v2
	s_delay_alu instid0(VALU_DEP_1) | instskip(NEXT) | instid1(VALU_DEP_1)
	v_and_b32_e32 v3, 0x7f000000, v2
	v_clz_i32_u32_e32 v5, v3
	v_add_nc_u32_e32 v7, 0x1000000, v3
	v_cmp_ne_u32_e32 vcc_lo, 0, v3
	s_delay_alu instid0(VALU_DEP_3) | instskip(NEXT) | instid1(VALU_DEP_1)
	v_min_u32_e32 v5, 32, v5
	v_sub_nc_u32_e64 v5, v5, 4 clamp
	s_delay_alu instid0(VALU_DEP_1) | instskip(SKIP_1) | instid1(VALU_DEP_2)
	v_lshlrev_b32_e32 v6, v5, v3
	v_lshlrev_b32_e32 v5, 23, v5
	v_lshrrev_b32_e32 v6, 4, v6
	s_delay_alu instid0(VALU_DEP_1) | instskip(SKIP_1) | instid1(VALU_DEP_2)
	v_sub_nc_u32_e32 v5, v6, v5
	v_ashrrev_i32_e32 v6, 8, v7
	v_add_nc_u32_e32 v5, 0x3c000000, v5
	s_delay_alu instid0(VALU_DEP_1) | instskip(NEXT) | instid1(VALU_DEP_1)
	v_and_or_b32 v5, 0x7f800000, v6, v5
	v_cndmask_b32_e32 v3, 0, v5, vcc_lo
	s_delay_alu instid0(VALU_DEP_1) | instskip(NEXT) | instid1(VALU_DEP_1)
	v_and_or_b32 v2, 0x80000000, v2, v3
	v_cvt_f64_f32_e32 v[2:3], v2
.LBB22_1265:
	s_mov_b32 s0, 0
.LBB22_1266:
	s_delay_alu instid0(SALU_CYCLE_1)
	s_and_not1_b32 vcc_lo, exec_lo, s0
	s_cbranch_vccnz .LBB22_1268
; %bb.1267:
	global_load_u8 v2, v[0:1], off
	s_waitcnt vmcnt(0)
	v_lshlrev_b32_e32 v3, 25, v2
	v_lshlrev_b16 v2, 8, v2
	s_delay_alu instid0(VALU_DEP_2) | instskip(NEXT) | instid1(VALU_DEP_2)
	v_lshrrev_b32_e32 v5, 4, v3
	v_and_or_b32 v6, 0x7f00, v2, 0.5
	v_cmp_gt_u32_e32 vcc_lo, 0x8000000, v3
	v_bfe_i32 v2, v2, 0, 16
	s_delay_alu instid0(VALU_DEP_4) | instskip(NEXT) | instid1(VALU_DEP_1)
	v_or_b32_e32 v5, 0x70000000, v5
	v_dual_add_f32 v6, -0.5, v6 :: v_dual_mul_f32 v5, 0x7800000, v5
	s_delay_alu instid0(VALU_DEP_1) | instskip(NEXT) | instid1(VALU_DEP_1)
	v_cndmask_b32_e32 v3, v5, v6, vcc_lo
	v_and_or_b32 v2, 0x80000000, v2, v3
	s_delay_alu instid0(VALU_DEP_1)
	v_cvt_f64_f32_e32 v[2:3], v2
.LBB22_1268:
	s_mov_b32 s1, 0
	s_mov_b32 s0, -1
.LBB22_1269:
	s_and_not1_b32 vcc_lo, exec_lo, s1
	s_mov_b32 s27, 0
	s_cbranch_vccnz .LBB22_1278
; %bb.1270:
	v_cmp_lt_i16_e32 vcc_lo, 14, v4
	s_cbranch_vccz .LBB22_1273
; %bb.1271:
	v_cmp_eq_u16_e32 vcc_lo, 15, v4
	s_cbranch_vccz .LBB22_1274
; %bb.1272:
	global_load_u16 v2, v[0:1], off
	s_mov_b32 s26, 0
	s_mov_b32 s0, -1
	s_waitcnt vmcnt(0)
	v_lshlrev_b32_e32 v2, 16, v2
	s_delay_alu instid0(VALU_DEP_1)
	v_cvt_f64_f32_e32 v[2:3], v2
	s_branch .LBB22_1275
.LBB22_1273:
	s_mov_b32 s1, -1
                                        ; implicit-def: $vgpr2_vgpr3
	s_branch .LBB22_1276
.LBB22_1274:
	s_mov_b32 s26, -1
                                        ; implicit-def: $vgpr2_vgpr3
.LBB22_1275:
	s_mov_b32 s1, 0
.LBB22_1276:
	s_delay_alu instid0(SALU_CYCLE_1)
	s_and_b32 vcc_lo, exec_lo, s1
	s_cbranch_vccz .LBB22_1278
; %bb.1277:
	v_cmp_ne_u16_e32 vcc_lo, 11, v4
	s_and_not1_b32 s1, s26, exec_lo
	s_mov_b32 s27, -1
                                        ; implicit-def: $vgpr2_vgpr3
	s_and_b32 s26, vcc_lo, exec_lo
	s_delay_alu instid0(SALU_CYCLE_1)
	s_or_b32 s26, s1, s26
.LBB22_1278:
	s_mov_b32 s1, 0
.LBB22_1279:
	s_and_not1_b32 s29, s23, exec_lo
	s_and_b32 s26, s26, exec_lo
	s_and_b32 s0, s0, exec_lo
	;; [unrolled: 1-line block ×4, first 2 shown]
	s_or_b32 s27, s29, s26
.LBB22_1280:
	s_or_b32 exec_lo, exec_lo, s14
	s_delay_alu instid0(SALU_CYCLE_1)
	s_and_not1_b32 s14, s23, exec_lo
	s_and_b32 s23, s27, exec_lo
	s_and_b32 s0, s0, exec_lo
	;; [unrolled: 1-line block ×4, first 2 shown]
	s_or_b32 s23, s14, s23
.LBB22_1281:
	s_or_b32 exec_lo, exec_lo, s22
	s_delay_alu instid0(SALU_CYCLE_1)
	s_and_not1_b32 s14, s19, exec_lo
	s_and_b32 s19, s25, exec_lo
	s_and_not1_b32 s20, s20, exec_lo
	s_and_b32 s22, s24, exec_lo
	s_or_b32 s19, s14, s19
	s_and_not1_b32 s14, s18, exec_lo
	s_and_b32 s18, s23, exec_lo
	s_or_b32 s20, s20, s22
	s_and_b32 s0, s0, exec_lo
	s_and_b32 s22, s26, exec_lo
	;; [unrolled: 1-line block ×3, first 2 shown]
	s_or_b32 s18, s14, s18
.LBB22_1282:
	s_or_b32 exec_lo, exec_lo, s21
	s_delay_alu instid0(SALU_CYCLE_1)
	s_and_not1_b32 s13, s13, exec_lo
	s_and_b32 s14, s19, exec_lo
	s_and_not1_b32 s15, s15, exec_lo
	s_and_b32 s19, s20, exec_lo
	s_or_b32 s13, s13, s14
	s_and_not1_b32 s14, s16, exec_lo
	s_and_b32 s16, s18, exec_lo
	s_or_b32 s15, s15, s19
	s_and_b32 s0, s0, exec_lo
	s_and_b32 s19, s22, exec_lo
	;; [unrolled: 1-line block ×3, first 2 shown]
	s_or_b32 s16, s14, s16
.LBB22_1283:
	s_or_b32 exec_lo, exec_lo, s17
	s_mov_b32 s14, 0
	s_and_saveexec_b32 s1, s16
	s_cbranch_execnz .LBB22_1295
; %bb.1284:
	s_or_b32 exec_lo, exec_lo, s1
	s_and_saveexec_b32 s1, s18
	s_delay_alu instid0(SALU_CYCLE_1)
	s_xor_b32 s1, exec_lo, s1
	s_cbranch_execz .LBB22_1286
.LBB22_1285:
	global_load_u8 v2, v[0:1], off
	s_or_b32 s0, s0, exec_lo
	s_waitcnt vmcnt(0)
	v_cmp_ne_u16_e32 vcc_lo, 0, v2
	v_mov_b32_e32 v2, 0
	v_cndmask_b32_e64 v3, 0, 0x3ff00000, vcc_lo
.LBB22_1286:
	s_or_b32 exec_lo, exec_lo, s1
	s_and_saveexec_b32 s1, s19
	s_cbranch_execz .LBB22_1334
; %bb.1287:
	s_waitcnt vmcnt(0)
	s_delay_alu instid0(VALU_DEP_1)
	v_cmp_gt_i16_e32 vcc_lo, 5, v4
	s_cbranch_vccnz .LBB22_1292
; %bb.1288:
	v_cmp_gt_i16_e32 vcc_lo, 8, v4
	s_cbranch_vccnz .LBB22_1293
; %bb.1289:
	;; [unrolled: 3-line block ×3, first 2 shown]
	v_cmp_lt_i16_e32 vcc_lo, 9, v4
	s_cbranch_vccz .LBB22_1297
; %bb.1291:
	global_load_b64 v[2:3], v[0:1], off
	s_mov_b32 s16, 0
	s_branch .LBB22_1298
.LBB22_1292:
                                        ; implicit-def: $vgpr2_vgpr3
	s_branch .LBB22_1315
.LBB22_1293:
                                        ; implicit-def: $vgpr2_vgpr3
	s_branch .LBB22_1304
.LBB22_1294:
	s_mov_b32 s16, -1
                                        ; implicit-def: $vgpr2_vgpr3
	s_branch .LBB22_1301
.LBB22_1295:
	s_cbranch_execnz .LBB22_1346
; %bb.1296:
	s_mov_b32 s14, exec_lo
	s_and_not1_b32 s18, s18, exec_lo
                                        ; implicit-def: $vgpr2_vgpr3
	s_or_b32 exec_lo, exec_lo, s1
	s_and_saveexec_b32 s1, s18
	s_delay_alu instid0(SALU_CYCLE_1)
	s_xor_b32 s1, exec_lo, s1
	s_cbranch_execnz .LBB22_1285
	s_branch .LBB22_1286
.LBB22_1297:
	s_mov_b32 s16, -1
                                        ; implicit-def: $vgpr2_vgpr3
.LBB22_1298:
	s_delay_alu instid0(SALU_CYCLE_1)
	s_and_not1_b32 vcc_lo, exec_lo, s16
	s_cbranch_vccnz .LBB22_1300
; %bb.1299:
	global_load_b32 v2, v[0:1], off
	s_waitcnt vmcnt(0)
	v_cvt_f64_f32_e32 v[2:3], v2
.LBB22_1300:
	s_mov_b32 s16, 0
.LBB22_1301:
	s_delay_alu instid0(SALU_CYCLE_1)
	s_and_not1_b32 vcc_lo, exec_lo, s16
	s_cbranch_vccnz .LBB22_1303
; %bb.1302:
	global_load_b32 v2, v[0:1], off
	s_waitcnt vmcnt(0)
	v_cvt_f32_f16_e32 v2, v2
	s_delay_alu instid0(VALU_DEP_1)
	v_cvt_f64_f32_e32 v[2:3], v2
.LBB22_1303:
	s_cbranch_execnz .LBB22_1314
.LBB22_1304:
	v_cmp_gt_i16_e32 vcc_lo, 6, v4
	s_cbranch_vccnz .LBB22_1307
; %bb.1305:
	v_cmp_lt_i16_e32 vcc_lo, 6, v4
	s_cbranch_vccz .LBB22_1308
; %bb.1306:
	global_load_b64 v[2:3], v[0:1], off
	s_mov_b32 s16, 0
	s_branch .LBB22_1309
.LBB22_1307:
	s_mov_b32 s16, -1
                                        ; implicit-def: $vgpr2_vgpr3
	s_branch .LBB22_1312
.LBB22_1308:
	s_mov_b32 s16, -1
                                        ; implicit-def: $vgpr2_vgpr3
.LBB22_1309:
	s_delay_alu instid0(SALU_CYCLE_1)
	s_and_not1_b32 vcc_lo, exec_lo, s16
	s_cbranch_vccnz .LBB22_1311
; %bb.1310:
	global_load_b32 v2, v[0:1], off
	s_waitcnt vmcnt(0)
	v_cvt_f64_f32_e32 v[2:3], v2
.LBB22_1311:
	s_mov_b32 s16, 0
.LBB22_1312:
	s_delay_alu instid0(SALU_CYCLE_1)
	s_and_not1_b32 vcc_lo, exec_lo, s16
	s_cbranch_vccnz .LBB22_1314
; %bb.1313:
	global_load_u16 v2, v[0:1], off
	s_waitcnt vmcnt(0)
	v_cvt_f32_f16_e32 v2, v2
	s_delay_alu instid0(VALU_DEP_1)
	v_cvt_f64_f32_e32 v[2:3], v2
.LBB22_1314:
	s_cbranch_execnz .LBB22_1333
.LBB22_1315:
	v_cmp_gt_i16_e32 vcc_lo, 2, v4
	s_cbranch_vccnz .LBB22_1319
; %bb.1316:
	v_cmp_gt_i16_e32 vcc_lo, 3, v4
	s_cbranch_vccnz .LBB22_1320
; %bb.1317:
	v_cmp_lt_i16_e32 vcc_lo, 3, v4
	s_cbranch_vccz .LBB22_1321
; %bb.1318:
	global_load_b64 v[2:3], v[0:1], off
	s_mov_b32 s16, 0
	s_waitcnt vmcnt(0)
	v_cvt_f64_i32_e32 v[5:6], v3
	v_cvt_f64_u32_e32 v[2:3], v2
	s_delay_alu instid0(VALU_DEP_2) | instskip(NEXT) | instid1(VALU_DEP_1)
	v_ldexp_f64 v[5:6], v[5:6], 32
	v_add_f64 v[2:3], v[5:6], v[2:3]
	s_branch .LBB22_1322
.LBB22_1319:
                                        ; implicit-def: $vgpr2_vgpr3
	s_branch .LBB22_1328
.LBB22_1320:
	s_mov_b32 s16, -1
                                        ; implicit-def: $vgpr2_vgpr3
	s_branch .LBB22_1325
.LBB22_1321:
	s_mov_b32 s16, -1
                                        ; implicit-def: $vgpr2_vgpr3
.LBB22_1322:
	s_delay_alu instid0(SALU_CYCLE_1)
	s_and_not1_b32 vcc_lo, exec_lo, s16
	s_cbranch_vccnz .LBB22_1324
; %bb.1323:
	global_load_b32 v2, v[0:1], off
	s_waitcnt vmcnt(0)
	v_cvt_f64_i32_e32 v[2:3], v2
.LBB22_1324:
	s_mov_b32 s16, 0
.LBB22_1325:
	s_delay_alu instid0(SALU_CYCLE_1)
	s_and_not1_b32 vcc_lo, exec_lo, s16
	s_cbranch_vccnz .LBB22_1327
; %bb.1326:
	global_load_i16 v2, v[0:1], off
	s_waitcnt vmcnt(0)
	v_cvt_f64_i32_e32 v[2:3], v2
.LBB22_1327:
	s_cbranch_execnz .LBB22_1333
.LBB22_1328:
	v_cmp_lt_i16_e32 vcc_lo, 0, v4
	s_mov_b32 s16, 0
	s_cbranch_vccz .LBB22_1330
; %bb.1329:
	global_load_i8 v2, v[0:1], off
	s_waitcnt vmcnt(0)
	v_cvt_f64_i32_e32 v[2:3], v2
	s_branch .LBB22_1331
.LBB22_1330:
	s_mov_b32 s16, -1
                                        ; implicit-def: $vgpr2_vgpr3
.LBB22_1331:
	s_delay_alu instid0(SALU_CYCLE_1)
	s_and_not1_b32 vcc_lo, exec_lo, s16
	s_cbranch_vccnz .LBB22_1333
; %bb.1332:
	global_load_u8 v0, v[0:1], off
	s_waitcnt vmcnt(0)
	v_cvt_f64_u32_e32 v[2:3], v0
.LBB22_1333:
	s_or_b32 s0, s0, exec_lo
.LBB22_1334:
	s_or_b32 exec_lo, exec_lo, s1
	s_mov_b32 s17, 0
	s_mov_b32 s19, 0
	;; [unrolled: 1-line block ×3, first 2 shown]
                                        ; implicit-def: $vgpr4
                                        ; implicit-def: $vgpr0_vgpr1
                                        ; implicit-def: $vgpr6_vgpr7
	s_and_saveexec_b32 s16, s0
	s_cbranch_execz .LBB22_1414
; %bb.1335:
	v_mul_lo_u32 v0, v15, s10
	s_waitcnt vmcnt(0)
	v_and_b32_e32 v4, 0xff, v8
	s_delay_alu instid0(VALU_DEP_1) | instskip(NEXT) | instid1(VALU_DEP_3)
	v_cmp_gt_i16_e32 vcc_lo, 11, v4
	v_ashrrev_i32_e32 v1, 31, v0
	v_add_co_u32 v0, s0, s2, v0
	s_delay_alu instid0(VALU_DEP_1)
	v_add_co_ci_u32_e64 v1, s0, s3, v1, s0
	s_cbranch_vccnz .LBB22_1342
; %bb.1336:
	v_cmp_lt_i16_e32 vcc_lo, 25, v4
	s_mov_b32 s18, 0
	s_cbranch_vccz .LBB22_1343
; %bb.1337:
	v_cmp_lt_i16_e32 vcc_lo, 28, v4
	s_cbranch_vccz .LBB22_1344
; %bb.1338:
	v_cmp_lt_i16_e32 vcc_lo, 43, v4
	;; [unrolled: 3-line block ×3, first 2 shown]
	s_cbranch_vccz .LBB22_1348
; %bb.1340:
	v_cmp_eq_u16_e32 vcc_lo, 46, v4
	s_cbranch_vccz .LBB22_1349
; %bb.1341:
	global_load_b32 v5, v[0:1], off
	s_mov_b32 s0, -1
	s_waitcnt vmcnt(0)
	v_lshlrev_b32_e32 v5, 16, v5
	s_delay_alu instid0(VALU_DEP_1)
	v_cvt_f64_f32_e32 v[6:7], v5
	s_branch .LBB22_1351
.LBB22_1342:
	s_mov_b32 s19, -1
	s_mov_b32 s0, 0
	s_mov_b32 s18, 0
	;; [unrolled: 1-line block ×3, first 2 shown]
                                        ; implicit-def: $vgpr6_vgpr7
	s_branch .LBB22_1413
.LBB22_1343:
	s_mov_b32 s0, 0
	s_mov_b32 s17, s15
                                        ; implicit-def: $vgpr6_vgpr7
	s_cbranch_execnz .LBB22_1382
	s_branch .LBB22_1412
.LBB22_1344:
	s_mov_b32 s1, -1
	s_mov_b32 s0, 0
	s_mov_b32 s17, s15
                                        ; implicit-def: $vgpr6_vgpr7
	s_branch .LBB22_1361
.LBB22_1345:
	s_mov_b32 s1, -1
	s_mov_b32 s0, 0
	s_mov_b32 s17, s15
                                        ; implicit-def: $vgpr6_vgpr7
	s_branch .LBB22_1356
.LBB22_1346:
	s_trap 2
	s_sendmsg_rtn_b32 s0, sendmsg(MSG_RTN_GET_DOORBELL)
	s_mov_b32 ttmp2, m0
	s_waitcnt lgkmcnt(0)
	s_and_b32 s0, s0, 0x3ff
	s_delay_alu instid0(SALU_CYCLE_1) | instskip(NEXT) | instid1(SALU_CYCLE_1)
	s_bitset1_b32 s0, 10
	s_mov_b32 m0, s0
	s_sendmsg sendmsg(MSG_INTERRUPT)
	s_mov_b32 m0, ttmp2
.LBB22_1347:                            ; =>This Inner Loop Header: Depth=1
	s_sethalt 5
	s_branch .LBB22_1347
.LBB22_1348:
	s_mov_b32 s1, -1
	s_mov_b32 s0, 0
	s_mov_b32 s17, s15
	s_branch .LBB22_1350
.LBB22_1349:
	s_mov_b32 s17, -1
	s_mov_b32 s0, 0
.LBB22_1350:
                                        ; implicit-def: $vgpr6_vgpr7
.LBB22_1351:
	s_and_b32 vcc_lo, exec_lo, s1
	s_cbranch_vccz .LBB22_1355
; %bb.1352:
	v_cmp_eq_u16_e32 vcc_lo, 44, v4
	s_cbranch_vccz .LBB22_1354
; %bb.1353:
	global_load_u8 v7, v[0:1], off
	s_mov_b32 s17, 0
	s_mov_b32 s0, -1
	s_waitcnt vmcnt(0)
	v_cmp_ne_u32_e32 vcc_lo, 0xff, v7
	v_lshlrev_b32_e32 v5, 23, v7
	s_delay_alu instid0(VALU_DEP_1) | instskip(NEXT) | instid1(VALU_DEP_1)
	v_cvt_f64_f32_e32 v[5:6], v5
	v_cndmask_b32_e32 v6, 0x7ff80000, v6, vcc_lo
	s_delay_alu instid0(VALU_DEP_2) | instskip(SKIP_1) | instid1(VALU_DEP_3)
	v_cndmask_b32_e32 v5, 0x20000000, v5, vcc_lo
	v_cmp_ne_u32_e32 vcc_lo, 0, v7
	v_cndmask_b32_e32 v7, 0x38000000, v6, vcc_lo
	s_delay_alu instid0(VALU_DEP_3)
	v_cndmask_b32_e32 v6, 0, v5, vcc_lo
	s_branch .LBB22_1355
.LBB22_1354:
	s_mov_b32 s17, -1
                                        ; implicit-def: $vgpr6_vgpr7
.LBB22_1355:
	s_mov_b32 s1, 0
.LBB22_1356:
	s_delay_alu instid0(SALU_CYCLE_1)
	s_and_b32 vcc_lo, exec_lo, s1
	s_cbranch_vccz .LBB22_1360
; %bb.1357:
	v_cmp_eq_u16_e32 vcc_lo, 29, v4
	s_cbranch_vccz .LBB22_1359
; %bb.1358:
	global_load_b64 v[5:6], v[0:1], off
	s_mov_b32 s17, 0
	s_mov_b32 s0, -1
	s_mov_b32 s1, 0
	s_waitcnt vmcnt(0)
	v_cvt_f64_u32_e32 v[6:7], v6
	v_cvt_f64_u32_e32 v[8:9], v5
	s_delay_alu instid0(VALU_DEP_2) | instskip(NEXT) | instid1(VALU_DEP_1)
	v_ldexp_f64 v[6:7], v[6:7], 32
	v_add_f64 v[6:7], v[6:7], v[8:9]
	s_branch .LBB22_1361
.LBB22_1359:
	s_mov_b32 s17, -1
                                        ; implicit-def: $vgpr6_vgpr7
.LBB22_1360:
	s_mov_b32 s1, 0
.LBB22_1361:
	s_delay_alu instid0(SALU_CYCLE_1)
	s_and_b32 vcc_lo, exec_lo, s1
	s_cbranch_vccz .LBB22_1381
; %bb.1362:
	v_cmp_gt_i16_e32 vcc_lo, 27, v4
	s_cbranch_vccnz .LBB22_1365
; %bb.1363:
	v_cmp_lt_i16_e32 vcc_lo, 27, v4
	s_cbranch_vccz .LBB22_1366
; %bb.1364:
	global_load_b32 v5, v[0:1], off
	s_mov_b32 s0, 0
	s_waitcnt vmcnt(0)
	v_cvt_f64_u32_e32 v[6:7], v5
	s_branch .LBB22_1367
.LBB22_1365:
	s_mov_b32 s0, -1
                                        ; implicit-def: $vgpr6_vgpr7
	s_branch .LBB22_1370
.LBB22_1366:
	s_mov_b32 s0, -1
                                        ; implicit-def: $vgpr6_vgpr7
.LBB22_1367:
	s_delay_alu instid0(SALU_CYCLE_1)
	s_and_not1_b32 vcc_lo, exec_lo, s0
	s_cbranch_vccnz .LBB22_1369
; %bb.1368:
	global_load_u16 v5, v[0:1], off
	s_waitcnt vmcnt(0)
	v_cvt_f64_u32_e32 v[6:7], v5
.LBB22_1369:
	s_mov_b32 s0, 0
.LBB22_1370:
	s_delay_alu instid0(SALU_CYCLE_1)
	s_and_not1_b32 vcc_lo, exec_lo, s0
	s_cbranch_vccnz .LBB22_1380
; %bb.1371:
	global_load_u8 v5, v[0:1], off
	s_mov_b32 s20, exec_lo
                                        ; implicit-def: $sgpr0_sgpr1
	s_waitcnt vmcnt(0)
	v_cmpx_lt_i16_e32 0x7f, v5
	s_xor_b32 s20, exec_lo, s20
	s_cbranch_execz .LBB22_1375
; %bb.1372:
	s_mov_b32 s21, -1
	s_mov_b32 s19, exec_lo
                                        ; implicit-def: $sgpr0_sgpr1
	v_cmpx_eq_u16_e32 0x80, v5
; %bb.1373:
	s_mov_b32 s1, 0x7ff80000
	s_brev_b32 s0, 4
	s_xor_b32 s21, exec_lo, -1
; %bb.1374:
	s_or_b32 exec_lo, exec_lo, s19
	s_delay_alu instid0(SALU_CYCLE_1)
	s_and_b32 s19, s21, exec_lo
.LBB22_1375:
	s_or_saveexec_b32 s20, s20
	v_dual_mov_b32 v7, s1 :: v_dual_mov_b32 v6, s0
	s_xor_b32 exec_lo, exec_lo, s20
; %bb.1376:
	v_cmp_ne_u16_e32 vcc_lo, 0, v5
	v_mov_b32_e32 v6, 0
	v_mov_b32_e32 v7, 0
	s_and_not1_b32 s0, s19, exec_lo
	s_and_b32 s1, vcc_lo, exec_lo
	s_delay_alu instid0(SALU_CYCLE_1)
	s_or_b32 s19, s0, s1
; %bb.1377:
	s_or_b32 exec_lo, exec_lo, s20
	s_and_saveexec_b32 s0, s19
	s_cbranch_execz .LBB22_1379
; %bb.1378:
	v_and_b32_e32 v6, 0xffff, v5
	v_lshlrev_b32_e32 v5, 24, v5
	s_delay_alu instid0(VALU_DEP_2) | instskip(NEXT) | instid1(VALU_DEP_2)
	v_and_b32_e32 v7, 7, v6
	v_and_b32_e32 v5, 0x80000000, v5
	s_delay_alu instid0(VALU_DEP_2) | instskip(NEXT) | instid1(VALU_DEP_1)
	v_clz_i32_u32_e32 v8, v7
	v_min_u32_e32 v8, 32, v8
	s_delay_alu instid0(VALU_DEP_1) | instskip(SKIP_1) | instid1(VALU_DEP_2)
	v_subrev_nc_u32_e32 v9, 28, v8
	v_sub_nc_u32_e32 v8, 29, v8
	v_lshlrev_b32_e32 v9, v9, v6
	v_bfe_u32 v6, v6, 3, 4
	s_delay_alu instid0(VALU_DEP_2) | instskip(NEXT) | instid1(VALU_DEP_2)
	v_and_b32_e32 v9, 7, v9
	v_cmp_eq_u32_e32 vcc_lo, 0, v6
	s_delay_alu instid0(VALU_DEP_2) | instskip(NEXT) | instid1(VALU_DEP_1)
	v_dual_cndmask_b32 v6, v6, v8 :: v_dual_cndmask_b32 v7, v7, v9
	v_lshl_add_u32 v6, v6, 23, 0x3b800000
	s_delay_alu instid0(VALU_DEP_2) | instskip(NEXT) | instid1(VALU_DEP_1)
	v_lshlrev_b32_e32 v7, 20, v7
	v_or3_b32 v5, v5, v6, v7
	s_delay_alu instid0(VALU_DEP_1)
	v_cvt_f64_f32_e32 v[6:7], v5
.LBB22_1379:
	s_or_b32 exec_lo, exec_lo, s0
.LBB22_1380:
	s_mov_b32 s0, -1
.LBB22_1381:
	s_branch .LBB22_1412
.LBB22_1382:
	v_cmp_lt_i16_e32 vcc_lo, 22, v4
	s_cbranch_vccz .LBB22_1394
; %bb.1383:
	v_cmp_gt_i16_e32 vcc_lo, 24, v4
	s_cbranch_vccnz .LBB22_1395
; %bb.1384:
	v_cmp_lt_i16_e32 vcc_lo, 24, v4
	s_cbranch_vccz .LBB22_1396
; %bb.1385:
	global_load_u8 v5, v[0:1], off
	s_mov_b32 s19, exec_lo
                                        ; implicit-def: $sgpr0_sgpr1
	s_waitcnt vmcnt(0)
	v_cmpx_lt_i16_e32 0x7f, v5
	s_xor_b32 s19, exec_lo, s19
	s_cbranch_execz .LBB22_1389
; %bb.1386:
	s_mov_b32 s20, -1
	s_mov_b32 s18, exec_lo
                                        ; implicit-def: $sgpr0_sgpr1
	v_cmpx_eq_u16_e32 0x80, v5
; %bb.1387:
	s_mov_b32 s1, 0x7ff80000
	s_brev_b32 s0, 4
	s_xor_b32 s20, exec_lo, -1
; %bb.1388:
	s_or_b32 exec_lo, exec_lo, s18
	s_delay_alu instid0(SALU_CYCLE_1)
	s_and_b32 s18, s20, exec_lo
.LBB22_1389:
	s_or_saveexec_b32 s19, s19
	v_dual_mov_b32 v7, s1 :: v_dual_mov_b32 v6, s0
	s_xor_b32 exec_lo, exec_lo, s19
; %bb.1390:
	v_cmp_ne_u16_e32 vcc_lo, 0, v5
	v_mov_b32_e32 v6, 0
	v_mov_b32_e32 v7, 0
	s_and_not1_b32 s0, s18, exec_lo
	s_and_b32 s1, vcc_lo, exec_lo
	s_delay_alu instid0(SALU_CYCLE_1)
	s_or_b32 s18, s0, s1
; %bb.1391:
	s_or_b32 exec_lo, exec_lo, s19
	s_and_saveexec_b32 s0, s18
	s_cbranch_execz .LBB22_1393
; %bb.1392:
	v_and_b32_e32 v6, 0xffff, v5
	v_lshlrev_b32_e32 v5, 24, v5
	s_delay_alu instid0(VALU_DEP_2) | instskip(NEXT) | instid1(VALU_DEP_2)
	v_and_b32_e32 v7, 3, v6
	v_and_b32_e32 v5, 0x80000000, v5
	s_delay_alu instid0(VALU_DEP_2) | instskip(NEXT) | instid1(VALU_DEP_1)
	v_clz_i32_u32_e32 v8, v7
	v_min_u32_e32 v8, 32, v8
	s_delay_alu instid0(VALU_DEP_1) | instskip(SKIP_1) | instid1(VALU_DEP_2)
	v_subrev_nc_u32_e32 v9, 29, v8
	v_sub_nc_u32_e32 v8, 30, v8
	v_lshlrev_b32_e32 v9, v9, v6
	v_bfe_u32 v6, v6, 2, 5
	s_delay_alu instid0(VALU_DEP_2) | instskip(NEXT) | instid1(VALU_DEP_2)
	v_and_b32_e32 v9, 3, v9
	v_cmp_eq_u32_e32 vcc_lo, 0, v6
	s_delay_alu instid0(VALU_DEP_2) | instskip(NEXT) | instid1(VALU_DEP_1)
	v_dual_cndmask_b32 v6, v6, v8 :: v_dual_cndmask_b32 v7, v7, v9
	v_lshl_add_u32 v6, v6, 23, 0x37800000
	s_delay_alu instid0(VALU_DEP_2) | instskip(NEXT) | instid1(VALU_DEP_1)
	v_lshlrev_b32_e32 v7, 21, v7
	v_or3_b32 v5, v5, v6, v7
	s_delay_alu instid0(VALU_DEP_1)
	v_cvt_f64_f32_e32 v[6:7], v5
.LBB22_1393:
	s_or_b32 exec_lo, exec_lo, s0
	s_mov_b32 s0, 0
	s_branch .LBB22_1397
.LBB22_1394:
	s_mov_b32 s1, -1
                                        ; implicit-def: $vgpr6_vgpr7
	s_branch .LBB22_1403
.LBB22_1395:
	s_mov_b32 s0, -1
                                        ; implicit-def: $vgpr6_vgpr7
	s_branch .LBB22_1400
.LBB22_1396:
	s_mov_b32 s0, -1
                                        ; implicit-def: $vgpr6_vgpr7
.LBB22_1397:
	s_delay_alu instid0(SALU_CYCLE_1)
	s_and_b32 vcc_lo, exec_lo, s0
	s_cbranch_vccz .LBB22_1399
; %bb.1398:
	global_load_u8 v5, v[0:1], off
	s_waitcnt vmcnt(0)
	v_lshlrev_b32_e32 v5, 24, v5
	s_delay_alu instid0(VALU_DEP_1) | instskip(NEXT) | instid1(VALU_DEP_1)
	v_and_b32_e32 v6, 0x7f000000, v5
	v_clz_i32_u32_e32 v7, v6
	v_add_nc_u32_e32 v9, 0x1000000, v6
	v_cmp_ne_u32_e32 vcc_lo, 0, v6
	s_delay_alu instid0(VALU_DEP_3) | instskip(NEXT) | instid1(VALU_DEP_1)
	v_min_u32_e32 v7, 32, v7
	v_sub_nc_u32_e64 v7, v7, 4 clamp
	s_delay_alu instid0(VALU_DEP_1) | instskip(SKIP_1) | instid1(VALU_DEP_2)
	v_lshlrev_b32_e32 v8, v7, v6
	v_lshlrev_b32_e32 v7, 23, v7
	v_lshrrev_b32_e32 v8, 4, v8
	s_delay_alu instid0(VALU_DEP_1) | instskip(SKIP_1) | instid1(VALU_DEP_2)
	v_sub_nc_u32_e32 v7, v8, v7
	v_ashrrev_i32_e32 v8, 8, v9
	v_add_nc_u32_e32 v7, 0x3c000000, v7
	s_delay_alu instid0(VALU_DEP_1) | instskip(NEXT) | instid1(VALU_DEP_1)
	v_and_or_b32 v7, 0x7f800000, v8, v7
	v_cndmask_b32_e32 v6, 0, v7, vcc_lo
	s_delay_alu instid0(VALU_DEP_1) | instskip(NEXT) | instid1(VALU_DEP_1)
	v_and_or_b32 v5, 0x80000000, v5, v6
	v_cvt_f64_f32_e32 v[6:7], v5
.LBB22_1399:
	s_mov_b32 s0, 0
.LBB22_1400:
	s_delay_alu instid0(SALU_CYCLE_1)
	s_and_not1_b32 vcc_lo, exec_lo, s0
	s_cbranch_vccnz .LBB22_1402
; %bb.1401:
	global_load_u8 v5, v[0:1], off
	s_waitcnt vmcnt(0)
	v_lshlrev_b32_e32 v6, 25, v5
	v_lshlrev_b16 v5, 8, v5
	s_delay_alu instid0(VALU_DEP_2) | instskip(NEXT) | instid1(VALU_DEP_2)
	v_lshrrev_b32_e32 v7, 4, v6
	v_and_or_b32 v8, 0x7f00, v5, 0.5
	v_bfe_i32 v5, v5, 0, 16
	s_delay_alu instid0(VALU_DEP_3) | instskip(NEXT) | instid1(VALU_DEP_1)
	v_or_b32_e32 v7, 0x70000000, v7
	v_dual_add_f32 v8, -0.5, v8 :: v_dual_mul_f32 v7, 0x7800000, v7
	v_cmp_gt_u32_e32 vcc_lo, 0x8000000, v6
	s_delay_alu instid0(VALU_DEP_2) | instskip(NEXT) | instid1(VALU_DEP_1)
	v_cndmask_b32_e32 v6, v7, v8, vcc_lo
	v_and_or_b32 v5, 0x80000000, v5, v6
	s_delay_alu instid0(VALU_DEP_1)
	v_cvt_f64_f32_e32 v[6:7], v5
.LBB22_1402:
	s_mov_b32 s1, 0
	s_mov_b32 s0, -1
.LBB22_1403:
	s_and_not1_b32 vcc_lo, exec_lo, s1
	s_mov_b32 s18, 0
	s_cbranch_vccnz .LBB22_1412
; %bb.1404:
	v_cmp_lt_i16_e32 vcc_lo, 14, v4
	s_cbranch_vccz .LBB22_1407
; %bb.1405:
	v_cmp_eq_u16_e32 vcc_lo, 15, v4
	s_cbranch_vccz .LBB22_1408
; %bb.1406:
	global_load_u16 v5, v[0:1], off
	s_mov_b32 s17, 0
	s_mov_b32 s0, -1
	s_waitcnt vmcnt(0)
	v_lshlrev_b32_e32 v5, 16, v5
	s_delay_alu instid0(VALU_DEP_1)
	v_cvt_f64_f32_e32 v[6:7], v5
	s_branch .LBB22_1409
.LBB22_1407:
	s_mov_b32 s1, -1
                                        ; implicit-def: $vgpr6_vgpr7
	s_branch .LBB22_1410
.LBB22_1408:
	s_mov_b32 s17, -1
                                        ; implicit-def: $vgpr6_vgpr7
.LBB22_1409:
	s_mov_b32 s1, 0
.LBB22_1410:
	s_delay_alu instid0(SALU_CYCLE_1)
	s_and_b32 vcc_lo, exec_lo, s1
	s_cbranch_vccz .LBB22_1412
; %bb.1411:
	v_cmp_ne_u16_e32 vcc_lo, 11, v4
	s_and_not1_b32 s1, s17, exec_lo
	s_mov_b32 s18, -1
                                        ; implicit-def: $vgpr6_vgpr7
	s_and_b32 s17, vcc_lo, exec_lo
	s_delay_alu instid0(SALU_CYCLE_1)
	s_or_b32 s17, s1, s17
.LBB22_1412:
	s_mov_b32 s19, 0
.LBB22_1413:
	s_and_b32 s1, s0, exec_lo
	s_and_not1_b32 s0, s15, exec_lo
	s_and_b32 s15, s17, exec_lo
	s_and_b32 s19, s19, exec_lo
	;; [unrolled: 1-line block ×3, first 2 shown]
	s_or_b32 s15, s0, s15
.LBB22_1414:
	s_or_b32 exec_lo, exec_lo, s16
	s_and_saveexec_b32 s0, s15
	s_cbranch_execnz .LBB22_1426
; %bb.1415:
	s_or_b32 exec_lo, exec_lo, s0
	s_and_saveexec_b32 s0, s17
	s_delay_alu instid0(SALU_CYCLE_1)
	s_xor_b32 s0, exec_lo, s0
	s_cbranch_execz .LBB22_1417
.LBB22_1416:
	global_load_u8 v5, v[0:1], off
	v_mov_b32_e32 v6, 0
	s_or_b32 s1, s1, exec_lo
	s_waitcnt vmcnt(0)
	v_cmp_ne_u16_e32 vcc_lo, 0, v5
	v_cndmask_b32_e64 v7, 0, 0x3ff00000, vcc_lo
.LBB22_1417:
	s_or_b32 exec_lo, exec_lo, s0
	s_and_saveexec_b32 s0, s19
	s_cbranch_execz .LBB22_1465
; %bb.1418:
	s_waitcnt vmcnt(0)
	v_cmp_gt_i16_e32 vcc_lo, 5, v4
	s_cbranch_vccnz .LBB22_1423
; %bb.1419:
	v_cmp_gt_i16_e32 vcc_lo, 8, v4
	s_cbranch_vccnz .LBB22_1424
; %bb.1420:
	;; [unrolled: 3-line block ×3, first 2 shown]
	v_cmp_lt_i16_e32 vcc_lo, 9, v4
	s_cbranch_vccz .LBB22_1428
; %bb.1422:
	global_load_b64 v[6:7], v[0:1], off
	s_mov_b32 s15, 0
	s_branch .LBB22_1429
.LBB22_1423:
                                        ; implicit-def: $vgpr6_vgpr7
	s_branch .LBB22_1446
.LBB22_1424:
                                        ; implicit-def: $vgpr6_vgpr7
	s_branch .LBB22_1435
.LBB22_1425:
	s_mov_b32 s15, -1
                                        ; implicit-def: $vgpr6_vgpr7
	s_branch .LBB22_1432
.LBB22_1426:
	s_cbranch_execnz .LBB22_1486
; %bb.1427:
	s_or_b32 s14, s14, exec_lo
	s_and_not1_b32 s17, s17, exec_lo
                                        ; implicit-def: $vgpr6_vgpr7
	s_or_b32 exec_lo, exec_lo, s0
	s_and_saveexec_b32 s0, s17
	s_delay_alu instid0(SALU_CYCLE_1)
	s_xor_b32 s0, exec_lo, s0
	s_cbranch_execnz .LBB22_1416
	s_branch .LBB22_1417
.LBB22_1428:
	s_mov_b32 s15, -1
                                        ; implicit-def: $vgpr6_vgpr7
.LBB22_1429:
	s_delay_alu instid0(SALU_CYCLE_1)
	s_and_not1_b32 vcc_lo, exec_lo, s15
	s_cbranch_vccnz .LBB22_1431
; %bb.1430:
	global_load_b32 v5, v[0:1], off
	s_waitcnt vmcnt(0)
	v_cvt_f64_f32_e32 v[6:7], v5
.LBB22_1431:
	s_mov_b32 s15, 0
.LBB22_1432:
	s_delay_alu instid0(SALU_CYCLE_1)
	s_and_not1_b32 vcc_lo, exec_lo, s15
	s_cbranch_vccnz .LBB22_1434
; %bb.1433:
	global_load_b32 v5, v[0:1], off
	s_waitcnt vmcnt(0)
	v_cvt_f32_f16_e32 v5, v5
	s_delay_alu instid0(VALU_DEP_1)
	v_cvt_f64_f32_e32 v[6:7], v5
.LBB22_1434:
	s_cbranch_execnz .LBB22_1445
.LBB22_1435:
	v_cmp_gt_i16_e32 vcc_lo, 6, v4
	s_cbranch_vccnz .LBB22_1438
; %bb.1436:
	v_cmp_lt_i16_e32 vcc_lo, 6, v4
	s_cbranch_vccz .LBB22_1439
; %bb.1437:
	global_load_b64 v[6:7], v[0:1], off
	s_mov_b32 s15, 0
	s_branch .LBB22_1440
.LBB22_1438:
	s_mov_b32 s15, -1
                                        ; implicit-def: $vgpr6_vgpr7
	s_branch .LBB22_1443
.LBB22_1439:
	s_mov_b32 s15, -1
                                        ; implicit-def: $vgpr6_vgpr7
.LBB22_1440:
	s_delay_alu instid0(SALU_CYCLE_1)
	s_and_not1_b32 vcc_lo, exec_lo, s15
	s_cbranch_vccnz .LBB22_1442
; %bb.1441:
	global_load_b32 v5, v[0:1], off
	s_waitcnt vmcnt(0)
	v_cvt_f64_f32_e32 v[6:7], v5
.LBB22_1442:
	s_mov_b32 s15, 0
.LBB22_1443:
	s_delay_alu instid0(SALU_CYCLE_1)
	s_and_not1_b32 vcc_lo, exec_lo, s15
	s_cbranch_vccnz .LBB22_1445
; %bb.1444:
	global_load_u16 v5, v[0:1], off
	s_waitcnt vmcnt(0)
	v_cvt_f32_f16_e32 v5, v5
	s_delay_alu instid0(VALU_DEP_1)
	v_cvt_f64_f32_e32 v[6:7], v5
.LBB22_1445:
	s_cbranch_execnz .LBB22_1464
.LBB22_1446:
	v_cmp_gt_i16_e32 vcc_lo, 2, v4
	s_cbranch_vccnz .LBB22_1450
; %bb.1447:
	v_cmp_gt_i16_e32 vcc_lo, 3, v4
	s_cbranch_vccnz .LBB22_1451
; %bb.1448:
	v_cmp_lt_i16_e32 vcc_lo, 3, v4
	s_cbranch_vccz .LBB22_1452
; %bb.1449:
	global_load_b64 v[5:6], v[0:1], off
	s_mov_b32 s15, 0
	s_waitcnt vmcnt(0)
	v_cvt_f64_i32_e32 v[6:7], v6
	v_cvt_f64_u32_e32 v[8:9], v5
	s_delay_alu instid0(VALU_DEP_2) | instskip(NEXT) | instid1(VALU_DEP_1)
	v_ldexp_f64 v[6:7], v[6:7], 32
	v_add_f64 v[6:7], v[6:7], v[8:9]
	s_branch .LBB22_1453
.LBB22_1450:
                                        ; implicit-def: $vgpr6_vgpr7
	s_branch .LBB22_1459
.LBB22_1451:
	s_mov_b32 s15, -1
                                        ; implicit-def: $vgpr6_vgpr7
	s_branch .LBB22_1456
.LBB22_1452:
	s_mov_b32 s15, -1
                                        ; implicit-def: $vgpr6_vgpr7
.LBB22_1453:
	s_delay_alu instid0(SALU_CYCLE_1)
	s_and_not1_b32 vcc_lo, exec_lo, s15
	s_cbranch_vccnz .LBB22_1455
; %bb.1454:
	global_load_b32 v5, v[0:1], off
	s_waitcnt vmcnt(0)
	v_cvt_f64_i32_e32 v[6:7], v5
.LBB22_1455:
	s_mov_b32 s15, 0
.LBB22_1456:
	s_delay_alu instid0(SALU_CYCLE_1)
	s_and_not1_b32 vcc_lo, exec_lo, s15
	s_cbranch_vccnz .LBB22_1458
; %bb.1457:
	global_load_i16 v5, v[0:1], off
	s_waitcnt vmcnt(0)
	v_cvt_f64_i32_e32 v[6:7], v5
.LBB22_1458:
	s_cbranch_execnz .LBB22_1464
.LBB22_1459:
	v_cmp_lt_i16_e32 vcc_lo, 0, v4
	s_mov_b32 s15, 0
	s_cbranch_vccz .LBB22_1461
; %bb.1460:
	global_load_i8 v4, v[0:1], off
	s_waitcnt vmcnt(0)
	v_cvt_f64_i32_e32 v[6:7], v4
	s_branch .LBB22_1462
.LBB22_1461:
	s_mov_b32 s15, -1
                                        ; implicit-def: $vgpr6_vgpr7
.LBB22_1462:
	s_delay_alu instid0(SALU_CYCLE_1)
	s_and_not1_b32 vcc_lo, exec_lo, s15
	s_cbranch_vccnz .LBB22_1464
; %bb.1463:
	global_load_u8 v0, v[0:1], off
	s_waitcnt vmcnt(0)
	v_cvt_f64_u32_e32 v[6:7], v0
.LBB22_1464:
	s_or_b32 s1, s1, exec_lo
.LBB22_1465:
	s_or_b32 exec_lo, exec_lo, s0
	s_mov_b32 s0, 0
	s_mov_b32 s16, 0
                                        ; implicit-def: $vgpr8
                                        ; implicit-def: $vgpr4_vgpr5
                                        ; implicit-def: $vgpr0_vgpr1
	s_and_saveexec_b32 s15, s1
	s_cbranch_execz .LBB22_1557
; %bb.1466:
	s_waitcnt vmcnt(0)
	s_delay_alu instid0(VALU_DEP_1) | instskip(SKIP_2) | instid1(VALU_DEP_2)
	v_trunc_f64_e32 v[0:1], v[6:7]
	v_cmp_class_f64_e64 vcc_lo, v[6:7], 0x1f8
	s_mov_b32 s16, exec_lo
	v_ldexp_f64 v[4:5], v[0:1], 0xffffffe0
	s_delay_alu instid0(VALU_DEP_1) | instskip(NEXT) | instid1(VALU_DEP_1)
	v_floor_f64_e32 v[4:5], v[4:5]
	v_fma_f64 v[0:1], 0xc1f00000, v[4:5], v[0:1]
	v_cvt_i32_f64_e32 v4, v[4:5]
	s_delay_alu instid0(VALU_DEP_2) | instskip(NEXT) | instid1(VALU_DEP_2)
	v_cvt_u32_f64_e32 v0, v[0:1]
	v_cndmask_b32_e32 v5, -1, v4, vcc_lo
	s_delay_alu instid0(VALU_DEP_2) | instskip(SKIP_2) | instid1(VALU_DEP_3)
	v_cndmask_b32_e32 v4, -1, v0, vcc_lo
	v_mov_b32_e32 v0, 0
	v_mov_b32_e32 v1, 0
	v_cmpx_lt_i64_e32 -1, v[4:5]
	s_cbranch_execz .LBB22_1478
; %bb.1467:
	v_mov_b32_e32 v0, 0
	v_mov_b32_e32 v1, 0x3ff00000
	s_mov_b32 s17, exec_lo
	v_cmpx_lt_i64_e32 0, v[4:5]
	s_cbranch_execz .LBB22_1477
; %bb.1468:
                                        ; implicit-def: $vgpr0_vgpr1
	s_mov_b32 s0, exec_lo
	v_cmpx_ne_u64_e32 1, v[4:5]
	s_xor_b32 s18, exec_lo, s0
	s_cbranch_execz .LBB22_1474
; %bb.1469:
	v_mov_b32_e32 v0, 0
	v_mov_b32_e32 v1, 0x7ff80000
	s_mov_b32 s19, exec_lo
	v_cmpx_gt_u64_e32 0x201, v[4:5]
	s_cbranch_execz .LBB22_1473
; %bb.1470:
	v_add_f64 v[2:3], v[2:3], v[2:3]
	v_mov_b32_e32 v6, 0
	v_lshlrev_b64 v[4:5], 1, v[4:5]
	v_mov_b32_e32 v7, 0x3ff00000
	s_mov_b64 s[0:1], 2
	s_mov_b32 s20, 0
	s_delay_alu instid0(VALU_DEP_4)
	v_dual_mov_b32 v0, v2 :: v_dual_mov_b32 v1, v3
	.p2align	6
.LBB22_1471:                            ; =>This Inner Loop Header: Depth=1
	v_cvt_f64_u32_e32 v[8:9], s1
	v_cvt_f64_u32_e32 v[10:11], s0
	s_add_u32 s0, s0, 2
	s_addc_u32 s1, s1, 0
	s_delay_alu instid0(SALU_CYCLE_1) | instskip(SKIP_1) | instid1(VALU_DEP_3)
	v_cmp_ge_u64_e32 vcc_lo, s[0:1], v[4:5]
	s_or_b32 s20, vcc_lo, s20
	v_ldexp_f64 v[8:9], v[8:9], 32
	s_delay_alu instid0(VALU_DEP_1) | instskip(NEXT) | instid1(VALU_DEP_1)
	v_add_f64 v[8:9], v[8:9], v[10:11]
	v_mul_f64 v[6:7], v[6:7], v[8:9]
	v_dual_mov_b32 v9, v1 :: v_dual_mov_b32 v8, v0
	s_delay_alu instid0(VALU_DEP_1)
	v_fma_f64 v[0:1], v[2:3], v[8:9], -v[6:7]
	v_dual_mov_b32 v6, v8 :: v_dual_mov_b32 v7, v9
	s_and_not1_b32 exec_lo, exec_lo, s20
	s_cbranch_execnz .LBB22_1471
; %bb.1472:
	s_or_b32 exec_lo, exec_lo, s20
.LBB22_1473:
	s_delay_alu instid0(SALU_CYCLE_1)
	s_or_b32 exec_lo, exec_lo, s19
                                        ; implicit-def: $vgpr2_vgpr3
.LBB22_1474:
	s_and_not1_saveexec_b32 s0, s18
; %bb.1475:
	v_add_f64 v[0:1], v[2:3], v[2:3]
; %bb.1476:
	s_or_b32 exec_lo, exec_lo, s0
.LBB22_1477:
	s_delay_alu instid0(SALU_CYCLE_1)
	s_or_b32 exec_lo, exec_lo, s17
.LBB22_1478:
	s_delay_alu instid0(SALU_CYCLE_1) | instskip(SKIP_2) | instid1(VALU_DEP_1)
	s_or_b32 exec_lo, exec_lo, s16
	v_mul_lo_u32 v2, v15, s8
	v_and_b32_e32 v8, 0xff, v14
	v_cmp_gt_i16_e32 vcc_lo, 11, v8
	s_delay_alu instid0(VALU_DEP_3) | instskip(SKIP_1) | instid1(VALU_DEP_1)
	v_ashrrev_i32_e32 v3, 31, v2
	v_add_co_u32 v4, s0, s4, v2
	v_add_co_ci_u32_e64 v5, s0, s5, v3, s0
	s_cbranch_vccnz .LBB22_1485
; %bb.1479:
	v_cmp_lt_i16_e32 vcc_lo, 25, v8
	s_mov_b32 s1, -1
	s_mov_b32 s0, s13
	s_cbranch_vccz .LBB22_1515
; %bb.1480:
	v_cmp_lt_i16_e32 vcc_lo, 28, v8
	s_mov_b32 s0, s13
	s_cbranch_vccz .LBB22_1499
; %bb.1481:
	v_cmp_lt_i16_e32 vcc_lo, 43, v8
	;; [unrolled: 4-line block ×3, first 2 shown]
	s_mov_b32 s0, s13
	s_cbranch_vccz .LBB22_1489
; %bb.1483:
	v_cmp_eq_u16_e32 vcc_lo, 46, v8
	s_mov_b32 s0, -1
	s_cbranch_vccz .LBB22_1488
; %bb.1484:
	v_cvt_f32_f64_e32 v2, v[0:1]
	s_mov_b32 s0, 0
	s_mov_b32 s1, 0
	s_delay_alu instid0(VALU_DEP_1) | instskip(SKIP_1) | instid1(VALU_DEP_2)
	v_bfe_u32 v3, v2, 16, 1
	v_cmp_o_f32_e32 vcc_lo, v2, v2
	v_add3_u32 v3, v2, v3, 0x7fff
	s_delay_alu instid0(VALU_DEP_1) | instskip(NEXT) | instid1(VALU_DEP_1)
	v_lshrrev_b32_e32 v3, 16, v3
	v_cndmask_b32_e32 v2, 0x7fc0, v3, vcc_lo
	global_store_b32 v[4:5], v2, off
	s_branch .LBB22_1489
.LBB22_1485:
	s_mov_b32 s17, 0
	s_mov_b32 s1, -1
	s_mov_b32 s0, s13
	s_branch .LBB22_1556
.LBB22_1486:
	s_trap 2
	s_sendmsg_rtn_b32 s0, sendmsg(MSG_RTN_GET_DOORBELL)
	s_mov_b32 ttmp2, m0
	s_waitcnt lgkmcnt(0)
	s_and_b32 s0, s0, 0x3ff
	s_delay_alu instid0(SALU_CYCLE_1) | instskip(NEXT) | instid1(SALU_CYCLE_1)
	s_bitset1_b32 s0, 10
	s_mov_b32 m0, s0
	s_sendmsg sendmsg(MSG_INTERRUPT)
	s_mov_b32 m0, ttmp2
.LBB22_1487:                            ; =>This Inner Loop Header: Depth=1
	s_sethalt 5
	s_branch .LBB22_1487
.LBB22_1488:
	s_mov_b32 s1, 0
.LBB22_1489:
	s_delay_alu instid0(SALU_CYCLE_1)
	s_and_b32 vcc_lo, exec_lo, s1
	s_cbranch_vccz .LBB22_1494
; %bb.1490:
	v_cmp_eq_u16_e32 vcc_lo, 44, v8
	s_mov_b32 s0, -1
	s_cbranch_vccz .LBB22_1494
; %bb.1491:
	v_cvt_f32_f64_e32 v2, v[0:1]
	v_mov_b32_e32 v3, 0xff
	s_mov_b32 s1, exec_lo
	s_delay_alu instid0(VALU_DEP_2) | instskip(NEXT) | instid1(VALU_DEP_1)
	v_bfe_u32 v6, v2, 23, 8
	v_cmpx_ne_u32_e32 0xff, v6
; %bb.1492:
	v_and_b32_e32 v3, 0x400000, v2
	v_and_or_b32 v6, 0x3fffff, v2, v6
	v_lshrrev_b32_e32 v2, 23, v2
	s_delay_alu instid0(VALU_DEP_3) | instskip(NEXT) | instid1(VALU_DEP_3)
	v_cmp_ne_u32_e32 vcc_lo, 0, v3
	v_cmp_ne_u32_e64 s0, 0, v6
	s_delay_alu instid0(VALU_DEP_1) | instskip(NEXT) | instid1(SALU_CYCLE_1)
	s_and_b32 s0, vcc_lo, s0
	v_cndmask_b32_e64 v3, 0, 1, s0
	s_delay_alu instid0(VALU_DEP_1)
	v_add_nc_u32_e32 v3, v2, v3
; %bb.1493:
	s_or_b32 exec_lo, exec_lo, s1
	s_mov_b32 s0, 0
	global_store_b8 v[4:5], v3, off
.LBB22_1494:
	s_mov_b32 s1, 0
.LBB22_1495:
	s_delay_alu instid0(SALU_CYCLE_1)
	s_and_b32 vcc_lo, exec_lo, s1
	s_cbranch_vccz .LBB22_1498
; %bb.1496:
	v_cmp_eq_u16_e32 vcc_lo, 29, v8
	s_mov_b32 s0, -1
	s_cbranch_vccz .LBB22_1498
; %bb.1497:
	v_trunc_f64_e32 v[2:3], v[0:1]
	s_mov_b32 s0, 0
	s_mov_b32 s1, 0
	s_delay_alu instid0(VALU_DEP_1) | instskip(NEXT) | instid1(VALU_DEP_1)
	v_ldexp_f64 v[6:7], v[2:3], 0xffffffe0
	v_floor_f64_e32 v[6:7], v[6:7]
	s_delay_alu instid0(VALU_DEP_1) | instskip(SKIP_1) | instid1(VALU_DEP_2)
	v_fma_f64 v[2:3], 0xc1f00000, v[6:7], v[2:3]
	v_cvt_u32_f64_e32 v7, v[6:7]
	v_cvt_u32_f64_e32 v6, v[2:3]
	global_store_b64 v[4:5], v[6:7], off
	s_branch .LBB22_1499
.LBB22_1498:
	s_mov_b32 s1, 0
.LBB22_1499:
	s_delay_alu instid0(SALU_CYCLE_1)
	s_and_b32 vcc_lo, exec_lo, s1
	s_cbranch_vccz .LBB22_1514
; %bb.1500:
	v_cmp_gt_i16_e32 vcc_lo, 27, v8
	s_mov_b32 s1, -1
	s_cbranch_vccnz .LBB22_1506
; %bb.1501:
	v_cvt_u32_f64_e32 v2, v[0:1]
	v_cmp_lt_i16_e32 vcc_lo, 27, v8
	s_cbranch_vccz .LBB22_1503
; %bb.1502:
	s_mov_b32 s1, 0
	global_store_b32 v[4:5], v2, off
.LBB22_1503:
	s_and_not1_b32 vcc_lo, exec_lo, s1
	s_cbranch_vccnz .LBB22_1505
; %bb.1504:
	global_store_b16 v[4:5], v2, off
.LBB22_1505:
	s_mov_b32 s1, 0
.LBB22_1506:
	s_delay_alu instid0(SALU_CYCLE_1)
	s_and_not1_b32 vcc_lo, exec_lo, s1
	s_cbranch_vccnz .LBB22_1514
; %bb.1507:
	v_cvt_f32_f64_e32 v2, v[0:1]
	v_mov_b32_e32 v6, 0x80
	s_mov_b32 s1, exec_lo
	s_delay_alu instid0(VALU_DEP_2) | instskip(NEXT) | instid1(VALU_DEP_1)
	v_and_b32_e32 v3, 0x7fffffff, v2
	v_cmpx_gt_u32_e32 0x43800000, v3
	s_cbranch_execz .LBB22_1513
; %bb.1508:
	v_cmp_lt_u32_e32 vcc_lo, 0x3bffffff, v3
	s_mov_b32 s16, 0
                                        ; implicit-def: $vgpr3
	s_and_saveexec_b32 s17, vcc_lo
	s_delay_alu instid0(SALU_CYCLE_1)
	s_xor_b32 s17, exec_lo, s17
	s_cbranch_execz .LBB22_1749
; %bb.1509:
	v_bfe_u32 v3, v2, 20, 1
	s_mov_b32 s16, exec_lo
	s_delay_alu instid0(VALU_DEP_1) | instskip(NEXT) | instid1(VALU_DEP_1)
	v_add3_u32 v3, v2, v3, 0x487ffff
	v_lshrrev_b32_e32 v3, 20, v3
	s_or_saveexec_b32 s17, s17
                                        ; implicit-def: $sgpr18
	s_delay_alu instid0(SALU_CYCLE_1)
	s_xor_b32 exec_lo, exec_lo, s17
	s_cbranch_execnz .LBB22_1750
.LBB22_1510:
	s_or_b32 exec_lo, exec_lo, s17
	v_mov_b32_e32 v6, s18
	s_and_saveexec_b32 s17, s16
.LBB22_1511:
	v_lshrrev_b32_e32 v2, 24, v2
	s_delay_alu instid0(VALU_DEP_1)
	v_and_or_b32 v6, 0x80, v2, v3
.LBB22_1512:
	s_or_b32 exec_lo, exec_lo, s17
.LBB22_1513:
	s_delay_alu instid0(SALU_CYCLE_1)
	s_or_b32 exec_lo, exec_lo, s1
	global_store_b8 v[4:5], v6, off
.LBB22_1514:
	s_mov_b32 s1, 0
.LBB22_1515:
	s_delay_alu instid0(SALU_CYCLE_1)
	s_and_b32 vcc_lo, exec_lo, s1
	s_mov_b32 s1, 0
	s_cbranch_vccz .LBB22_1555
; %bb.1516:
	v_cmp_lt_i16_e32 vcc_lo, 22, v8
	s_mov_b32 s16, -1
	s_cbranch_vccz .LBB22_1548
; %bb.1517:
	v_cmp_gt_i16_e32 vcc_lo, 24, v8
	s_cbranch_vccnz .LBB22_1537
; %bb.1518:
	v_cmp_lt_i16_e32 vcc_lo, 24, v8
	s_cbranch_vccz .LBB22_1526
; %bb.1519:
	v_cvt_f32_f64_e32 v2, v[0:1]
	v_mov_b32_e32 v6, 0x80
	s_mov_b32 s16, exec_lo
	s_delay_alu instid0(VALU_DEP_2) | instskip(NEXT) | instid1(VALU_DEP_1)
	v_and_b32_e32 v3, 0x7fffffff, v2
	v_cmpx_gt_u32_e32 0x47800000, v3
	s_cbranch_execz .LBB22_1525
; %bb.1520:
	v_cmp_lt_u32_e32 vcc_lo, 0x37ffffff, v3
	s_mov_b32 s17, 0
                                        ; implicit-def: $vgpr3
	s_and_saveexec_b32 s18, vcc_lo
	s_delay_alu instid0(SALU_CYCLE_1)
	s_xor_b32 s18, exec_lo, s18
	s_cbranch_execz .LBB22_1893
; %bb.1521:
	v_bfe_u32 v3, v2, 21, 1
	s_mov_b32 s17, exec_lo
	s_delay_alu instid0(VALU_DEP_1) | instskip(NEXT) | instid1(VALU_DEP_1)
	v_add3_u32 v3, v2, v3, 0x88fffff
	v_lshrrev_b32_e32 v3, 21, v3
	s_or_saveexec_b32 s18, s18
                                        ; implicit-def: $sgpr19
	s_delay_alu instid0(SALU_CYCLE_1)
	s_xor_b32 exec_lo, exec_lo, s18
	s_cbranch_execnz .LBB22_1894
.LBB22_1522:
	s_or_b32 exec_lo, exec_lo, s18
	v_mov_b32_e32 v6, s19
	s_and_saveexec_b32 s18, s17
.LBB22_1523:
	v_lshrrev_b32_e32 v2, 24, v2
	s_delay_alu instid0(VALU_DEP_1)
	v_and_or_b32 v6, 0x80, v2, v3
.LBB22_1524:
	s_or_b32 exec_lo, exec_lo, s18
.LBB22_1525:
	s_delay_alu instid0(SALU_CYCLE_1)
	s_or_b32 exec_lo, exec_lo, s16
	s_mov_b32 s16, 0
	global_store_b8 v[4:5], v6, off
.LBB22_1526:
	s_and_b32 vcc_lo, exec_lo, s16
	s_cbranch_vccz .LBB22_1536
; %bb.1527:
	v_cvt_f32_f64_e32 v2, v[0:1]
	s_mov_b32 s16, exec_lo
                                        ; implicit-def: $vgpr3
	s_delay_alu instid0(VALU_DEP_1) | instskip(NEXT) | instid1(VALU_DEP_1)
	v_and_b32_e32 v6, 0x7fffffff, v2
	v_cmpx_gt_u32_e32 0x43f00000, v6
	s_xor_b32 s16, exec_lo, s16
	s_cbranch_execz .LBB22_1533
; %bb.1528:
	s_mov_b32 s17, exec_lo
                                        ; implicit-def: $vgpr3
	v_cmpx_lt_u32_e32 0x3c7fffff, v6
	s_xor_b32 s17, exec_lo, s17
; %bb.1529:
	v_bfe_u32 v3, v2, 20, 1
	s_delay_alu instid0(VALU_DEP_1) | instskip(NEXT) | instid1(VALU_DEP_1)
	v_add3_u32 v3, v2, v3, 0x407ffff
	v_and_b32_e32 v6, 0xff00000, v3
	v_lshrrev_b32_e32 v3, 20, v3
	s_delay_alu instid0(VALU_DEP_2) | instskip(NEXT) | instid1(VALU_DEP_2)
	v_cmp_ne_u32_e32 vcc_lo, 0x7f00000, v6
	v_cndmask_b32_e32 v3, 0x7e, v3, vcc_lo
; %bb.1530:
	s_and_not1_saveexec_b32 s17, s17
; %bb.1531:
	v_add_f32_e64 v3, 0x46800000, |v2|
; %bb.1532:
	s_or_b32 exec_lo, exec_lo, s17
                                        ; implicit-def: $vgpr6
.LBB22_1533:
	s_and_not1_saveexec_b32 s16, s16
; %bb.1534:
	v_mov_b32_e32 v3, 0x7f
	v_cmp_lt_u32_e32 vcc_lo, 0x7f800000, v6
	s_delay_alu instid0(VALU_DEP_2)
	v_cndmask_b32_e32 v3, 0x7e, v3, vcc_lo
; %bb.1535:
	s_or_b32 exec_lo, exec_lo, s16
	v_lshrrev_b32_e32 v2, 24, v2
	s_delay_alu instid0(VALU_DEP_1)
	v_and_or_b32 v2, 0x80, v2, v3
	global_store_b8 v[4:5], v2, off
.LBB22_1536:
	s_mov_b32 s16, 0
.LBB22_1537:
	s_delay_alu instid0(SALU_CYCLE_1)
	s_and_not1_b32 vcc_lo, exec_lo, s16
	s_cbranch_vccnz .LBB22_1547
; %bb.1538:
	v_cvt_f32_f64_e32 v2, v[0:1]
	s_mov_b32 s16, exec_lo
                                        ; implicit-def: $vgpr3
	s_delay_alu instid0(VALU_DEP_1) | instskip(NEXT) | instid1(VALU_DEP_1)
	v_and_b32_e32 v6, 0x7fffffff, v2
	v_cmpx_gt_u32_e32 0x47800000, v6
	s_xor_b32 s16, exec_lo, s16
	s_cbranch_execz .LBB22_1544
; %bb.1539:
	s_mov_b32 s17, exec_lo
                                        ; implicit-def: $vgpr3
	v_cmpx_lt_u32_e32 0x387fffff, v6
	s_xor_b32 s17, exec_lo, s17
; %bb.1540:
	v_bfe_u32 v3, v2, 21, 1
	s_delay_alu instid0(VALU_DEP_1) | instskip(NEXT) | instid1(VALU_DEP_1)
	v_add3_u32 v3, v2, v3, 0x80fffff
	v_lshrrev_b32_e32 v3, 21, v3
; %bb.1541:
	s_and_not1_saveexec_b32 s17, s17
; %bb.1542:
	v_add_f32_e64 v3, 0x43000000, |v2|
; %bb.1543:
	s_or_b32 exec_lo, exec_lo, s17
                                        ; implicit-def: $vgpr6
.LBB22_1544:
	s_and_not1_saveexec_b32 s16, s16
; %bb.1545:
	v_mov_b32_e32 v3, 0x7f
	v_cmp_lt_u32_e32 vcc_lo, 0x7f800000, v6
	s_delay_alu instid0(VALU_DEP_2)
	v_cndmask_b32_e32 v3, 0x7c, v3, vcc_lo
; %bb.1546:
	s_or_b32 exec_lo, exec_lo, s16
	v_lshrrev_b32_e32 v2, 24, v2
	s_delay_alu instid0(VALU_DEP_1)
	v_and_or_b32 v2, 0x80, v2, v3
	global_store_b8 v[4:5], v2, off
.LBB22_1547:
	s_mov_b32 s16, 0
.LBB22_1548:
	s_delay_alu instid0(SALU_CYCLE_1)
	s_and_not1_b32 vcc_lo, exec_lo, s16
	s_mov_b32 s17, 0
	s_cbranch_vccnz .LBB22_1556
; %bb.1549:
	v_cmp_lt_i16_e32 vcc_lo, 14, v8
	s_mov_b32 s16, -1
	s_cbranch_vccz .LBB22_1553
; %bb.1550:
	v_cmp_eq_u16_e32 vcc_lo, 15, v8
	s_mov_b32 s0, -1
	s_cbranch_vccz .LBB22_1552
; %bb.1551:
	v_cvt_f32_f64_e32 v2, v[0:1]
	s_mov_b32 s0, 0
	s_delay_alu instid0(VALU_DEP_1) | instskip(SKIP_1) | instid1(VALU_DEP_2)
	v_bfe_u32 v3, v2, 16, 1
	v_cmp_o_f32_e32 vcc_lo, v2, v2
	v_add3_u32 v3, v2, v3, 0x7fff
	s_delay_alu instid0(VALU_DEP_1) | instskip(NEXT) | instid1(VALU_DEP_1)
	v_lshrrev_b32_e32 v3, 16, v3
	v_cndmask_b32_e32 v2, 0x7fc0, v3, vcc_lo
	global_store_b16 v[4:5], v2, off
.LBB22_1552:
	s_mov_b32 s16, 0
.LBB22_1553:
	s_delay_alu instid0(SALU_CYCLE_1)
	s_and_b32 vcc_lo, exec_lo, s16
	s_cbranch_vccz .LBB22_1556
; %bb.1554:
	v_cmp_ne_u16_e32 vcc_lo, 11, v8
	s_and_not1_b32 s0, s0, exec_lo
	s_mov_b32 s17, -1
	s_and_b32 s16, vcc_lo, exec_lo
	s_delay_alu instid0(SALU_CYCLE_1)
	s_or_b32 s0, s0, s16
	s_branch .LBB22_1556
.LBB22_1555:
	s_mov_b32 s17, 0
.LBB22_1556:
	s_and_b32 s16, s1, exec_lo
	s_and_not1_b32 s1, s13, exec_lo
	s_and_b32 s13, s0, exec_lo
	s_and_b32 s0, s17, exec_lo
	s_or_b32 s13, s1, s13
.LBB22_1557:
	s_or_b32 exec_lo, exec_lo, s15
	s_and_saveexec_b32 s1, s13
	s_cbranch_execnz .LBB22_1619
; %bb.1558:
	s_or_b32 exec_lo, exec_lo, s1
	s_and_saveexec_b32 s1, s0
	s_delay_alu instid0(SALU_CYCLE_1)
	s_xor_b32 s0, exec_lo, s1
	s_cbranch_execz .LBB22_1560
.LBB22_1559:
	v_cmp_neq_f64_e32 vcc_lo, 0, v[0:1]
	s_waitcnt vmcnt(0)
	v_cndmask_b32_e64 v2, 0, 1, vcc_lo
	global_store_b8 v[4:5], v2, off
.LBB22_1560:
	s_or_b32 exec_lo, exec_lo, s0
	s_and_saveexec_b32 s0, s16
	s_delay_alu instid0(SALU_CYCLE_1)
	s_xor_b32 s0, exec_lo, s0
	s_cbranch_execz .LBB22_1598
; %bb.1561:
	s_waitcnt vmcnt(0)
	v_cmp_gt_i16_e32 vcc_lo, 5, v8
	s_mov_b32 s1, -1
	s_cbranch_vccnz .LBB22_1582
; %bb.1562:
	v_cmp_gt_i16_e32 vcc_lo, 8, v8
	s_cbranch_vccnz .LBB22_1572
; %bb.1563:
	v_cmp_gt_i16_e32 vcc_lo, 9, v8
	s_cbranch_vccnz .LBB22_1569
; %bb.1564:
	v_cmp_lt_i16_e32 vcc_lo, 9, v8
	s_cbranch_vccz .LBB22_1566
; %bb.1565:
	v_mov_b32_e32 v2, 0
	s_mov_b32 s1, 0
	s_delay_alu instid0(VALU_DEP_1)
	v_mov_b32_e32 v3, v2
	global_store_b128 v[4:5], v[0:3], off
.LBB22_1566:
	s_and_not1_b32 vcc_lo, exec_lo, s1
	s_cbranch_vccnz .LBB22_1568
; %bb.1567:
	v_cvt_f32_f64_e32 v2, v[0:1]
	v_mov_b32_e32 v3, 0
	global_store_b64 v[4:5], v[2:3], off
.LBB22_1568:
	s_mov_b32 s1, 0
.LBB22_1569:
	s_delay_alu instid0(SALU_CYCLE_1)
	s_and_not1_b32 vcc_lo, exec_lo, s1
	s_cbranch_vccnz .LBB22_1571
; %bb.1570:
	v_cvt_f32_f64_e32 v2, v[0:1]
	s_delay_alu instid0(VALU_DEP_1) | instskip(NEXT) | instid1(VALU_DEP_1)
	v_cvt_f16_f32_e32 v2, v2
	v_and_b32_e32 v2, 0xffff, v2
	global_store_b32 v[4:5], v2, off
.LBB22_1571:
	s_mov_b32 s1, 0
.LBB22_1572:
	s_delay_alu instid0(SALU_CYCLE_1)
	s_and_not1_b32 vcc_lo, exec_lo, s1
	s_cbranch_vccnz .LBB22_1581
; %bb.1573:
	v_cmp_gt_i16_e32 vcc_lo, 6, v8
	s_mov_b32 s1, -1
	s_cbranch_vccnz .LBB22_1579
; %bb.1574:
	v_cmp_lt_i16_e32 vcc_lo, 6, v8
	s_cbranch_vccz .LBB22_1576
; %bb.1575:
	s_mov_b32 s1, 0
	global_store_b64 v[4:5], v[0:1], off
.LBB22_1576:
	s_and_not1_b32 vcc_lo, exec_lo, s1
	s_cbranch_vccnz .LBB22_1578
; %bb.1577:
	v_cvt_f32_f64_e32 v2, v[0:1]
	global_store_b32 v[4:5], v2, off
.LBB22_1578:
	s_mov_b32 s1, 0
.LBB22_1579:
	s_delay_alu instid0(SALU_CYCLE_1)
	s_and_not1_b32 vcc_lo, exec_lo, s1
	s_cbranch_vccnz .LBB22_1581
; %bb.1580:
	v_cvt_f32_f64_e32 v2, v[0:1]
	s_delay_alu instid0(VALU_DEP_1)
	v_cvt_f16_f32_e32 v2, v2
	global_store_b16 v[4:5], v2, off
.LBB22_1581:
	s_mov_b32 s1, 0
.LBB22_1582:
	s_delay_alu instid0(SALU_CYCLE_1)
	s_and_not1_b32 vcc_lo, exec_lo, s1
	s_cbranch_vccnz .LBB22_1598
; %bb.1583:
	v_cmp_gt_i16_e32 vcc_lo, 2, v8
	s_mov_b32 s1, -1
	s_cbranch_vccnz .LBB22_1593
; %bb.1584:
	v_cmp_gt_i16_e32 vcc_lo, 3, v8
	s_cbranch_vccnz .LBB22_1590
; %bb.1585:
	v_cmp_lt_i16_e32 vcc_lo, 3, v8
	s_cbranch_vccz .LBB22_1587
; %bb.1586:
	v_trunc_f64_e32 v[2:3], v[0:1]
	s_mov_b32 s1, 0
	s_delay_alu instid0(VALU_DEP_1) | instskip(NEXT) | instid1(VALU_DEP_1)
	v_ldexp_f64 v[6:7], v[2:3], 0xffffffe0
	v_floor_f64_e32 v[6:7], v[6:7]
	s_delay_alu instid0(VALU_DEP_1) | instskip(SKIP_1) | instid1(VALU_DEP_2)
	v_fma_f64 v[2:3], 0xc1f00000, v[6:7], v[2:3]
	v_cvt_i32_f64_e32 v7, v[6:7]
	v_cvt_u32_f64_e32 v6, v[2:3]
	global_store_b64 v[4:5], v[6:7], off
.LBB22_1587:
	s_and_not1_b32 vcc_lo, exec_lo, s1
	s_cbranch_vccnz .LBB22_1589
; %bb.1588:
	v_cvt_i32_f64_e32 v2, v[0:1]
	global_store_b32 v[4:5], v2, off
.LBB22_1589:
	s_mov_b32 s1, 0
.LBB22_1590:
	s_delay_alu instid0(SALU_CYCLE_1)
	s_and_not1_b32 vcc_lo, exec_lo, s1
	s_cbranch_vccnz .LBB22_1592
; %bb.1591:
	v_cvt_i32_f64_e32 v2, v[0:1]
	global_store_b16 v[4:5], v2, off
.LBB22_1592:
	s_mov_b32 s1, 0
.LBB22_1593:
	s_delay_alu instid0(SALU_CYCLE_1)
	s_and_not1_b32 vcc_lo, exec_lo, s1
	s_cbranch_vccnz .LBB22_1598
; %bb.1594:
	v_cmp_lt_i16_e32 vcc_lo, 0, v8
	s_mov_b32 s1, -1
	s_cbranch_vccz .LBB22_1596
; %bb.1595:
	v_cvt_i32_f64_e32 v2, v[0:1]
	s_mov_b32 s1, 0
	global_store_b8 v[4:5], v2, off
.LBB22_1596:
	s_and_not1_b32 vcc_lo, exec_lo, s1
	s_cbranch_vccnz .LBB22_1598
; %bb.1597:
	v_trunc_f64_e32 v[0:1], v[0:1]
	s_delay_alu instid0(VALU_DEP_1) | instskip(NEXT) | instid1(VALU_DEP_1)
	v_ldexp_f64 v[2:3], v[0:1], 0xffffffe0
	v_floor_f64_e32 v[2:3], v[2:3]
	s_delay_alu instid0(VALU_DEP_1) | instskip(NEXT) | instid1(VALU_DEP_1)
	v_fma_f64 v[0:1], 0xc1f00000, v[2:3], v[0:1]
	v_cvt_u32_f64_e32 v0, v[0:1]
	global_store_b8 v[4:5], v0, off
.LBB22_1598:
	s_or_b32 exec_lo, exec_lo, s0
	s_delay_alu instid0(SALU_CYCLE_1)
	s_and_b32 s13, s14, exec_lo
                                        ; implicit-def: $vgpr15
                                        ; implicit-def: $vgpr9
                                        ; implicit-def: $vgpr8
                                        ; implicit-def: $vgpr14
.LBB22_1599:
	s_or_saveexec_b32 s12, s12
	s_mov_b32 s0, 0
                                        ; implicit-def: $vgpr16
                                        ; implicit-def: $vgpr0_vgpr1
                                        ; implicit-def: $vgpr12_vgpr13
	s_xor_b32 exec_lo, exec_lo, s12
	s_cbranch_execz .LBB22_2795
; %bb.1600:
	v_mul_lo_u32 v10, s9, v15
	v_and_b32_e32 v12, 0xff, v9
	s_delay_alu instid0(VALU_DEP_1) | instskip(NEXT) | instid1(VALU_DEP_3)
	v_cmp_gt_i16_e32 vcc_lo, 11, v12
	v_ashrrev_i32_e32 v1, 31, v10
	v_add_co_u32 v0, s0, s6, v10
	s_delay_alu instid0(VALU_DEP_1)
	v_add_co_ci_u32_e64 v1, s0, s7, v1, s0
	s_cbranch_vccnz .LBB22_1607
; %bb.1601:
	v_cmp_lt_i16_e32 vcc_lo, 25, v12
	s_mov_b32 s14, 0
	s_cbranch_vccz .LBB22_1613
; %bb.1602:
	v_cmp_lt_i16_e32 vcc_lo, 28, v12
	s_cbranch_vccz .LBB22_1615
; %bb.1603:
	v_cmp_lt_i16_e32 vcc_lo, 43, v12
	;; [unrolled: 3-line block ×3, first 2 shown]
	s_cbranch_vccz .LBB22_1621
; %bb.1605:
	v_cmp_eq_u16_e32 vcc_lo, 46, v12
	s_mov_b32 s1, 0
	s_cbranch_vccz .LBB22_1661
; %bb.1606:
	global_load_b32 v2, v[0:1], off
	s_mov_b32 s11, 0
	s_mov_b32 s0, -1
	s_waitcnt vmcnt(0)
	v_lshlrev_b32_e32 v2, 16, v2
	s_delay_alu instid0(VALU_DEP_1)
	v_cvt_f64_f32_e32 v[2:3], v2
	s_branch .LBB22_1663
.LBB22_1607:
	s_mov_b32 s0, 0
	s_mov_b32 s11, s13
                                        ; implicit-def: $vgpr2_vgpr3
	s_cbranch_execz .LBB22_1726
; %bb.1608:
	v_cmp_gt_i16_e32 vcc_lo, 5, v12
	s_cbranch_vccnz .LBB22_1614
; %bb.1609:
	v_cmp_gt_i16_e32 vcc_lo, 8, v12
	s_cbranch_vccnz .LBB22_1616
	;; [unrolled: 3-line block ×3, first 2 shown]
; %bb.1611:
	v_cmp_lt_i16_e32 vcc_lo, 9, v12
	s_cbranch_vccz .LBB22_1622
; %bb.1612:
	global_load_b64 v[2:3], v[0:1], off
	s_mov_b32 s0, 0
	s_branch .LBB22_1623
.LBB22_1613:
	s_mov_b32 s0, 0
	s_mov_b32 s11, 0
                                        ; implicit-def: $vgpr2_vgpr3
	s_cbranch_execnz .LBB22_1693
	s_branch .LBB22_1722
.LBB22_1614:
                                        ; implicit-def: $vgpr2_vgpr3
	s_branch .LBB22_1640
.LBB22_1615:
	s_mov_b32 s1, -1
	s_mov_b32 s0, 0
	s_mov_b32 s11, 0
                                        ; implicit-def: $vgpr2_vgpr3
	s_branch .LBB22_1672
.LBB22_1616:
                                        ; implicit-def: $vgpr2_vgpr3
	s_branch .LBB22_1629
.LBB22_1617:
	s_mov_b32 s0, 0
	s_mov_b32 s11, 0
                                        ; implicit-def: $vgpr2_vgpr3
	s_cbranch_execnz .LBB22_1668
	s_branch .LBB22_1671
.LBB22_1618:
	s_mov_b32 s0, -1
                                        ; implicit-def: $vgpr2_vgpr3
	s_branch .LBB22_1626
.LBB22_1619:
	s_cbranch_execnz .LBB22_1659
; %bb.1620:
	s_or_b32 s14, s14, exec_lo
	s_and_not1_b32 s0, s0, exec_lo
	s_or_b32 exec_lo, exec_lo, s1
	s_and_saveexec_b32 s1, s0
	s_delay_alu instid0(SALU_CYCLE_1)
	s_xor_b32 s0, exec_lo, s1
	s_cbranch_execnz .LBB22_1559
	s_branch .LBB22_1560
.LBB22_1621:
	s_mov_b32 s1, -1
	s_mov_b32 s0, 0
	s_mov_b32 s11, 0
	s_branch .LBB22_1662
.LBB22_1622:
	s_mov_b32 s0, -1
                                        ; implicit-def: $vgpr2_vgpr3
.LBB22_1623:
	s_delay_alu instid0(SALU_CYCLE_1)
	s_and_not1_b32 vcc_lo, exec_lo, s0
	s_cbranch_vccnz .LBB22_1625
; %bb.1624:
	global_load_b32 v2, v[0:1], off
	s_waitcnt vmcnt(0)
	v_cvt_f64_f32_e32 v[2:3], v2
.LBB22_1625:
	s_mov_b32 s0, 0
.LBB22_1626:
	s_delay_alu instid0(SALU_CYCLE_1)
	s_and_not1_b32 vcc_lo, exec_lo, s0
	s_cbranch_vccnz .LBB22_1628
; %bb.1627:
	global_load_b32 v2, v[0:1], off
	s_waitcnt vmcnt(0)
	v_cvt_f32_f16_e32 v2, v2
	s_delay_alu instid0(VALU_DEP_1)
	v_cvt_f64_f32_e32 v[2:3], v2
.LBB22_1628:
	s_cbranch_execnz .LBB22_1639
.LBB22_1629:
	v_cmp_gt_i16_e32 vcc_lo, 6, v12
	s_cbranch_vccnz .LBB22_1632
; %bb.1630:
	v_cmp_lt_i16_e32 vcc_lo, 6, v12
	s_cbranch_vccz .LBB22_1633
; %bb.1631:
	global_load_b64 v[2:3], v[0:1], off
	s_mov_b32 s0, 0
	s_branch .LBB22_1634
.LBB22_1632:
	s_mov_b32 s0, -1
                                        ; implicit-def: $vgpr2_vgpr3
	s_branch .LBB22_1637
.LBB22_1633:
	s_mov_b32 s0, -1
                                        ; implicit-def: $vgpr2_vgpr3
.LBB22_1634:
	s_delay_alu instid0(SALU_CYCLE_1)
	s_and_not1_b32 vcc_lo, exec_lo, s0
	s_cbranch_vccnz .LBB22_1636
; %bb.1635:
	global_load_b32 v2, v[0:1], off
	s_waitcnt vmcnt(0)
	v_cvt_f64_f32_e32 v[2:3], v2
.LBB22_1636:
	s_mov_b32 s0, 0
.LBB22_1637:
	s_delay_alu instid0(SALU_CYCLE_1)
	s_and_not1_b32 vcc_lo, exec_lo, s0
	s_cbranch_vccnz .LBB22_1639
; %bb.1638:
	global_load_u16 v2, v[0:1], off
	s_waitcnt vmcnt(0)
	v_cvt_f32_f16_e32 v2, v2
	s_delay_alu instid0(VALU_DEP_1)
	v_cvt_f64_f32_e32 v[2:3], v2
.LBB22_1639:
	s_cbranch_execnz .LBB22_1658
.LBB22_1640:
	v_cmp_gt_i16_e32 vcc_lo, 2, v12
	s_cbranch_vccnz .LBB22_1644
; %bb.1641:
	v_cmp_gt_i16_e32 vcc_lo, 3, v12
	s_cbranch_vccnz .LBB22_1645
; %bb.1642:
	v_cmp_lt_i16_e32 vcc_lo, 3, v12
	s_cbranch_vccz .LBB22_1646
; %bb.1643:
	global_load_b64 v[2:3], v[0:1], off
	s_mov_b32 s0, 0
	s_waitcnt vmcnt(0)
	v_cvt_f64_i32_e32 v[3:4], v3
	v_cvt_f64_u32_e32 v[5:6], v2
	s_delay_alu instid0(VALU_DEP_2) | instskip(NEXT) | instid1(VALU_DEP_1)
	v_ldexp_f64 v[3:4], v[3:4], 32
	v_add_f64 v[2:3], v[3:4], v[5:6]
	s_branch .LBB22_1647
.LBB22_1644:
                                        ; implicit-def: $vgpr2_vgpr3
	s_branch .LBB22_1653
.LBB22_1645:
	s_mov_b32 s0, -1
                                        ; implicit-def: $vgpr2_vgpr3
	s_branch .LBB22_1650
.LBB22_1646:
	s_mov_b32 s0, -1
                                        ; implicit-def: $vgpr2_vgpr3
.LBB22_1647:
	s_delay_alu instid0(SALU_CYCLE_1)
	s_and_not1_b32 vcc_lo, exec_lo, s0
	s_cbranch_vccnz .LBB22_1649
; %bb.1648:
	global_load_b32 v2, v[0:1], off
	s_waitcnt vmcnt(0)
	v_cvt_f64_i32_e32 v[2:3], v2
.LBB22_1649:
	s_mov_b32 s0, 0
.LBB22_1650:
	s_delay_alu instid0(SALU_CYCLE_1)
	s_and_not1_b32 vcc_lo, exec_lo, s0
	s_cbranch_vccnz .LBB22_1652
; %bb.1651:
	global_load_i16 v2, v[0:1], off
	s_waitcnt vmcnt(0)
	v_cvt_f64_i32_e32 v[2:3], v2
.LBB22_1652:
	s_cbranch_execnz .LBB22_1658
.LBB22_1653:
	v_cmp_lt_i16_e32 vcc_lo, 0, v12
	s_mov_b32 s0, 0
	s_cbranch_vccz .LBB22_1655
; %bb.1654:
	global_load_i8 v2, v[0:1], off
	s_waitcnt vmcnt(0)
	v_cvt_f64_i32_e32 v[2:3], v2
	s_branch .LBB22_1656
.LBB22_1655:
	s_mov_b32 s0, -1
                                        ; implicit-def: $vgpr2_vgpr3
.LBB22_1656:
	s_delay_alu instid0(SALU_CYCLE_1)
	s_and_not1_b32 vcc_lo, exec_lo, s0
	s_cbranch_vccnz .LBB22_1658
; %bb.1657:
	global_load_u8 v0, v[0:1], off
	s_waitcnt vmcnt(0)
	v_cvt_f64_u32_e32 v[2:3], v0
.LBB22_1658:
	s_branch .LBB22_1727
.LBB22_1659:
	s_trap 2
	s_sendmsg_rtn_b32 s0, sendmsg(MSG_RTN_GET_DOORBELL)
	s_mov_b32 ttmp2, m0
	s_waitcnt lgkmcnt(0)
	s_and_b32 s0, s0, 0x3ff
	s_delay_alu instid0(SALU_CYCLE_1) | instskip(NEXT) | instid1(SALU_CYCLE_1)
	s_bitset1_b32 s0, 10
	s_mov_b32 m0, s0
	s_sendmsg sendmsg(MSG_INTERRUPT)
	s_mov_b32 m0, ttmp2
.LBB22_1660:                            ; =>This Inner Loop Header: Depth=1
	s_sethalt 5
	s_branch .LBB22_1660
.LBB22_1661:
	s_mov_b32 s11, -1
	s_mov_b32 s0, 0
.LBB22_1662:
                                        ; implicit-def: $vgpr2_vgpr3
.LBB22_1663:
	s_and_b32 vcc_lo, exec_lo, s1
	s_cbranch_vccz .LBB22_1666
; %bb.1664:
	v_cmp_eq_u16_e32 vcc_lo, 44, v12
	s_cbranch_vccz .LBB22_1667
; %bb.1665:
	global_load_u8 v4, v[0:1], off
	s_mov_b32 s11, 0
	s_mov_b32 s0, -1
	s_waitcnt vmcnt(0)
	v_cmp_ne_u32_e32 vcc_lo, 0xff, v4
	v_lshlrev_b32_e32 v2, 23, v4
	s_delay_alu instid0(VALU_DEP_1) | instskip(NEXT) | instid1(VALU_DEP_1)
	v_cvt_f64_f32_e32 v[2:3], v2
	v_cndmask_b32_e32 v3, 0x7ff80000, v3, vcc_lo
	s_delay_alu instid0(VALU_DEP_2) | instskip(SKIP_1) | instid1(VALU_DEP_3)
	v_cndmask_b32_e32 v2, 0x20000000, v2, vcc_lo
	v_cmp_ne_u32_e32 vcc_lo, 0, v4
	v_cndmask_b32_e32 v3, 0x38000000, v3, vcc_lo
	s_delay_alu instid0(VALU_DEP_3)
	v_cndmask_b32_e32 v2, 0, v2, vcc_lo
.LBB22_1666:
	s_branch .LBB22_1671
.LBB22_1667:
	s_mov_b32 s11, -1
                                        ; implicit-def: $vgpr2_vgpr3
	s_branch .LBB22_1671
.LBB22_1668:
	v_cmp_eq_u16_e32 vcc_lo, 29, v12
	s_cbranch_vccz .LBB22_1670
; %bb.1669:
	global_load_b64 v[2:3], v[0:1], off
	s_mov_b32 s11, 0
	s_mov_b32 s0, -1
	s_mov_b32 s1, 0
	s_waitcnt vmcnt(0)
	v_cvt_f64_u32_e32 v[3:4], v3
	v_cvt_f64_u32_e32 v[5:6], v2
	s_delay_alu instid0(VALU_DEP_2) | instskip(NEXT) | instid1(VALU_DEP_1)
	v_ldexp_f64 v[3:4], v[3:4], 32
	v_add_f64 v[2:3], v[3:4], v[5:6]
	s_branch .LBB22_1672
.LBB22_1670:
	s_mov_b32 s11, -1
                                        ; implicit-def: $vgpr2_vgpr3
.LBB22_1671:
	s_mov_b32 s1, 0
.LBB22_1672:
	s_delay_alu instid0(SALU_CYCLE_1)
	s_and_b32 vcc_lo, exec_lo, s1
	s_cbranch_vccz .LBB22_1692
; %bb.1673:
	v_cmp_gt_i16_e32 vcc_lo, 27, v12
	s_cbranch_vccnz .LBB22_1676
; %bb.1674:
	v_cmp_lt_i16_e32 vcc_lo, 27, v12
	s_cbranch_vccz .LBB22_1677
; %bb.1675:
	global_load_b32 v2, v[0:1], off
	s_mov_b32 s0, 0
	s_waitcnt vmcnt(0)
	v_cvt_f64_u32_e32 v[2:3], v2
	s_branch .LBB22_1678
.LBB22_1676:
	s_mov_b32 s0, -1
                                        ; implicit-def: $vgpr2_vgpr3
	s_branch .LBB22_1681
.LBB22_1677:
	s_mov_b32 s0, -1
                                        ; implicit-def: $vgpr2_vgpr3
.LBB22_1678:
	s_delay_alu instid0(SALU_CYCLE_1)
	s_and_not1_b32 vcc_lo, exec_lo, s0
	s_cbranch_vccnz .LBB22_1680
; %bb.1679:
	global_load_u16 v2, v[0:1], off
	s_waitcnt vmcnt(0)
	v_cvt_f64_u32_e32 v[2:3], v2
.LBB22_1680:
	s_mov_b32 s0, 0
.LBB22_1681:
	s_delay_alu instid0(SALU_CYCLE_1)
	s_and_not1_b32 vcc_lo, exec_lo, s0
	s_cbranch_vccnz .LBB22_1691
; %bb.1682:
	global_load_u8 v4, v[0:1], off
	s_mov_b32 s15, 0
	s_mov_b32 s16, exec_lo
                                        ; implicit-def: $sgpr0_sgpr1
	s_waitcnt vmcnt(0)
	v_cmpx_lt_i16_e32 0x7f, v4
	s_xor_b32 s16, exec_lo, s16
	s_cbranch_execz .LBB22_1686
; %bb.1683:
	s_mov_b32 s17, -1
	s_mov_b32 s15, exec_lo
                                        ; implicit-def: $sgpr0_sgpr1
	v_cmpx_eq_u16_e32 0x80, v4
; %bb.1684:
	s_mov_b32 s1, 0x7ff80000
	s_brev_b32 s0, 4
	s_xor_b32 s17, exec_lo, -1
; %bb.1685:
	s_or_b32 exec_lo, exec_lo, s15
	s_delay_alu instid0(SALU_CYCLE_1)
	s_and_b32 s15, s17, exec_lo
.LBB22_1686:
	s_or_saveexec_b32 s16, s16
	v_dual_mov_b32 v3, s1 :: v_dual_mov_b32 v2, s0
	s_xor_b32 exec_lo, exec_lo, s16
; %bb.1687:
	v_cmp_ne_u16_e32 vcc_lo, 0, v4
	v_mov_b32_e32 v2, 0
	v_mov_b32_e32 v3, 0
	s_and_not1_b32 s0, s15, exec_lo
	s_and_b32 s1, vcc_lo, exec_lo
	s_delay_alu instid0(SALU_CYCLE_1)
	s_or_b32 s15, s0, s1
; %bb.1688:
	s_or_b32 exec_lo, exec_lo, s16
	s_and_saveexec_b32 s0, s15
	s_cbranch_execz .LBB22_1690
; %bb.1689:
	v_and_b32_e32 v2, 0xffff, v4
	v_lshlrev_b32_e32 v4, 24, v4
	s_delay_alu instid0(VALU_DEP_2) | instskip(NEXT) | instid1(VALU_DEP_2)
	v_and_b32_e32 v3, 7, v2
	v_and_b32_e32 v4, 0x80000000, v4
	s_delay_alu instid0(VALU_DEP_2) | instskip(NEXT) | instid1(VALU_DEP_1)
	v_clz_i32_u32_e32 v5, v3
	v_min_u32_e32 v5, 32, v5
	s_delay_alu instid0(VALU_DEP_1) | instskip(SKIP_1) | instid1(VALU_DEP_2)
	v_subrev_nc_u32_e32 v6, 28, v5
	v_sub_nc_u32_e32 v5, 29, v5
	v_lshlrev_b32_e32 v6, v6, v2
	v_bfe_u32 v2, v2, 3, 4
	s_delay_alu instid0(VALU_DEP_2) | instskip(NEXT) | instid1(VALU_DEP_2)
	v_and_b32_e32 v6, 7, v6
	v_cmp_eq_u32_e32 vcc_lo, 0, v2
	s_delay_alu instid0(VALU_DEP_2) | instskip(NEXT) | instid1(VALU_DEP_1)
	v_dual_cndmask_b32 v2, v2, v5 :: v_dual_cndmask_b32 v3, v3, v6
	v_lshl_add_u32 v2, v2, 23, 0x3b800000
	s_delay_alu instid0(VALU_DEP_2) | instskip(NEXT) | instid1(VALU_DEP_1)
	v_lshlrev_b32_e32 v3, 20, v3
	v_or3_b32 v2, v4, v2, v3
	s_delay_alu instid0(VALU_DEP_1)
	v_cvt_f64_f32_e32 v[2:3], v2
.LBB22_1690:
	s_or_b32 exec_lo, exec_lo, s0
.LBB22_1691:
	s_mov_b32 s0, -1
.LBB22_1692:
	s_branch .LBB22_1722
.LBB22_1693:
	v_cmp_lt_i16_e32 vcc_lo, 22, v12
	s_cbranch_vccz .LBB22_1705
; %bb.1694:
	v_cmp_gt_i16_e32 vcc_lo, 24, v12
	s_cbranch_vccnz .LBB22_1706
; %bb.1695:
	v_cmp_lt_i16_e32 vcc_lo, 24, v12
	s_cbranch_vccz .LBB22_1707
; %bb.1696:
	global_load_u8 v4, v[0:1], off
	s_mov_b32 s15, exec_lo
                                        ; implicit-def: $sgpr0_sgpr1
	s_waitcnt vmcnt(0)
	v_cmpx_lt_i16_e32 0x7f, v4
	s_xor_b32 s15, exec_lo, s15
	s_cbranch_execz .LBB22_1700
; %bb.1697:
	s_mov_b32 s16, -1
	s_mov_b32 s14, exec_lo
                                        ; implicit-def: $sgpr0_sgpr1
	v_cmpx_eq_u16_e32 0x80, v4
; %bb.1698:
	s_mov_b32 s1, 0x7ff80000
	s_brev_b32 s0, 4
	s_xor_b32 s16, exec_lo, -1
; %bb.1699:
	s_or_b32 exec_lo, exec_lo, s14
	s_delay_alu instid0(SALU_CYCLE_1)
	s_and_b32 s14, s16, exec_lo
.LBB22_1700:
	s_or_saveexec_b32 s15, s15
	v_dual_mov_b32 v3, s1 :: v_dual_mov_b32 v2, s0
	s_xor_b32 exec_lo, exec_lo, s15
; %bb.1701:
	v_cmp_ne_u16_e32 vcc_lo, 0, v4
	v_mov_b32_e32 v2, 0
	v_mov_b32_e32 v3, 0
	s_and_not1_b32 s0, s14, exec_lo
	s_and_b32 s1, vcc_lo, exec_lo
	s_delay_alu instid0(SALU_CYCLE_1)
	s_or_b32 s14, s0, s1
; %bb.1702:
	s_or_b32 exec_lo, exec_lo, s15
	s_and_saveexec_b32 s0, s14
	s_cbranch_execz .LBB22_1704
; %bb.1703:
	v_and_b32_e32 v2, 0xffff, v4
	v_lshlrev_b32_e32 v4, 24, v4
	s_delay_alu instid0(VALU_DEP_2) | instskip(NEXT) | instid1(VALU_DEP_2)
	v_and_b32_e32 v3, 3, v2
	v_and_b32_e32 v4, 0x80000000, v4
	s_delay_alu instid0(VALU_DEP_2) | instskip(NEXT) | instid1(VALU_DEP_1)
	v_clz_i32_u32_e32 v5, v3
	v_min_u32_e32 v5, 32, v5
	s_delay_alu instid0(VALU_DEP_1) | instskip(SKIP_1) | instid1(VALU_DEP_2)
	v_subrev_nc_u32_e32 v6, 29, v5
	v_sub_nc_u32_e32 v5, 30, v5
	v_lshlrev_b32_e32 v6, v6, v2
	v_bfe_u32 v2, v2, 2, 5
	s_delay_alu instid0(VALU_DEP_2) | instskip(NEXT) | instid1(VALU_DEP_2)
	v_and_b32_e32 v6, 3, v6
	v_cmp_eq_u32_e32 vcc_lo, 0, v2
	s_delay_alu instid0(VALU_DEP_2) | instskip(NEXT) | instid1(VALU_DEP_1)
	v_dual_cndmask_b32 v2, v2, v5 :: v_dual_cndmask_b32 v3, v3, v6
	v_lshl_add_u32 v2, v2, 23, 0x37800000
	s_delay_alu instid0(VALU_DEP_2) | instskip(NEXT) | instid1(VALU_DEP_1)
	v_lshlrev_b32_e32 v3, 21, v3
	v_or3_b32 v2, v4, v2, v3
	s_delay_alu instid0(VALU_DEP_1)
	v_cvt_f64_f32_e32 v[2:3], v2
.LBB22_1704:
	s_or_b32 exec_lo, exec_lo, s0
	s_mov_b32 s0, 0
	s_branch .LBB22_1708
.LBB22_1705:
                                        ; implicit-def: $vgpr2_vgpr3
	s_mov_b32 s14, 0
	s_branch .LBB22_1714
.LBB22_1706:
	s_mov_b32 s0, -1
                                        ; implicit-def: $vgpr2_vgpr3
	s_branch .LBB22_1711
.LBB22_1707:
	s_mov_b32 s0, -1
                                        ; implicit-def: $vgpr2_vgpr3
.LBB22_1708:
	s_delay_alu instid0(SALU_CYCLE_1)
	s_and_b32 vcc_lo, exec_lo, s0
	s_cbranch_vccz .LBB22_1710
; %bb.1709:
	global_load_u8 v2, v[0:1], off
	s_waitcnt vmcnt(0)
	v_lshlrev_b32_e32 v2, 24, v2
	s_delay_alu instid0(VALU_DEP_1) | instskip(NEXT) | instid1(VALU_DEP_1)
	v_and_b32_e32 v3, 0x7f000000, v2
	v_clz_i32_u32_e32 v4, v3
	v_add_nc_u32_e32 v6, 0x1000000, v3
	v_cmp_ne_u32_e32 vcc_lo, 0, v3
	s_delay_alu instid0(VALU_DEP_3) | instskip(NEXT) | instid1(VALU_DEP_1)
	v_min_u32_e32 v4, 32, v4
	v_sub_nc_u32_e64 v4, v4, 4 clamp
	s_delay_alu instid0(VALU_DEP_1) | instskip(SKIP_1) | instid1(VALU_DEP_2)
	v_lshlrev_b32_e32 v5, v4, v3
	v_lshlrev_b32_e32 v4, 23, v4
	v_lshrrev_b32_e32 v5, 4, v5
	s_delay_alu instid0(VALU_DEP_1) | instskip(SKIP_1) | instid1(VALU_DEP_2)
	v_sub_nc_u32_e32 v4, v5, v4
	v_ashrrev_i32_e32 v5, 8, v6
	v_add_nc_u32_e32 v4, 0x3c000000, v4
	s_delay_alu instid0(VALU_DEP_1) | instskip(NEXT) | instid1(VALU_DEP_1)
	v_and_or_b32 v4, 0x7f800000, v5, v4
	v_cndmask_b32_e32 v3, 0, v4, vcc_lo
	s_delay_alu instid0(VALU_DEP_1) | instskip(NEXT) | instid1(VALU_DEP_1)
	v_and_or_b32 v2, 0x80000000, v2, v3
	v_cvt_f64_f32_e32 v[2:3], v2
.LBB22_1710:
	s_mov_b32 s0, 0
.LBB22_1711:
	s_delay_alu instid0(SALU_CYCLE_1)
	s_and_not1_b32 vcc_lo, exec_lo, s0
	s_cbranch_vccnz .LBB22_1713
; %bb.1712:
	global_load_u8 v2, v[0:1], off
	s_waitcnt vmcnt(0)
	v_lshlrev_b32_e32 v3, 25, v2
	v_lshlrev_b16 v2, 8, v2
	s_delay_alu instid0(VALU_DEP_2) | instskip(NEXT) | instid1(VALU_DEP_2)
	v_lshrrev_b32_e32 v4, 4, v3
	v_and_or_b32 v5, 0x7f00, v2, 0.5
	v_bfe_i32 v2, v2, 0, 16
	s_delay_alu instid0(VALU_DEP_3) | instskip(NEXT) | instid1(VALU_DEP_1)
	v_or_b32_e32 v4, 0x70000000, v4
	v_dual_add_f32 v5, -0.5, v5 :: v_dual_mul_f32 v4, 0x7800000, v4
	v_cmp_gt_u32_e32 vcc_lo, 0x8000000, v3
	s_delay_alu instid0(VALU_DEP_2) | instskip(NEXT) | instid1(VALU_DEP_1)
	v_cndmask_b32_e32 v3, v4, v5, vcc_lo
	v_and_or_b32 v2, 0x80000000, v2, v3
	s_delay_alu instid0(VALU_DEP_1)
	v_cvt_f64_f32_e32 v[2:3], v2
.LBB22_1713:
	s_mov_b32 s0, -1
	s_mov_b32 s14, 0
	s_cbranch_execnz .LBB22_1722
.LBB22_1714:
	v_cmp_lt_i16_e32 vcc_lo, 14, v12
	s_cbranch_vccz .LBB22_1717
; %bb.1715:
	v_cmp_eq_u16_e32 vcc_lo, 15, v12
	s_cbranch_vccz .LBB22_1718
; %bb.1716:
	global_load_u16 v2, v[0:1], off
	s_mov_b32 s11, 0
	s_mov_b32 s0, -1
	s_waitcnt vmcnt(0)
	v_lshlrev_b32_e32 v2, 16, v2
	s_delay_alu instid0(VALU_DEP_1)
	v_cvt_f64_f32_e32 v[2:3], v2
	s_branch .LBB22_1719
.LBB22_1717:
	s_mov_b32 s1, -1
                                        ; implicit-def: $vgpr2_vgpr3
	s_branch .LBB22_1720
.LBB22_1718:
	s_mov_b32 s11, -1
                                        ; implicit-def: $vgpr2_vgpr3
.LBB22_1719:
	s_mov_b32 s1, 0
.LBB22_1720:
	s_delay_alu instid0(SALU_CYCLE_1)
	s_and_b32 vcc_lo, exec_lo, s1
	s_cbranch_vccz .LBB22_1722
; %bb.1721:
	v_cmp_ne_u16_e64 s11, 11, v12
	s_mov_b32 s14, -1
                                        ; implicit-def: $vgpr2_vgpr3
.LBB22_1722:
	s_delay_alu instid0(VALU_DEP_1)
	s_and_b32 vcc_lo, exec_lo, s11
	s_mov_b32 s11, s13
	s_cbranch_vccnz .LBB22_1746
; %bb.1723:
	s_and_not1_b32 vcc_lo, exec_lo, s14
	s_cbranch_vccnz .LBB22_1725
.LBB22_1724:
	global_load_u8 v2, v[0:1], off
	s_mov_b32 s0, -1
	s_waitcnt vmcnt(0)
	v_cmp_ne_u16_e32 vcc_lo, 0, v2
	v_mov_b32_e32 v2, 0
	v_cndmask_b32_e64 v3, 0, 0x3ff00000, vcc_lo
.LBB22_1725:
.LBB22_1726:
	s_and_not1_b32 vcc_lo, exec_lo, s0
	s_cbranch_vccnz .LBB22_2793
.LBB22_1727:
	v_mul_lo_u32 v9, s10, v15
	s_waitcnt vmcnt(0)
	v_and_b32_e32 v13, 0xff, v8
	s_delay_alu instid0(VALU_DEP_1) | instskip(NEXT) | instid1(VALU_DEP_3)
	v_cmp_gt_i16_e32 vcc_lo, 11, v13
	v_ashrrev_i32_e32 v1, 31, v9
	v_add_co_u32 v0, s0, s2, v9
	s_delay_alu instid0(VALU_DEP_1)
	v_add_co_ci_u32_e64 v1, s0, s3, v1, s0
	s_cbranch_vccnz .LBB22_1734
; %bb.1728:
	v_cmp_lt_i16_e32 vcc_lo, 25, v13
	s_mov_b32 s15, 0
	s_cbranch_vccz .LBB22_1740
; %bb.1729:
	v_cmp_lt_i16_e32 vcc_lo, 28, v13
	s_cbranch_vccz .LBB22_1742
; %bb.1730:
	v_cmp_lt_i16_e32 vcc_lo, 43, v13
	;; [unrolled: 3-line block ×3, first 2 shown]
	s_cbranch_vccz .LBB22_1748
; %bb.1732:
	v_cmp_eq_u16_e32 vcc_lo, 46, v13
	s_mov_b32 s1, 0
	s_cbranch_vccz .LBB22_1792
; %bb.1733:
	global_load_b32 v4, v[0:1], off
	s_mov_b32 s14, 0
	s_mov_b32 s0, -1
	s_waitcnt vmcnt(0)
	v_lshlrev_b32_e32 v4, 16, v4
	s_delay_alu instid0(VALU_DEP_1)
	v_cvt_f64_f32_e32 v[4:5], v4
	s_branch .LBB22_1794
.LBB22_1734:
	s_mov_b32 s0, 0
                                        ; implicit-def: $vgpr4_vgpr5
	s_cbranch_execz .LBB22_1859
; %bb.1735:
	v_cmp_gt_i16_e32 vcc_lo, 5, v13
	s_cbranch_vccnz .LBB22_1741
; %bb.1736:
	v_cmp_gt_i16_e32 vcc_lo, 8, v13
	s_cbranch_vccnz .LBB22_1743
	;; [unrolled: 3-line block ×3, first 2 shown]
; %bb.1738:
	v_cmp_lt_i16_e32 vcc_lo, 9, v13
	s_cbranch_vccz .LBB22_1751
; %bb.1739:
	global_load_b64 v[4:5], v[0:1], off
	s_mov_b32 s0, 0
	s_branch .LBB22_1752
.LBB22_1740:
	s_mov_b32 s0, 0
	s_mov_b32 s14, 0
                                        ; implicit-def: $vgpr4_vgpr5
	s_cbranch_execnz .LBB22_1825
	s_branch .LBB22_1855
.LBB22_1741:
                                        ; implicit-def: $vgpr4_vgpr5
	s_branch .LBB22_1770
.LBB22_1742:
	s_mov_b32 s1, -1
	s_mov_b32 s0, 0
	s_mov_b32 s14, 0
                                        ; implicit-def: $vgpr4_vgpr5
	s_branch .LBB22_1804
.LBB22_1743:
	s_mov_b32 s0, -1
                                        ; implicit-def: $vgpr4_vgpr5
	s_branch .LBB22_1758
.LBB22_1744:
	s_mov_b32 s1, -1
	s_mov_b32 s0, 0
	s_mov_b32 s14, 0
                                        ; implicit-def: $vgpr4_vgpr5
	s_branch .LBB22_1799
.LBB22_1745:
	s_mov_b32 s0, -1
                                        ; implicit-def: $vgpr4_vgpr5
	s_branch .LBB22_1755
.LBB22_1746:
	s_cbranch_execnz .LBB22_1790
; %bb.1747:
	s_or_b32 s11, s13, exec_lo
                                        ; implicit-def: $vgpr2_vgpr3
	s_cbranch_execz .LBB22_1724
	s_branch .LBB22_1725
.LBB22_1748:
	s_mov_b32 s1, -1
	s_mov_b32 s0, 0
	s_mov_b32 s14, 0
	s_branch .LBB22_1793
.LBB22_1749:
	s_or_saveexec_b32 s17, s17
                                        ; implicit-def: $sgpr18
	s_delay_alu instid0(SALU_CYCLE_1)
	s_xor_b32 exec_lo, exec_lo, s17
	s_cbranch_execz .LBB22_1510
.LBB22_1750:
	v_add_f32_e64 v3, 0x46000000, |v2|
	s_and_not1_b32 s16, s16, exec_lo
	s_mov_b32 s18, 0
	s_delay_alu instid0(VALU_DEP_1) | instskip(NEXT) | instid1(VALU_DEP_1)
	v_and_b32_e32 v3, 0xff, v3
	v_cmp_ne_u32_e32 vcc_lo, 0, v3
	s_and_b32 s19, vcc_lo, exec_lo
	s_delay_alu instid0(SALU_CYCLE_1)
	s_or_b32 s16, s16, s19
	s_or_b32 exec_lo, exec_lo, s17
	v_mov_b32_e32 v6, s18
	s_and_saveexec_b32 s17, s16
	s_cbranch_execnz .LBB22_1511
	s_branch .LBB22_1512
.LBB22_1751:
	s_mov_b32 s0, -1
                                        ; implicit-def: $vgpr4_vgpr5
.LBB22_1752:
	s_delay_alu instid0(SALU_CYCLE_1)
	s_and_not1_b32 vcc_lo, exec_lo, s0
	s_cbranch_vccnz .LBB22_1754
; %bb.1753:
	global_load_b32 v4, v[0:1], off
	s_waitcnt vmcnt(0)
	v_cvt_f64_f32_e32 v[4:5], v4
.LBB22_1754:
	s_mov_b32 s0, 0
.LBB22_1755:
	s_delay_alu instid0(SALU_CYCLE_1)
	s_and_not1_b32 vcc_lo, exec_lo, s0
	s_cbranch_vccnz .LBB22_1757
; %bb.1756:
	global_load_b32 v4, v[0:1], off
	s_waitcnt vmcnt(0)
	v_cvt_f32_f16_e32 v4, v4
	s_delay_alu instid0(VALU_DEP_1)
	v_cvt_f64_f32_e32 v[4:5], v4
.LBB22_1757:
	s_mov_b32 s0, 0
.LBB22_1758:
	s_delay_alu instid0(SALU_CYCLE_1)
	s_and_not1_b32 vcc_lo, exec_lo, s0
	s_cbranch_vccnz .LBB22_1769
; %bb.1759:
	v_cmp_gt_i16_e32 vcc_lo, 6, v13
	s_cbranch_vccnz .LBB22_1762
; %bb.1760:
	v_cmp_lt_i16_e32 vcc_lo, 6, v13
	s_cbranch_vccz .LBB22_1763
; %bb.1761:
	global_load_b64 v[4:5], v[0:1], off
	s_mov_b32 s0, 0
	s_branch .LBB22_1764
.LBB22_1762:
	s_mov_b32 s0, -1
                                        ; implicit-def: $vgpr4_vgpr5
	s_branch .LBB22_1767
.LBB22_1763:
	s_mov_b32 s0, -1
                                        ; implicit-def: $vgpr4_vgpr5
.LBB22_1764:
	s_delay_alu instid0(SALU_CYCLE_1)
	s_and_not1_b32 vcc_lo, exec_lo, s0
	s_cbranch_vccnz .LBB22_1766
; %bb.1765:
	global_load_b32 v4, v[0:1], off
	s_waitcnt vmcnt(0)
	v_cvt_f64_f32_e32 v[4:5], v4
.LBB22_1766:
	s_mov_b32 s0, 0
.LBB22_1767:
	s_delay_alu instid0(SALU_CYCLE_1)
	s_and_not1_b32 vcc_lo, exec_lo, s0
	s_cbranch_vccnz .LBB22_1769
; %bb.1768:
	global_load_u16 v4, v[0:1], off
	s_waitcnt vmcnt(0)
	v_cvt_f32_f16_e32 v4, v4
	s_delay_alu instid0(VALU_DEP_1)
	v_cvt_f64_f32_e32 v[4:5], v4
.LBB22_1769:
	s_cbranch_execnz .LBB22_1789
.LBB22_1770:
	v_cmp_gt_i16_e32 vcc_lo, 2, v13
	s_cbranch_vccnz .LBB22_1774
; %bb.1771:
	v_cmp_gt_i16_e32 vcc_lo, 3, v13
	s_cbranch_vccnz .LBB22_1775
; %bb.1772:
	v_cmp_lt_i16_e32 vcc_lo, 3, v13
	s_cbranch_vccz .LBB22_1776
; %bb.1773:
	global_load_b64 v[4:5], v[0:1], off
	s_mov_b32 s0, 0
	s_waitcnt vmcnt(0)
	v_cvt_f64_i32_e32 v[5:6], v5
	v_cvt_f64_u32_e32 v[7:8], v4
	s_delay_alu instid0(VALU_DEP_2) | instskip(NEXT) | instid1(VALU_DEP_1)
	v_ldexp_f64 v[5:6], v[5:6], 32
	v_add_f64 v[4:5], v[5:6], v[7:8]
	s_branch .LBB22_1777
.LBB22_1774:
	s_mov_b32 s0, -1
                                        ; implicit-def: $vgpr4_vgpr5
	s_branch .LBB22_1783
.LBB22_1775:
	s_mov_b32 s0, -1
                                        ; implicit-def: $vgpr4_vgpr5
	s_branch .LBB22_1780
.LBB22_1776:
	s_mov_b32 s0, -1
                                        ; implicit-def: $vgpr4_vgpr5
.LBB22_1777:
	s_delay_alu instid0(SALU_CYCLE_1)
	s_and_not1_b32 vcc_lo, exec_lo, s0
	s_cbranch_vccnz .LBB22_1779
; %bb.1778:
	global_load_b32 v4, v[0:1], off
	s_waitcnt vmcnt(0)
	v_cvt_f64_i32_e32 v[4:5], v4
.LBB22_1779:
	s_mov_b32 s0, 0
.LBB22_1780:
	s_delay_alu instid0(SALU_CYCLE_1)
	s_and_not1_b32 vcc_lo, exec_lo, s0
	s_cbranch_vccnz .LBB22_1782
; %bb.1781:
	global_load_i16 v4, v[0:1], off
	s_waitcnt vmcnt(0)
	v_cvt_f64_i32_e32 v[4:5], v4
.LBB22_1782:
	s_mov_b32 s0, 0
.LBB22_1783:
	s_delay_alu instid0(SALU_CYCLE_1)
	s_and_not1_b32 vcc_lo, exec_lo, s0
	s_cbranch_vccnz .LBB22_1789
; %bb.1784:
	v_cmp_lt_i16_e32 vcc_lo, 0, v13
	s_mov_b32 s0, 0
	s_cbranch_vccz .LBB22_1786
; %bb.1785:
	global_load_i8 v4, v[0:1], off
	s_waitcnt vmcnt(0)
	v_cvt_f64_i32_e32 v[4:5], v4
	s_branch .LBB22_1787
.LBB22_1786:
	s_mov_b32 s0, -1
                                        ; implicit-def: $vgpr4_vgpr5
.LBB22_1787:
	s_delay_alu instid0(SALU_CYCLE_1)
	s_and_not1_b32 vcc_lo, exec_lo, s0
	s_cbranch_vccnz .LBB22_1789
; %bb.1788:
	global_load_u8 v0, v[0:1], off
	s_waitcnt vmcnt(0)
	v_cvt_f64_u32_e32 v[4:5], v0
.LBB22_1789:
	s_branch .LBB22_1860
.LBB22_1790:
	s_trap 2
	s_sendmsg_rtn_b32 s0, sendmsg(MSG_RTN_GET_DOORBELL)
	s_mov_b32 ttmp2, m0
	s_waitcnt lgkmcnt(0)
	s_and_b32 s0, s0, 0x3ff
	s_delay_alu instid0(SALU_CYCLE_1) | instskip(NEXT) | instid1(SALU_CYCLE_1)
	s_bitset1_b32 s0, 10
	s_mov_b32 m0, s0
	s_sendmsg sendmsg(MSG_INTERRUPT)
	s_mov_b32 m0, ttmp2
.LBB22_1791:                            ; =>This Inner Loop Header: Depth=1
	s_sethalt 5
	s_branch .LBB22_1791
.LBB22_1792:
	s_mov_b32 s14, -1
	s_mov_b32 s0, 0
.LBB22_1793:
                                        ; implicit-def: $vgpr4_vgpr5
.LBB22_1794:
	s_and_b32 vcc_lo, exec_lo, s1
	s_cbranch_vccz .LBB22_1798
; %bb.1795:
	v_cmp_eq_u16_e32 vcc_lo, 44, v13
	s_cbranch_vccz .LBB22_1797
; %bb.1796:
	global_load_u8 v6, v[0:1], off
	s_mov_b32 s14, 0
	s_mov_b32 s0, -1
	s_waitcnt vmcnt(0)
	v_cmp_ne_u32_e32 vcc_lo, 0xff, v6
	v_lshlrev_b32_e32 v4, 23, v6
	s_delay_alu instid0(VALU_DEP_1) | instskip(NEXT) | instid1(VALU_DEP_1)
	v_cvt_f64_f32_e32 v[4:5], v4
	v_cndmask_b32_e32 v5, 0x7ff80000, v5, vcc_lo
	s_delay_alu instid0(VALU_DEP_2) | instskip(SKIP_1) | instid1(VALU_DEP_3)
	v_cndmask_b32_e32 v4, 0x20000000, v4, vcc_lo
	v_cmp_ne_u32_e32 vcc_lo, 0, v6
	v_cndmask_b32_e32 v5, 0x38000000, v5, vcc_lo
	s_delay_alu instid0(VALU_DEP_3)
	v_cndmask_b32_e32 v4, 0, v4, vcc_lo
	s_branch .LBB22_1798
.LBB22_1797:
	s_mov_b32 s14, -1
                                        ; implicit-def: $vgpr4_vgpr5
.LBB22_1798:
	s_mov_b32 s1, 0
.LBB22_1799:
	s_delay_alu instid0(SALU_CYCLE_1)
	s_and_b32 vcc_lo, exec_lo, s1
	s_cbranch_vccz .LBB22_1803
; %bb.1800:
	v_cmp_eq_u16_e32 vcc_lo, 29, v13
	s_cbranch_vccz .LBB22_1802
; %bb.1801:
	global_load_b64 v[4:5], v[0:1], off
	s_mov_b32 s14, 0
	s_mov_b32 s0, -1
	s_mov_b32 s1, 0
	s_waitcnt vmcnt(0)
	v_cvt_f64_u32_e32 v[5:6], v5
	v_cvt_f64_u32_e32 v[7:8], v4
	s_delay_alu instid0(VALU_DEP_2) | instskip(NEXT) | instid1(VALU_DEP_1)
	v_ldexp_f64 v[5:6], v[5:6], 32
	v_add_f64 v[4:5], v[5:6], v[7:8]
	s_branch .LBB22_1804
.LBB22_1802:
	s_mov_b32 s14, -1
                                        ; implicit-def: $vgpr4_vgpr5
.LBB22_1803:
	s_mov_b32 s1, 0
.LBB22_1804:
	s_delay_alu instid0(SALU_CYCLE_1)
	s_and_b32 vcc_lo, exec_lo, s1
	s_cbranch_vccz .LBB22_1824
; %bb.1805:
	v_cmp_gt_i16_e32 vcc_lo, 27, v13
	s_cbranch_vccnz .LBB22_1808
; %bb.1806:
	v_cmp_lt_i16_e32 vcc_lo, 27, v13
	s_cbranch_vccz .LBB22_1809
; %bb.1807:
	global_load_b32 v4, v[0:1], off
	s_mov_b32 s0, 0
	s_waitcnt vmcnt(0)
	v_cvt_f64_u32_e32 v[4:5], v4
	s_branch .LBB22_1810
.LBB22_1808:
	s_mov_b32 s0, -1
                                        ; implicit-def: $vgpr4_vgpr5
	s_branch .LBB22_1813
.LBB22_1809:
	s_mov_b32 s0, -1
                                        ; implicit-def: $vgpr4_vgpr5
.LBB22_1810:
	s_delay_alu instid0(SALU_CYCLE_1)
	s_and_not1_b32 vcc_lo, exec_lo, s0
	s_cbranch_vccnz .LBB22_1812
; %bb.1811:
	global_load_u16 v4, v[0:1], off
	s_waitcnt vmcnt(0)
	v_cvt_f64_u32_e32 v[4:5], v4
.LBB22_1812:
	s_mov_b32 s0, 0
.LBB22_1813:
	s_delay_alu instid0(SALU_CYCLE_1)
	s_and_not1_b32 vcc_lo, exec_lo, s0
	s_cbranch_vccnz .LBB22_1823
; %bb.1814:
	global_load_u8 v6, v[0:1], off
	s_mov_b32 s16, 0
	s_mov_b32 s17, exec_lo
                                        ; implicit-def: $sgpr0_sgpr1
	s_waitcnt vmcnt(0)
	v_cmpx_lt_i16_e32 0x7f, v6
	s_xor_b32 s17, exec_lo, s17
	s_cbranch_execz .LBB22_1818
; %bb.1815:
	s_mov_b32 s18, -1
	s_mov_b32 s16, exec_lo
                                        ; implicit-def: $sgpr0_sgpr1
	v_cmpx_eq_u16_e32 0x80, v6
; %bb.1816:
	s_mov_b32 s1, 0x7ff80000
	s_brev_b32 s0, 4
	s_xor_b32 s18, exec_lo, -1
; %bb.1817:
	s_or_b32 exec_lo, exec_lo, s16
	s_delay_alu instid0(SALU_CYCLE_1)
	s_and_b32 s16, s18, exec_lo
.LBB22_1818:
	s_or_saveexec_b32 s17, s17
	v_dual_mov_b32 v5, s1 :: v_dual_mov_b32 v4, s0
	s_xor_b32 exec_lo, exec_lo, s17
; %bb.1819:
	v_cmp_ne_u16_e32 vcc_lo, 0, v6
	v_mov_b32_e32 v4, 0
	v_mov_b32_e32 v5, 0
	s_and_not1_b32 s0, s16, exec_lo
	s_and_b32 s1, vcc_lo, exec_lo
	s_delay_alu instid0(SALU_CYCLE_1)
	s_or_b32 s16, s0, s1
; %bb.1820:
	s_or_b32 exec_lo, exec_lo, s17
	s_and_saveexec_b32 s0, s16
	s_cbranch_execz .LBB22_1822
; %bb.1821:
	v_and_b32_e32 v4, 0xffff, v6
	v_lshlrev_b32_e32 v6, 24, v6
	s_delay_alu instid0(VALU_DEP_2) | instskip(NEXT) | instid1(VALU_DEP_2)
	v_and_b32_e32 v5, 7, v4
	v_and_b32_e32 v6, 0x80000000, v6
	s_delay_alu instid0(VALU_DEP_2) | instskip(NEXT) | instid1(VALU_DEP_1)
	v_clz_i32_u32_e32 v7, v5
	v_min_u32_e32 v7, 32, v7
	s_delay_alu instid0(VALU_DEP_1) | instskip(SKIP_1) | instid1(VALU_DEP_2)
	v_subrev_nc_u32_e32 v8, 28, v7
	v_sub_nc_u32_e32 v7, 29, v7
	v_lshlrev_b32_e32 v8, v8, v4
	v_bfe_u32 v4, v4, 3, 4
	s_delay_alu instid0(VALU_DEP_2) | instskip(NEXT) | instid1(VALU_DEP_2)
	v_and_b32_e32 v8, 7, v8
	v_cmp_eq_u32_e32 vcc_lo, 0, v4
	s_delay_alu instid0(VALU_DEP_2) | instskip(NEXT) | instid1(VALU_DEP_1)
	v_dual_cndmask_b32 v4, v4, v7 :: v_dual_cndmask_b32 v5, v5, v8
	v_lshl_add_u32 v4, v4, 23, 0x3b800000
	s_delay_alu instid0(VALU_DEP_2) | instskip(NEXT) | instid1(VALU_DEP_1)
	v_lshlrev_b32_e32 v5, 20, v5
	v_or3_b32 v4, v6, v4, v5
	s_delay_alu instid0(VALU_DEP_1)
	v_cvt_f64_f32_e32 v[4:5], v4
.LBB22_1822:
	s_or_b32 exec_lo, exec_lo, s0
.LBB22_1823:
	s_mov_b32 s0, -1
.LBB22_1824:
	s_branch .LBB22_1855
.LBB22_1825:
	v_cmp_lt_i16_e32 vcc_lo, 22, v13
	s_cbranch_vccz .LBB22_1837
; %bb.1826:
	v_cmp_gt_i16_e32 vcc_lo, 24, v13
	s_cbranch_vccnz .LBB22_1838
; %bb.1827:
	v_cmp_lt_i16_e32 vcc_lo, 24, v13
	s_cbranch_vccz .LBB22_1839
; %bb.1828:
	global_load_u8 v6, v[0:1], off
	s_mov_b32 s16, exec_lo
                                        ; implicit-def: $sgpr0_sgpr1
	s_waitcnt vmcnt(0)
	v_cmpx_lt_i16_e32 0x7f, v6
	s_xor_b32 s16, exec_lo, s16
	s_cbranch_execz .LBB22_1832
; %bb.1829:
	s_mov_b32 s17, -1
	s_mov_b32 s15, exec_lo
                                        ; implicit-def: $sgpr0_sgpr1
	v_cmpx_eq_u16_e32 0x80, v6
; %bb.1830:
	s_mov_b32 s1, 0x7ff80000
	s_brev_b32 s0, 4
	s_xor_b32 s17, exec_lo, -1
; %bb.1831:
	s_or_b32 exec_lo, exec_lo, s15
	s_delay_alu instid0(SALU_CYCLE_1)
	s_and_b32 s15, s17, exec_lo
.LBB22_1832:
	s_or_saveexec_b32 s16, s16
	v_dual_mov_b32 v5, s1 :: v_dual_mov_b32 v4, s0
	s_xor_b32 exec_lo, exec_lo, s16
; %bb.1833:
	v_cmp_ne_u16_e32 vcc_lo, 0, v6
	v_mov_b32_e32 v4, 0
	v_mov_b32_e32 v5, 0
	s_and_not1_b32 s0, s15, exec_lo
	s_and_b32 s1, vcc_lo, exec_lo
	s_delay_alu instid0(SALU_CYCLE_1)
	s_or_b32 s15, s0, s1
; %bb.1834:
	s_or_b32 exec_lo, exec_lo, s16
	s_and_saveexec_b32 s0, s15
	s_cbranch_execz .LBB22_1836
; %bb.1835:
	v_and_b32_e32 v4, 0xffff, v6
	v_lshlrev_b32_e32 v6, 24, v6
	s_delay_alu instid0(VALU_DEP_2) | instskip(NEXT) | instid1(VALU_DEP_2)
	v_and_b32_e32 v5, 3, v4
	v_and_b32_e32 v6, 0x80000000, v6
	s_delay_alu instid0(VALU_DEP_2) | instskip(NEXT) | instid1(VALU_DEP_1)
	v_clz_i32_u32_e32 v7, v5
	v_min_u32_e32 v7, 32, v7
	s_delay_alu instid0(VALU_DEP_1) | instskip(SKIP_1) | instid1(VALU_DEP_2)
	v_subrev_nc_u32_e32 v8, 29, v7
	v_sub_nc_u32_e32 v7, 30, v7
	v_lshlrev_b32_e32 v8, v8, v4
	v_bfe_u32 v4, v4, 2, 5
	s_delay_alu instid0(VALU_DEP_2) | instskip(NEXT) | instid1(VALU_DEP_2)
	v_and_b32_e32 v8, 3, v8
	v_cmp_eq_u32_e32 vcc_lo, 0, v4
	s_delay_alu instid0(VALU_DEP_2) | instskip(NEXT) | instid1(VALU_DEP_1)
	v_dual_cndmask_b32 v4, v4, v7 :: v_dual_cndmask_b32 v5, v5, v8
	v_lshl_add_u32 v4, v4, 23, 0x37800000
	s_delay_alu instid0(VALU_DEP_2) | instskip(NEXT) | instid1(VALU_DEP_1)
	v_lshlrev_b32_e32 v5, 21, v5
	v_or3_b32 v4, v6, v4, v5
	s_delay_alu instid0(VALU_DEP_1)
	v_cvt_f64_f32_e32 v[4:5], v4
.LBB22_1836:
	s_or_b32 exec_lo, exec_lo, s0
	s_mov_b32 s0, 0
	s_branch .LBB22_1840
.LBB22_1837:
	s_mov_b32 s1, -1
                                        ; implicit-def: $vgpr4_vgpr5
	s_branch .LBB22_1846
.LBB22_1838:
	s_mov_b32 s0, -1
                                        ; implicit-def: $vgpr4_vgpr5
	s_branch .LBB22_1843
.LBB22_1839:
	s_mov_b32 s0, -1
                                        ; implicit-def: $vgpr4_vgpr5
.LBB22_1840:
	s_delay_alu instid0(SALU_CYCLE_1)
	s_and_b32 vcc_lo, exec_lo, s0
	s_cbranch_vccz .LBB22_1842
; %bb.1841:
	global_load_u8 v4, v[0:1], off
	s_waitcnt vmcnt(0)
	v_lshlrev_b32_e32 v4, 24, v4
	s_delay_alu instid0(VALU_DEP_1) | instskip(NEXT) | instid1(VALU_DEP_1)
	v_and_b32_e32 v5, 0x7f000000, v4
	v_clz_i32_u32_e32 v6, v5
	v_add_nc_u32_e32 v8, 0x1000000, v5
	v_cmp_ne_u32_e32 vcc_lo, 0, v5
	s_delay_alu instid0(VALU_DEP_3) | instskip(NEXT) | instid1(VALU_DEP_1)
	v_min_u32_e32 v6, 32, v6
	v_sub_nc_u32_e64 v6, v6, 4 clamp
	s_delay_alu instid0(VALU_DEP_1) | instskip(SKIP_1) | instid1(VALU_DEP_2)
	v_lshlrev_b32_e32 v7, v6, v5
	v_lshlrev_b32_e32 v6, 23, v6
	v_lshrrev_b32_e32 v7, 4, v7
	s_delay_alu instid0(VALU_DEP_1) | instskip(SKIP_1) | instid1(VALU_DEP_2)
	v_sub_nc_u32_e32 v6, v7, v6
	v_ashrrev_i32_e32 v7, 8, v8
	v_add_nc_u32_e32 v6, 0x3c000000, v6
	s_delay_alu instid0(VALU_DEP_1) | instskip(NEXT) | instid1(VALU_DEP_1)
	v_and_or_b32 v6, 0x7f800000, v7, v6
	v_cndmask_b32_e32 v5, 0, v6, vcc_lo
	s_delay_alu instid0(VALU_DEP_1) | instskip(NEXT) | instid1(VALU_DEP_1)
	v_and_or_b32 v4, 0x80000000, v4, v5
	v_cvt_f64_f32_e32 v[4:5], v4
.LBB22_1842:
	s_mov_b32 s0, 0
.LBB22_1843:
	s_delay_alu instid0(SALU_CYCLE_1)
	s_and_not1_b32 vcc_lo, exec_lo, s0
	s_cbranch_vccnz .LBB22_1845
; %bb.1844:
	global_load_u8 v4, v[0:1], off
	s_waitcnt vmcnt(0)
	v_lshlrev_b32_e32 v5, 25, v4
	v_lshlrev_b16 v4, 8, v4
	s_delay_alu instid0(VALU_DEP_2) | instskip(NEXT) | instid1(VALU_DEP_2)
	v_lshrrev_b32_e32 v6, 4, v5
	v_and_or_b32 v7, 0x7f00, v4, 0.5
	v_bfe_i32 v4, v4, 0, 16
	s_delay_alu instid0(VALU_DEP_3) | instskip(NEXT) | instid1(VALU_DEP_1)
	v_or_b32_e32 v6, 0x70000000, v6
	v_dual_add_f32 v7, -0.5, v7 :: v_dual_mul_f32 v6, 0x7800000, v6
	v_cmp_gt_u32_e32 vcc_lo, 0x8000000, v5
	s_delay_alu instid0(VALU_DEP_2) | instskip(NEXT) | instid1(VALU_DEP_1)
	v_cndmask_b32_e32 v5, v6, v7, vcc_lo
	v_and_or_b32 v4, 0x80000000, v4, v5
	s_delay_alu instid0(VALU_DEP_1)
	v_cvt_f64_f32_e32 v[4:5], v4
.LBB22_1845:
	s_mov_b32 s1, 0
	s_mov_b32 s0, -1
.LBB22_1846:
	s_and_not1_b32 vcc_lo, exec_lo, s1
	s_mov_b32 s15, 0
	s_cbranch_vccnz .LBB22_1855
; %bb.1847:
	v_cmp_lt_i16_e32 vcc_lo, 14, v13
	s_cbranch_vccz .LBB22_1850
; %bb.1848:
	v_cmp_eq_u16_e32 vcc_lo, 15, v13
	s_cbranch_vccz .LBB22_1851
; %bb.1849:
	global_load_u16 v4, v[0:1], off
	s_mov_b32 s14, 0
	s_mov_b32 s0, -1
	s_waitcnt vmcnt(0)
	v_lshlrev_b32_e32 v4, 16, v4
	s_delay_alu instid0(VALU_DEP_1)
	v_cvt_f64_f32_e32 v[4:5], v4
	s_branch .LBB22_1852
.LBB22_1850:
	s_mov_b32 s1, -1
                                        ; implicit-def: $vgpr4_vgpr5
	s_branch .LBB22_1853
.LBB22_1851:
	s_mov_b32 s14, -1
                                        ; implicit-def: $vgpr4_vgpr5
.LBB22_1852:
	s_mov_b32 s1, 0
.LBB22_1853:
	s_delay_alu instid0(SALU_CYCLE_1)
	s_and_b32 vcc_lo, exec_lo, s1
	s_cbranch_vccz .LBB22_1855
; %bb.1854:
	v_cmp_ne_u16_e64 s14, 11, v13
	s_mov_b32 s15, -1
                                        ; implicit-def: $vgpr4_vgpr5
.LBB22_1855:
	s_delay_alu instid0(VALU_DEP_1)
	s_and_b32 vcc_lo, exec_lo, s14
	s_cbranch_vccnz .LBB22_1891
; %bb.1856:
	s_and_not1_b32 vcc_lo, exec_lo, s15
	s_cbranch_vccnz .LBB22_1858
.LBB22_1857:
	global_load_u8 v4, v[0:1], off
	s_mov_b32 s0, -1
	s_waitcnt vmcnt(0)
	v_cmp_ne_u16_e32 vcc_lo, 0, v4
	v_mov_b32_e32 v4, 0
	v_cndmask_b32_e64 v5, 0, 0x3ff00000, vcc_lo
.LBB22_1858:
.LBB22_1859:
	s_and_not1_b32 vcc_lo, exec_lo, s0
	s_cbranch_vccnz .LBB22_2793
.LBB22_1860:
	s_waitcnt vmcnt(0)
	s_delay_alu instid0(VALU_DEP_1) | instskip(SKIP_2) | instid1(VALU_DEP_2)
	v_trunc_f64_e32 v[0:1], v[4:5]
	v_cmp_class_f64_e64 vcc_lo, v[4:5], 0x1f8
	s_mov_b32 s14, exec_lo
	v_ldexp_f64 v[6:7], v[0:1], 0xffffffe0
	s_delay_alu instid0(VALU_DEP_1) | instskip(NEXT) | instid1(VALU_DEP_1)
	v_floor_f64_e32 v[6:7], v[6:7]
	v_fma_f64 v[0:1], 0xc1f00000, v[6:7], v[0:1]
	v_cvt_i32_f64_e32 v6, v[6:7]
	s_delay_alu instid0(VALU_DEP_2) | instskip(NEXT) | instid1(VALU_DEP_1)
	v_cvt_u32_f64_e32 v0, v[0:1]
	v_dual_cndmask_b32 v5, -1, v6 :: v_dual_cndmask_b32 v4, -1, v0
	v_mov_b32_e32 v0, 0
	v_mov_b32_e32 v1, 0
	s_delay_alu instid0(VALU_DEP_3)
	v_cmpx_lt_i64_e32 -1, v[4:5]
	s_cbranch_execz .LBB22_1872
; %bb.1861:
	v_mov_b32_e32 v0, 0
	v_mov_b32_e32 v1, 0x3ff00000
	s_mov_b32 s15, exec_lo
	v_cmpx_lt_i64_e32 0, v[4:5]
	s_cbranch_execz .LBB22_1871
; %bb.1862:
                                        ; implicit-def: $vgpr0_vgpr1
	s_mov_b32 s0, exec_lo
	v_cmpx_ne_u64_e32 1, v[4:5]
	s_xor_b32 s16, exec_lo, s0
	s_cbranch_execz .LBB22_1868
; %bb.1863:
	v_mov_b32_e32 v0, 0
	v_mov_b32_e32 v1, 0x7ff80000
	s_mov_b32 s17, exec_lo
	v_cmpx_gt_u64_e32 0x201, v[4:5]
	s_cbranch_execz .LBB22_1867
; %bb.1864:
	v_add_f64 v[2:3], v[2:3], v[2:3]
	v_mov_b32_e32 v6, 0
	v_lshlrev_b64 v[4:5], 1, v[4:5]
	v_mov_b32_e32 v7, 0x3ff00000
	s_mov_b64 s[0:1], 2
	s_mov_b32 s18, 0
	s_delay_alu instid0(VALU_DEP_4)
	v_dual_mov_b32 v0, v2 :: v_dual_mov_b32 v1, v3
	.p2align	6
.LBB22_1865:                            ; =>This Inner Loop Header: Depth=1
	v_cvt_f64_u32_e32 v[16:17], s1
	v_cvt_f64_u32_e32 v[18:19], s0
	s_add_u32 s0, s0, 2
	s_addc_u32 s1, s1, 0
	s_delay_alu instid0(SALU_CYCLE_1) | instskip(SKIP_1) | instid1(VALU_DEP_3)
	v_cmp_ge_u64_e32 vcc_lo, s[0:1], v[4:5]
	s_or_b32 s18, vcc_lo, s18
	v_ldexp_f64 v[16:17], v[16:17], 32
	s_delay_alu instid0(VALU_DEP_1) | instskip(NEXT) | instid1(VALU_DEP_1)
	v_add_f64 v[16:17], v[16:17], v[18:19]
	v_mul_f64 v[6:7], v[6:7], v[16:17]
	v_dual_mov_b32 v17, v1 :: v_dual_mov_b32 v16, v0
	s_delay_alu instid0(VALU_DEP_1)
	v_fma_f64 v[0:1], v[2:3], v[16:17], -v[6:7]
	v_dual_mov_b32 v6, v16 :: v_dual_mov_b32 v7, v17
	s_and_not1_b32 exec_lo, exec_lo, s18
	s_cbranch_execnz .LBB22_1865
; %bb.1866:
	s_or_b32 exec_lo, exec_lo, s18
.LBB22_1867:
	s_delay_alu instid0(SALU_CYCLE_1)
	s_or_b32 exec_lo, exec_lo, s17
                                        ; implicit-def: $vgpr2_vgpr3
.LBB22_1868:
	s_and_not1_saveexec_b32 s0, s16
; %bb.1869:
	v_add_f64 v[0:1], v[2:3], v[2:3]
; %bb.1870:
	s_or_b32 exec_lo, exec_lo, s0
.LBB22_1871:
	s_delay_alu instid0(SALU_CYCLE_1)
	s_or_b32 exec_lo, exec_lo, s15
.LBB22_1872:
	s_delay_alu instid0(SALU_CYCLE_1) | instskip(SKIP_3) | instid1(VALU_DEP_1)
	s_or_b32 exec_lo, exec_lo, s14
	s_lshl_b32 s9, s9, 7
	v_cmp_gt_i16_e32 vcc_lo, 11, v12
	v_add_nc_u32_e32 v10, s9, v10
	v_ashrrev_i32_e32 v2, 31, v10
	v_add_co_u32 v4, s0, s6, v10
	s_delay_alu instid0(VALU_DEP_1)
	v_add_co_ci_u32_e64 v5, s0, s7, v2, s0
	s_cbranch_vccnz .LBB22_1879
; %bb.1873:
	v_cmp_lt_i16_e32 vcc_lo, 25, v12
	s_mov_b32 s15, 0
	s_cbranch_vccz .LBB22_1885
; %bb.1874:
	v_cmp_lt_i16_e32 vcc_lo, 28, v12
	s_cbranch_vccz .LBB22_1887
; %bb.1875:
	v_cmp_lt_i16_e32 vcc_lo, 43, v12
	;; [unrolled: 3-line block ×3, first 2 shown]
	s_cbranch_vccz .LBB22_1895
; %bb.1877:
	v_cmp_eq_u16_e32 vcc_lo, 46, v12
	s_mov_b32 s1, 0
	s_cbranch_vccz .LBB22_1938
; %bb.1878:
	global_load_b32 v2, v[4:5], off
	s_mov_b32 s14, 0
	s_mov_b32 s0, -1
	s_waitcnt vmcnt(0)
	v_lshlrev_b32_e32 v2, 16, v2
	s_delay_alu instid0(VALU_DEP_1)
	v_cvt_f64_f32_e32 v[2:3], v2
	s_branch .LBB22_1940
.LBB22_1879:
	s_mov_b32 s0, 0
                                        ; implicit-def: $vgpr2_vgpr3
	s_cbranch_execz .LBB22_2006
; %bb.1880:
	v_cmp_gt_i16_e32 vcc_lo, 5, v12
	s_cbranch_vccnz .LBB22_1886
; %bb.1881:
	v_cmp_gt_i16_e32 vcc_lo, 8, v12
	s_cbranch_vccnz .LBB22_1888
	;; [unrolled: 3-line block ×3, first 2 shown]
; %bb.1883:
	v_cmp_lt_i16_e32 vcc_lo, 9, v12
	s_cbranch_vccz .LBB22_1896
; %bb.1884:
	global_load_b64 v[2:3], v[4:5], off
	s_mov_b32 s0, 0
	s_branch .LBB22_1897
.LBB22_1885:
	s_mov_b32 s1, -1
	s_mov_b32 s0, 0
	s_mov_b32 s14, 0
                                        ; implicit-def: $vgpr2_vgpr3
	s_branch .LBB22_1971
.LBB22_1886:
	s_mov_b32 s0, -1
                                        ; implicit-def: $vgpr2_vgpr3
	s_branch .LBB22_1915
.LBB22_1887:
	s_mov_b32 s1, -1
	s_mov_b32 s0, 0
	s_mov_b32 s14, 0
                                        ; implicit-def: $vgpr2_vgpr3
	s_branch .LBB22_1950
.LBB22_1888:
	s_mov_b32 s0, -1
                                        ; implicit-def: $vgpr2_vgpr3
	s_branch .LBB22_1903
.LBB22_1889:
	s_mov_b32 s1, -1
	s_mov_b32 s0, 0
	s_mov_b32 s14, 0
                                        ; implicit-def: $vgpr2_vgpr3
	s_branch .LBB22_1945
.LBB22_1890:
	s_mov_b32 s0, -1
                                        ; implicit-def: $vgpr2_vgpr3
	s_branch .LBB22_1900
.LBB22_1891:
	s_cbranch_execnz .LBB22_1936
; %bb.1892:
	s_or_b32 s11, s11, exec_lo
                                        ; implicit-def: $vgpr4_vgpr5
	s_cbranch_execz .LBB22_1857
	s_branch .LBB22_1858
.LBB22_1893:
	s_or_saveexec_b32 s18, s18
                                        ; implicit-def: $sgpr19
	s_delay_alu instid0(SALU_CYCLE_1)
	s_xor_b32 exec_lo, exec_lo, s18
	s_cbranch_execz .LBB22_1522
.LBB22_1894:
	v_add_f32_e64 v3, 0x42800000, |v2|
	s_and_not1_b32 s17, s17, exec_lo
	s_mov_b32 s19, 0
	s_delay_alu instid0(VALU_DEP_1) | instskip(NEXT) | instid1(VALU_DEP_1)
	v_and_b32_e32 v3, 0xff, v3
	v_cmp_ne_u32_e32 vcc_lo, 0, v3
	s_and_b32 s20, vcc_lo, exec_lo
	s_delay_alu instid0(SALU_CYCLE_1)
	s_or_b32 s17, s17, s20
	s_or_b32 exec_lo, exec_lo, s18
	v_mov_b32_e32 v6, s19
	s_and_saveexec_b32 s18, s17
	s_cbranch_execnz .LBB22_1523
	s_branch .LBB22_1524
.LBB22_1895:
	s_mov_b32 s1, -1
	s_mov_b32 s0, 0
	s_mov_b32 s14, 0
	s_branch .LBB22_1939
.LBB22_1896:
	s_mov_b32 s0, -1
                                        ; implicit-def: $vgpr2_vgpr3
.LBB22_1897:
	s_delay_alu instid0(SALU_CYCLE_1)
	s_and_not1_b32 vcc_lo, exec_lo, s0
	s_cbranch_vccnz .LBB22_1899
; %bb.1898:
	global_load_b32 v2, v[4:5], off
	s_waitcnt vmcnt(0)
	v_cvt_f64_f32_e32 v[2:3], v2
.LBB22_1899:
	s_mov_b32 s0, 0
.LBB22_1900:
	s_delay_alu instid0(SALU_CYCLE_1)
	s_and_not1_b32 vcc_lo, exec_lo, s0
	s_cbranch_vccnz .LBB22_1902
; %bb.1901:
	global_load_b32 v2, v[4:5], off
	s_waitcnt vmcnt(0)
	v_cvt_f32_f16_e32 v2, v2
	s_delay_alu instid0(VALU_DEP_1)
	v_cvt_f64_f32_e32 v[2:3], v2
.LBB22_1902:
	s_mov_b32 s0, 0
.LBB22_1903:
	s_delay_alu instid0(SALU_CYCLE_1)
	s_and_not1_b32 vcc_lo, exec_lo, s0
	s_cbranch_vccnz .LBB22_1914
; %bb.1904:
	v_cmp_gt_i16_e32 vcc_lo, 6, v12
	s_cbranch_vccnz .LBB22_1907
; %bb.1905:
	v_cmp_lt_i16_e32 vcc_lo, 6, v12
	s_cbranch_vccz .LBB22_1908
; %bb.1906:
	global_load_b64 v[2:3], v[4:5], off
	s_mov_b32 s0, 0
	s_branch .LBB22_1909
.LBB22_1907:
	s_mov_b32 s0, -1
                                        ; implicit-def: $vgpr2_vgpr3
	s_branch .LBB22_1912
.LBB22_1908:
	s_mov_b32 s0, -1
                                        ; implicit-def: $vgpr2_vgpr3
.LBB22_1909:
	s_delay_alu instid0(SALU_CYCLE_1)
	s_and_not1_b32 vcc_lo, exec_lo, s0
	s_cbranch_vccnz .LBB22_1911
; %bb.1910:
	global_load_b32 v2, v[4:5], off
	s_waitcnt vmcnt(0)
	v_cvt_f64_f32_e32 v[2:3], v2
.LBB22_1911:
	s_mov_b32 s0, 0
.LBB22_1912:
	s_delay_alu instid0(SALU_CYCLE_1)
	s_and_not1_b32 vcc_lo, exec_lo, s0
	s_cbranch_vccnz .LBB22_1914
; %bb.1913:
	global_load_u16 v2, v[4:5], off
	s_waitcnt vmcnt(0)
	v_cvt_f32_f16_e32 v2, v2
	s_delay_alu instid0(VALU_DEP_1)
	v_cvt_f64_f32_e32 v[2:3], v2
.LBB22_1914:
	s_mov_b32 s0, 0
.LBB22_1915:
	s_delay_alu instid0(SALU_CYCLE_1)
	s_and_not1_b32 vcc_lo, exec_lo, s0
	s_cbranch_vccnz .LBB22_1935
; %bb.1916:
	v_cmp_gt_i16_e32 vcc_lo, 2, v12
	s_cbranch_vccnz .LBB22_1920
; %bb.1917:
	v_cmp_gt_i16_e32 vcc_lo, 3, v12
	s_cbranch_vccnz .LBB22_1921
; %bb.1918:
	v_cmp_lt_i16_e32 vcc_lo, 3, v12
	s_cbranch_vccz .LBB22_1922
; %bb.1919:
	global_load_b64 v[2:3], v[4:5], off
	s_mov_b32 s0, 0
	s_waitcnt vmcnt(0)
	v_cvt_f64_i32_e32 v[6:7], v3
	v_cvt_f64_u32_e32 v[2:3], v2
	s_delay_alu instid0(VALU_DEP_2) | instskip(NEXT) | instid1(VALU_DEP_1)
	v_ldexp_f64 v[6:7], v[6:7], 32
	v_add_f64 v[2:3], v[6:7], v[2:3]
	s_branch .LBB22_1923
.LBB22_1920:
	s_mov_b32 s0, -1
                                        ; implicit-def: $vgpr2_vgpr3
	s_branch .LBB22_1929
.LBB22_1921:
	s_mov_b32 s0, -1
                                        ; implicit-def: $vgpr2_vgpr3
	s_branch .LBB22_1926
.LBB22_1922:
	s_mov_b32 s0, -1
                                        ; implicit-def: $vgpr2_vgpr3
.LBB22_1923:
	s_delay_alu instid0(SALU_CYCLE_1)
	s_and_not1_b32 vcc_lo, exec_lo, s0
	s_cbranch_vccnz .LBB22_1925
; %bb.1924:
	global_load_b32 v2, v[4:5], off
	s_waitcnt vmcnt(0)
	v_cvt_f64_i32_e32 v[2:3], v2
.LBB22_1925:
	s_mov_b32 s0, 0
.LBB22_1926:
	s_delay_alu instid0(SALU_CYCLE_1)
	s_and_not1_b32 vcc_lo, exec_lo, s0
	s_cbranch_vccnz .LBB22_1928
; %bb.1927:
	global_load_i16 v2, v[4:5], off
	s_waitcnt vmcnt(0)
	v_cvt_f64_i32_e32 v[2:3], v2
.LBB22_1928:
	s_mov_b32 s0, 0
.LBB22_1929:
	s_delay_alu instid0(SALU_CYCLE_1)
	s_and_not1_b32 vcc_lo, exec_lo, s0
	s_cbranch_vccnz .LBB22_1935
; %bb.1930:
	v_cmp_lt_i16_e32 vcc_lo, 0, v12
	s_mov_b32 s0, 0
	s_cbranch_vccz .LBB22_1932
; %bb.1931:
	global_load_i8 v2, v[4:5], off
	s_waitcnt vmcnt(0)
	v_cvt_f64_i32_e32 v[2:3], v2
	s_branch .LBB22_1933
.LBB22_1932:
	s_mov_b32 s0, -1
                                        ; implicit-def: $vgpr2_vgpr3
.LBB22_1933:
	s_delay_alu instid0(SALU_CYCLE_1)
	s_and_not1_b32 vcc_lo, exec_lo, s0
	s_cbranch_vccnz .LBB22_1935
; %bb.1934:
	global_load_u8 v2, v[4:5], off
	s_waitcnt vmcnt(0)
	v_cvt_f64_u32_e32 v[2:3], v2
.LBB22_1935:
	s_branch .LBB22_2007
.LBB22_1936:
	s_trap 2
	s_sendmsg_rtn_b32 s0, sendmsg(MSG_RTN_GET_DOORBELL)
	s_mov_b32 ttmp2, m0
	s_waitcnt lgkmcnt(0)
	s_and_b32 s0, s0, 0x3ff
	s_delay_alu instid0(SALU_CYCLE_1) | instskip(NEXT) | instid1(SALU_CYCLE_1)
	s_bitset1_b32 s0, 10
	s_mov_b32 m0, s0
	s_sendmsg sendmsg(MSG_INTERRUPT)
	s_mov_b32 m0, ttmp2
.LBB22_1937:                            ; =>This Inner Loop Header: Depth=1
	s_sethalt 5
	s_branch .LBB22_1937
.LBB22_1938:
	s_mov_b32 s14, -1
	s_mov_b32 s0, 0
.LBB22_1939:
                                        ; implicit-def: $vgpr2_vgpr3
.LBB22_1940:
	s_and_b32 vcc_lo, exec_lo, s1
	s_cbranch_vccz .LBB22_1944
; %bb.1941:
	v_cmp_eq_u16_e32 vcc_lo, 44, v12
	s_cbranch_vccz .LBB22_1943
; %bb.1942:
	global_load_u8 v6, v[4:5], off
	s_mov_b32 s14, 0
	s_mov_b32 s0, -1
	s_waitcnt vmcnt(0)
	v_cmp_ne_u32_e32 vcc_lo, 0xff, v6
	v_lshlrev_b32_e32 v2, 23, v6
	s_delay_alu instid0(VALU_DEP_1) | instskip(NEXT) | instid1(VALU_DEP_1)
	v_cvt_f64_f32_e32 v[2:3], v2
	v_cndmask_b32_e32 v3, 0x7ff80000, v3, vcc_lo
	s_delay_alu instid0(VALU_DEP_2) | instskip(SKIP_1) | instid1(VALU_DEP_3)
	v_cndmask_b32_e32 v2, 0x20000000, v2, vcc_lo
	v_cmp_ne_u32_e32 vcc_lo, 0, v6
	v_cndmask_b32_e32 v3, 0x38000000, v3, vcc_lo
	s_delay_alu instid0(VALU_DEP_3)
	v_cndmask_b32_e32 v2, 0, v2, vcc_lo
	s_branch .LBB22_1944
.LBB22_1943:
	s_mov_b32 s14, -1
                                        ; implicit-def: $vgpr2_vgpr3
.LBB22_1944:
	s_mov_b32 s1, 0
.LBB22_1945:
	s_delay_alu instid0(SALU_CYCLE_1)
	s_and_b32 vcc_lo, exec_lo, s1
	s_cbranch_vccz .LBB22_1949
; %bb.1946:
	v_cmp_eq_u16_e32 vcc_lo, 29, v12
	s_cbranch_vccz .LBB22_1948
; %bb.1947:
	global_load_b64 v[2:3], v[4:5], off
	s_mov_b32 s14, 0
	s_mov_b32 s0, -1
	s_mov_b32 s1, 0
	s_waitcnt vmcnt(0)
	v_cvt_f64_u32_e32 v[6:7], v3
	v_cvt_f64_u32_e32 v[2:3], v2
	s_delay_alu instid0(VALU_DEP_2) | instskip(NEXT) | instid1(VALU_DEP_1)
	v_ldexp_f64 v[6:7], v[6:7], 32
	v_add_f64 v[2:3], v[6:7], v[2:3]
	s_branch .LBB22_1950
.LBB22_1948:
	s_mov_b32 s14, -1
                                        ; implicit-def: $vgpr2_vgpr3
.LBB22_1949:
	s_mov_b32 s1, 0
.LBB22_1950:
	s_delay_alu instid0(SALU_CYCLE_1)
	s_and_b32 vcc_lo, exec_lo, s1
	s_cbranch_vccz .LBB22_1970
; %bb.1951:
	v_cmp_gt_i16_e32 vcc_lo, 27, v12
	s_cbranch_vccnz .LBB22_1954
; %bb.1952:
	v_cmp_lt_i16_e32 vcc_lo, 27, v12
	s_cbranch_vccz .LBB22_1955
; %bb.1953:
	global_load_b32 v2, v[4:5], off
	s_mov_b32 s0, 0
	s_waitcnt vmcnt(0)
	v_cvt_f64_u32_e32 v[2:3], v2
	s_branch .LBB22_1956
.LBB22_1954:
	s_mov_b32 s0, -1
                                        ; implicit-def: $vgpr2_vgpr3
	s_branch .LBB22_1959
.LBB22_1955:
	s_mov_b32 s0, -1
                                        ; implicit-def: $vgpr2_vgpr3
.LBB22_1956:
	s_delay_alu instid0(SALU_CYCLE_1)
	s_and_not1_b32 vcc_lo, exec_lo, s0
	s_cbranch_vccnz .LBB22_1958
; %bb.1957:
	global_load_u16 v2, v[4:5], off
	s_waitcnt vmcnt(0)
	v_cvt_f64_u32_e32 v[2:3], v2
.LBB22_1958:
	s_mov_b32 s0, 0
.LBB22_1959:
	s_delay_alu instid0(SALU_CYCLE_1)
	s_and_not1_b32 vcc_lo, exec_lo, s0
	s_cbranch_vccnz .LBB22_1969
; %bb.1960:
	global_load_u8 v6, v[4:5], off
	s_mov_b32 s16, 0
	s_mov_b32 s17, exec_lo
                                        ; implicit-def: $sgpr0_sgpr1
	s_waitcnt vmcnt(0)
	v_cmpx_lt_i16_e32 0x7f, v6
	s_xor_b32 s17, exec_lo, s17
	s_cbranch_execz .LBB22_1964
; %bb.1961:
	s_mov_b32 s18, -1
	s_mov_b32 s16, exec_lo
                                        ; implicit-def: $sgpr0_sgpr1
	v_cmpx_eq_u16_e32 0x80, v6
; %bb.1962:
	s_mov_b32 s1, 0x7ff80000
	s_brev_b32 s0, 4
	s_xor_b32 s18, exec_lo, -1
; %bb.1963:
	s_or_b32 exec_lo, exec_lo, s16
	s_delay_alu instid0(SALU_CYCLE_1)
	s_and_b32 s16, s18, exec_lo
.LBB22_1964:
	s_or_saveexec_b32 s17, s17
	v_dual_mov_b32 v3, s1 :: v_dual_mov_b32 v2, s0
	s_xor_b32 exec_lo, exec_lo, s17
; %bb.1965:
	v_cmp_ne_u16_e32 vcc_lo, 0, v6
	v_mov_b32_e32 v2, 0
	v_mov_b32_e32 v3, 0
	s_and_not1_b32 s0, s16, exec_lo
	s_and_b32 s1, vcc_lo, exec_lo
	s_delay_alu instid0(SALU_CYCLE_1)
	s_or_b32 s16, s0, s1
; %bb.1966:
	s_or_b32 exec_lo, exec_lo, s17
	s_and_saveexec_b32 s0, s16
	s_cbranch_execz .LBB22_1968
; %bb.1967:
	v_and_b32_e32 v2, 0xffff, v6
	v_lshlrev_b32_e32 v6, 24, v6
	s_delay_alu instid0(VALU_DEP_2) | instskip(NEXT) | instid1(VALU_DEP_2)
	v_and_b32_e32 v3, 7, v2
	v_and_b32_e32 v6, 0x80000000, v6
	s_delay_alu instid0(VALU_DEP_2) | instskip(NEXT) | instid1(VALU_DEP_1)
	v_clz_i32_u32_e32 v7, v3
	v_min_u32_e32 v7, 32, v7
	s_delay_alu instid0(VALU_DEP_1) | instskip(SKIP_1) | instid1(VALU_DEP_2)
	v_subrev_nc_u32_e32 v8, 28, v7
	v_sub_nc_u32_e32 v7, 29, v7
	v_lshlrev_b32_e32 v8, v8, v2
	v_bfe_u32 v2, v2, 3, 4
	s_delay_alu instid0(VALU_DEP_2) | instskip(NEXT) | instid1(VALU_DEP_2)
	v_and_b32_e32 v8, 7, v8
	v_cmp_eq_u32_e32 vcc_lo, 0, v2
	s_delay_alu instid0(VALU_DEP_2) | instskip(NEXT) | instid1(VALU_DEP_1)
	v_dual_cndmask_b32 v2, v2, v7 :: v_dual_cndmask_b32 v3, v3, v8
	v_lshl_add_u32 v2, v2, 23, 0x3b800000
	s_delay_alu instid0(VALU_DEP_2) | instskip(NEXT) | instid1(VALU_DEP_1)
	v_lshlrev_b32_e32 v3, 20, v3
	v_or3_b32 v2, v6, v2, v3
	s_delay_alu instid0(VALU_DEP_1)
	v_cvt_f64_f32_e32 v[2:3], v2
.LBB22_1968:
	s_or_b32 exec_lo, exec_lo, s0
.LBB22_1969:
	s_mov_b32 s0, -1
.LBB22_1970:
	s_mov_b32 s1, 0
.LBB22_1971:
	s_delay_alu instid0(SALU_CYCLE_1)
	s_and_b32 vcc_lo, exec_lo, s1
	s_cbranch_vccz .LBB22_2002
; %bb.1972:
	v_cmp_lt_i16_e32 vcc_lo, 22, v12
	s_cbranch_vccz .LBB22_1984
; %bb.1973:
	v_cmp_gt_i16_e32 vcc_lo, 24, v12
	s_cbranch_vccnz .LBB22_1985
; %bb.1974:
	v_cmp_lt_i16_e32 vcc_lo, 24, v12
	s_cbranch_vccz .LBB22_1986
; %bb.1975:
	global_load_u8 v6, v[4:5], off
	s_mov_b32 s16, exec_lo
                                        ; implicit-def: $sgpr0_sgpr1
	s_waitcnt vmcnt(0)
	v_cmpx_lt_i16_e32 0x7f, v6
	s_xor_b32 s16, exec_lo, s16
	s_cbranch_execz .LBB22_1979
; %bb.1976:
	s_mov_b32 s17, -1
	s_mov_b32 s15, exec_lo
                                        ; implicit-def: $sgpr0_sgpr1
	v_cmpx_eq_u16_e32 0x80, v6
; %bb.1977:
	s_mov_b32 s1, 0x7ff80000
	s_brev_b32 s0, 4
	s_xor_b32 s17, exec_lo, -1
; %bb.1978:
	s_or_b32 exec_lo, exec_lo, s15
	s_delay_alu instid0(SALU_CYCLE_1)
	s_and_b32 s15, s17, exec_lo
.LBB22_1979:
	s_or_saveexec_b32 s16, s16
	v_dual_mov_b32 v3, s1 :: v_dual_mov_b32 v2, s0
	s_xor_b32 exec_lo, exec_lo, s16
; %bb.1980:
	v_cmp_ne_u16_e32 vcc_lo, 0, v6
	v_mov_b32_e32 v2, 0
	v_mov_b32_e32 v3, 0
	s_and_not1_b32 s0, s15, exec_lo
	s_and_b32 s1, vcc_lo, exec_lo
	s_delay_alu instid0(SALU_CYCLE_1)
	s_or_b32 s15, s0, s1
; %bb.1981:
	s_or_b32 exec_lo, exec_lo, s16
	s_and_saveexec_b32 s0, s15
	s_cbranch_execz .LBB22_1983
; %bb.1982:
	v_and_b32_e32 v2, 0xffff, v6
	v_lshlrev_b32_e32 v6, 24, v6
	s_delay_alu instid0(VALU_DEP_2) | instskip(NEXT) | instid1(VALU_DEP_2)
	v_and_b32_e32 v3, 3, v2
	v_and_b32_e32 v6, 0x80000000, v6
	s_delay_alu instid0(VALU_DEP_2) | instskip(NEXT) | instid1(VALU_DEP_1)
	v_clz_i32_u32_e32 v7, v3
	v_min_u32_e32 v7, 32, v7
	s_delay_alu instid0(VALU_DEP_1) | instskip(SKIP_1) | instid1(VALU_DEP_2)
	v_subrev_nc_u32_e32 v8, 29, v7
	v_sub_nc_u32_e32 v7, 30, v7
	v_lshlrev_b32_e32 v8, v8, v2
	v_bfe_u32 v2, v2, 2, 5
	s_delay_alu instid0(VALU_DEP_2) | instskip(NEXT) | instid1(VALU_DEP_2)
	v_and_b32_e32 v8, 3, v8
	v_cmp_eq_u32_e32 vcc_lo, 0, v2
	s_delay_alu instid0(VALU_DEP_2) | instskip(NEXT) | instid1(VALU_DEP_1)
	v_dual_cndmask_b32 v2, v2, v7 :: v_dual_cndmask_b32 v3, v3, v8
	v_lshl_add_u32 v2, v2, 23, 0x37800000
	s_delay_alu instid0(VALU_DEP_2) | instskip(NEXT) | instid1(VALU_DEP_1)
	v_lshlrev_b32_e32 v3, 21, v3
	v_or3_b32 v2, v6, v2, v3
	s_delay_alu instid0(VALU_DEP_1)
	v_cvt_f64_f32_e32 v[2:3], v2
.LBB22_1983:
	s_or_b32 exec_lo, exec_lo, s0
	s_mov_b32 s0, 0
	s_branch .LBB22_1987
.LBB22_1984:
	s_mov_b32 s1, -1
                                        ; implicit-def: $vgpr2_vgpr3
	s_branch .LBB22_1993
.LBB22_1985:
	s_mov_b32 s0, -1
                                        ; implicit-def: $vgpr2_vgpr3
	s_branch .LBB22_1990
.LBB22_1986:
	s_mov_b32 s0, -1
                                        ; implicit-def: $vgpr2_vgpr3
.LBB22_1987:
	s_delay_alu instid0(SALU_CYCLE_1)
	s_and_b32 vcc_lo, exec_lo, s0
	s_cbranch_vccz .LBB22_1989
; %bb.1988:
	global_load_u8 v2, v[4:5], off
	s_waitcnt vmcnt(0)
	v_lshlrev_b32_e32 v2, 24, v2
	s_delay_alu instid0(VALU_DEP_1) | instskip(NEXT) | instid1(VALU_DEP_1)
	v_and_b32_e32 v3, 0x7f000000, v2
	v_clz_i32_u32_e32 v6, v3
	v_cmp_ne_u32_e32 vcc_lo, 0, v3
	v_add_nc_u32_e32 v8, 0x1000000, v3
	s_delay_alu instid0(VALU_DEP_3) | instskip(NEXT) | instid1(VALU_DEP_1)
	v_min_u32_e32 v6, 32, v6
	v_sub_nc_u32_e64 v6, v6, 4 clamp
	s_delay_alu instid0(VALU_DEP_1) | instskip(SKIP_1) | instid1(VALU_DEP_2)
	v_lshlrev_b32_e32 v7, v6, v3
	v_lshlrev_b32_e32 v6, 23, v6
	v_lshrrev_b32_e32 v7, 4, v7
	s_delay_alu instid0(VALU_DEP_1) | instskip(SKIP_1) | instid1(VALU_DEP_2)
	v_sub_nc_u32_e32 v6, v7, v6
	v_ashrrev_i32_e32 v7, 8, v8
	v_add_nc_u32_e32 v6, 0x3c000000, v6
	s_delay_alu instid0(VALU_DEP_1) | instskip(NEXT) | instid1(VALU_DEP_1)
	v_and_or_b32 v6, 0x7f800000, v7, v6
	v_cndmask_b32_e32 v3, 0, v6, vcc_lo
	s_delay_alu instid0(VALU_DEP_1) | instskip(NEXT) | instid1(VALU_DEP_1)
	v_and_or_b32 v2, 0x80000000, v2, v3
	v_cvt_f64_f32_e32 v[2:3], v2
.LBB22_1989:
	s_mov_b32 s0, 0
.LBB22_1990:
	s_delay_alu instid0(SALU_CYCLE_1)
	s_and_not1_b32 vcc_lo, exec_lo, s0
	s_cbranch_vccnz .LBB22_1992
; %bb.1991:
	global_load_u8 v2, v[4:5], off
	s_waitcnt vmcnt(0)
	v_lshlrev_b32_e32 v3, 25, v2
	v_lshlrev_b16 v2, 8, v2
	s_delay_alu instid0(VALU_DEP_2) | instskip(NEXT) | instid1(VALU_DEP_2)
	v_lshrrev_b32_e32 v6, 4, v3
	v_and_or_b32 v7, 0x7f00, v2, 0.5
	v_cmp_gt_u32_e32 vcc_lo, 0x8000000, v3
	v_bfe_i32 v2, v2, 0, 16
	s_delay_alu instid0(VALU_DEP_4) | instskip(NEXT) | instid1(VALU_DEP_1)
	v_or_b32_e32 v6, 0x70000000, v6
	v_dual_add_f32 v7, -0.5, v7 :: v_dual_mul_f32 v6, 0x7800000, v6
	s_delay_alu instid0(VALU_DEP_1) | instskip(NEXT) | instid1(VALU_DEP_1)
	v_cndmask_b32_e32 v3, v6, v7, vcc_lo
	v_and_or_b32 v2, 0x80000000, v2, v3
	s_delay_alu instid0(VALU_DEP_1)
	v_cvt_f64_f32_e32 v[2:3], v2
.LBB22_1992:
	s_mov_b32 s1, 0
	s_mov_b32 s0, -1
.LBB22_1993:
	s_and_not1_b32 vcc_lo, exec_lo, s1
	s_mov_b32 s15, 0
	s_cbranch_vccnz .LBB22_2002
; %bb.1994:
	v_cmp_lt_i16_e32 vcc_lo, 14, v12
	s_cbranch_vccz .LBB22_1997
; %bb.1995:
	v_cmp_eq_u16_e32 vcc_lo, 15, v12
	s_cbranch_vccz .LBB22_1998
; %bb.1996:
	global_load_u16 v2, v[4:5], off
	s_mov_b32 s14, 0
	s_mov_b32 s0, -1
	s_waitcnt vmcnt(0)
	v_lshlrev_b32_e32 v2, 16, v2
	s_delay_alu instid0(VALU_DEP_1)
	v_cvt_f64_f32_e32 v[2:3], v2
	s_branch .LBB22_1999
.LBB22_1997:
	s_mov_b32 s1, -1
                                        ; implicit-def: $vgpr2_vgpr3
	s_branch .LBB22_2000
.LBB22_1998:
	s_mov_b32 s14, -1
                                        ; implicit-def: $vgpr2_vgpr3
.LBB22_1999:
	s_mov_b32 s1, 0
.LBB22_2000:
	s_delay_alu instid0(SALU_CYCLE_1)
	s_and_b32 vcc_lo, exec_lo, s1
	s_cbranch_vccz .LBB22_2002
; %bb.2001:
	v_cmp_ne_u16_e64 s14, 11, v12
	s_mov_b32 s15, -1
                                        ; implicit-def: $vgpr2_vgpr3
.LBB22_2002:
	s_delay_alu instid0(VALU_DEP_1)
	s_and_b32 vcc_lo, exec_lo, s14
	s_cbranch_vccnz .LBB22_2018
; %bb.2003:
	s_and_not1_b32 vcc_lo, exec_lo, s15
	s_cbranch_vccnz .LBB22_2005
.LBB22_2004:
	global_load_u8 v2, v[4:5], off
	s_mov_b32 s0, -1
	s_waitcnt vmcnt(0)
	v_cmp_ne_u16_e32 vcc_lo, 0, v2
	v_mov_b32_e32 v2, 0
	v_cndmask_b32_e64 v3, 0, 0x3ff00000, vcc_lo
.LBB22_2005:
.LBB22_2006:
	s_and_not1_b32 vcc_lo, exec_lo, s0
	s_cbranch_vccnz .LBB22_2793
.LBB22_2007:
	s_lshl_b32 s10, s10, 7
	v_cmp_gt_i16_e32 vcc_lo, 11, v13
	v_add_nc_u32_e32 v11, s10, v9
	s_delay_alu instid0(VALU_DEP_1) | instskip(SKIP_1) | instid1(VALU_DEP_1)
	v_ashrrev_i32_e32 v5, 31, v11
	v_add_co_u32 v4, s0, s2, v11
	v_add_co_ci_u32_e64 v5, s0, s3, v5, s0
	s_cbranch_vccnz .LBB22_2014
; %bb.2008:
	v_cmp_lt_i16_e32 vcc_lo, 25, v13
	s_mov_b32 s15, 0
	s_cbranch_vccz .LBB22_2015
; %bb.2009:
	v_cmp_lt_i16_e32 vcc_lo, 28, v13
	s_cbranch_vccz .LBB22_2016
; %bb.2010:
	v_cmp_lt_i16_e32 vcc_lo, 43, v13
	;; [unrolled: 3-line block ×3, first 2 shown]
	s_cbranch_vccz .LBB22_2020
; %bb.2012:
	v_cmp_eq_u16_e32 vcc_lo, 46, v13
	s_mov_b32 s1, 0
	s_cbranch_vccz .LBB22_2023
; %bb.2013:
	global_load_b32 v6, v[4:5], off
	s_mov_b32 s14, 0
	s_mov_b32 s0, -1
	s_waitcnt vmcnt(0)
	v_lshlrev_b32_e32 v6, 16, v6
	s_delay_alu instid0(VALU_DEP_1)
	v_cvt_f64_f32_e32 v[6:7], v6
	s_branch .LBB22_2025
.LBB22_2014:
	s_mov_b32 s1, -1
	s_mov_b32 s0, 0
                                        ; implicit-def: $vgpr6_vgpr7
	s_branch .LBB22_2091
.LBB22_2015:
	s_mov_b32 s1, -1
	s_mov_b32 s0, 0
	s_mov_b32 s14, 0
                                        ; implicit-def: $vgpr6_vgpr7
	s_branch .LBB22_2056
.LBB22_2016:
	s_mov_b32 s1, -1
	s_mov_b32 s0, 0
	s_mov_b32 s14, 0
                                        ; implicit-def: $vgpr6_vgpr7
	s_branch .LBB22_2035
.LBB22_2017:
	s_mov_b32 s1, -1
	s_mov_b32 s0, 0
	s_mov_b32 s14, 0
                                        ; implicit-def: $vgpr6_vgpr7
	s_branch .LBB22_2030
.LBB22_2018:
	s_cbranch_execnz .LBB22_2021
; %bb.2019:
	s_or_b32 s11, s11, exec_lo
                                        ; implicit-def: $vgpr2_vgpr3
	s_cbranch_execz .LBB22_2004
	s_branch .LBB22_2005
.LBB22_2020:
	s_mov_b32 s1, -1
	s_mov_b32 s0, 0
	s_mov_b32 s14, 0
	s_branch .LBB22_2024
.LBB22_2021:
	s_trap 2
	s_sendmsg_rtn_b32 s0, sendmsg(MSG_RTN_GET_DOORBELL)
	s_mov_b32 ttmp2, m0
	s_waitcnt lgkmcnt(0)
	s_and_b32 s0, s0, 0x3ff
	s_delay_alu instid0(SALU_CYCLE_1) | instskip(NEXT) | instid1(SALU_CYCLE_1)
	s_bitset1_b32 s0, 10
	s_mov_b32 m0, s0
	s_sendmsg sendmsg(MSG_INTERRUPT)
	s_mov_b32 m0, ttmp2
.LBB22_2022:                            ; =>This Inner Loop Header: Depth=1
	s_sethalt 5
	s_branch .LBB22_2022
.LBB22_2023:
	s_mov_b32 s14, -1
	s_mov_b32 s0, 0
.LBB22_2024:
                                        ; implicit-def: $vgpr6_vgpr7
.LBB22_2025:
	s_and_b32 vcc_lo, exec_lo, s1
	s_cbranch_vccz .LBB22_2029
; %bb.2026:
	v_cmp_eq_u16_e32 vcc_lo, 44, v13
	s_cbranch_vccz .LBB22_2028
; %bb.2027:
	global_load_u8 v8, v[4:5], off
	s_mov_b32 s14, 0
	s_mov_b32 s0, -1
	s_waitcnt vmcnt(0)
	v_cmp_ne_u32_e32 vcc_lo, 0xff, v8
	v_lshlrev_b32_e32 v6, 23, v8
	s_delay_alu instid0(VALU_DEP_1) | instskip(NEXT) | instid1(VALU_DEP_1)
	v_cvt_f64_f32_e32 v[6:7], v6
	v_cndmask_b32_e32 v7, 0x7ff80000, v7, vcc_lo
	s_delay_alu instid0(VALU_DEP_2) | instskip(SKIP_1) | instid1(VALU_DEP_3)
	v_cndmask_b32_e32 v6, 0x20000000, v6, vcc_lo
	v_cmp_ne_u32_e32 vcc_lo, 0, v8
	v_cndmask_b32_e32 v7, 0x38000000, v7, vcc_lo
	s_delay_alu instid0(VALU_DEP_3)
	v_cndmask_b32_e32 v6, 0, v6, vcc_lo
	s_branch .LBB22_2029
.LBB22_2028:
	s_mov_b32 s14, -1
                                        ; implicit-def: $vgpr6_vgpr7
.LBB22_2029:
	s_mov_b32 s1, 0
.LBB22_2030:
	s_delay_alu instid0(SALU_CYCLE_1)
	s_and_b32 vcc_lo, exec_lo, s1
	s_cbranch_vccz .LBB22_2034
; %bb.2031:
	v_cmp_eq_u16_e32 vcc_lo, 29, v13
	s_cbranch_vccz .LBB22_2033
; %bb.2032:
	global_load_b64 v[6:7], v[4:5], off
	s_mov_b32 s14, 0
	s_mov_b32 s0, -1
	s_mov_b32 s1, 0
	s_waitcnt vmcnt(0)
	v_cvt_f64_u32_e32 v[7:8], v7
	v_cvt_f64_u32_e32 v[16:17], v6
	s_delay_alu instid0(VALU_DEP_2) | instskip(NEXT) | instid1(VALU_DEP_1)
	v_ldexp_f64 v[7:8], v[7:8], 32
	v_add_f64 v[6:7], v[7:8], v[16:17]
	s_branch .LBB22_2035
.LBB22_2033:
	s_mov_b32 s14, -1
                                        ; implicit-def: $vgpr6_vgpr7
.LBB22_2034:
	s_mov_b32 s1, 0
.LBB22_2035:
	s_delay_alu instid0(SALU_CYCLE_1)
	s_and_b32 vcc_lo, exec_lo, s1
	s_cbranch_vccz .LBB22_2055
; %bb.2036:
	v_cmp_gt_i16_e32 vcc_lo, 27, v13
	s_cbranch_vccnz .LBB22_2039
; %bb.2037:
	v_cmp_lt_i16_e32 vcc_lo, 27, v13
	s_cbranch_vccz .LBB22_2040
; %bb.2038:
	global_load_b32 v6, v[4:5], off
	s_mov_b32 s0, 0
	s_waitcnt vmcnt(0)
	v_cvt_f64_u32_e32 v[6:7], v6
	s_branch .LBB22_2041
.LBB22_2039:
	s_mov_b32 s0, -1
                                        ; implicit-def: $vgpr6_vgpr7
	s_branch .LBB22_2044
.LBB22_2040:
	s_mov_b32 s0, -1
                                        ; implicit-def: $vgpr6_vgpr7
.LBB22_2041:
	s_delay_alu instid0(SALU_CYCLE_1)
	s_and_not1_b32 vcc_lo, exec_lo, s0
	s_cbranch_vccnz .LBB22_2043
; %bb.2042:
	global_load_u16 v6, v[4:5], off
	s_waitcnt vmcnt(0)
	v_cvt_f64_u32_e32 v[6:7], v6
.LBB22_2043:
	s_mov_b32 s0, 0
.LBB22_2044:
	s_delay_alu instid0(SALU_CYCLE_1)
	s_and_not1_b32 vcc_lo, exec_lo, s0
	s_cbranch_vccnz .LBB22_2054
; %bb.2045:
	global_load_u8 v8, v[4:5], off
	s_mov_b32 s16, 0
	s_mov_b32 s17, exec_lo
                                        ; implicit-def: $sgpr0_sgpr1
	s_waitcnt vmcnt(0)
	v_cmpx_lt_i16_e32 0x7f, v8
	s_xor_b32 s17, exec_lo, s17
	s_cbranch_execz .LBB22_2049
; %bb.2046:
	s_mov_b32 s18, -1
	s_mov_b32 s16, exec_lo
                                        ; implicit-def: $sgpr0_sgpr1
	v_cmpx_eq_u16_e32 0x80, v8
; %bb.2047:
	s_mov_b32 s1, 0x7ff80000
	s_brev_b32 s0, 4
	s_xor_b32 s18, exec_lo, -1
; %bb.2048:
	s_or_b32 exec_lo, exec_lo, s16
	s_delay_alu instid0(SALU_CYCLE_1)
	s_and_b32 s16, s18, exec_lo
.LBB22_2049:
	s_or_saveexec_b32 s17, s17
	v_dual_mov_b32 v7, s1 :: v_dual_mov_b32 v6, s0
	s_xor_b32 exec_lo, exec_lo, s17
; %bb.2050:
	v_cmp_ne_u16_e32 vcc_lo, 0, v8
	v_mov_b32_e32 v6, 0
	v_mov_b32_e32 v7, 0
	s_and_not1_b32 s0, s16, exec_lo
	s_and_b32 s1, vcc_lo, exec_lo
	s_delay_alu instid0(SALU_CYCLE_1)
	s_or_b32 s16, s0, s1
; %bb.2051:
	s_or_b32 exec_lo, exec_lo, s17
	s_and_saveexec_b32 s0, s16
	s_cbranch_execz .LBB22_2053
; %bb.2052:
	v_and_b32_e32 v6, 0xffff, v8
	v_lshlrev_b32_e32 v8, 24, v8
	s_delay_alu instid0(VALU_DEP_2) | instskip(NEXT) | instid1(VALU_DEP_2)
	v_and_b32_e32 v7, 7, v6
	v_and_b32_e32 v8, 0x80000000, v8
	s_delay_alu instid0(VALU_DEP_2) | instskip(NEXT) | instid1(VALU_DEP_1)
	v_clz_i32_u32_e32 v9, v7
	v_min_u32_e32 v9, 32, v9
	s_delay_alu instid0(VALU_DEP_1) | instskip(SKIP_1) | instid1(VALU_DEP_2)
	v_subrev_nc_u32_e32 v16, 28, v9
	v_sub_nc_u32_e32 v9, 29, v9
	v_lshlrev_b32_e32 v16, v16, v6
	v_bfe_u32 v6, v6, 3, 4
	s_delay_alu instid0(VALU_DEP_2) | instskip(NEXT) | instid1(VALU_DEP_2)
	v_and_b32_e32 v16, 7, v16
	v_cmp_eq_u32_e32 vcc_lo, 0, v6
	s_delay_alu instid0(VALU_DEP_2) | instskip(NEXT) | instid1(VALU_DEP_1)
	v_dual_cndmask_b32 v6, v6, v9 :: v_dual_cndmask_b32 v7, v7, v16
	v_lshl_add_u32 v6, v6, 23, 0x3b800000
	s_delay_alu instid0(VALU_DEP_2) | instskip(NEXT) | instid1(VALU_DEP_1)
	v_lshlrev_b32_e32 v7, 20, v7
	v_or3_b32 v6, v8, v6, v7
	s_delay_alu instid0(VALU_DEP_1)
	v_cvt_f64_f32_e32 v[6:7], v6
.LBB22_2053:
	s_or_b32 exec_lo, exec_lo, s0
.LBB22_2054:
	s_mov_b32 s0, -1
.LBB22_2055:
	s_mov_b32 s1, 0
.LBB22_2056:
	s_delay_alu instid0(SALU_CYCLE_1)
	s_and_b32 vcc_lo, exec_lo, s1
	s_cbranch_vccz .LBB22_2087
; %bb.2057:
	v_cmp_lt_i16_e32 vcc_lo, 22, v13
	s_cbranch_vccz .LBB22_2069
; %bb.2058:
	v_cmp_gt_i16_e32 vcc_lo, 24, v13
	s_cbranch_vccnz .LBB22_2070
; %bb.2059:
	v_cmp_lt_i16_e32 vcc_lo, 24, v13
	s_cbranch_vccz .LBB22_2071
; %bb.2060:
	global_load_u8 v8, v[4:5], off
	s_mov_b32 s16, exec_lo
                                        ; implicit-def: $sgpr0_sgpr1
	s_waitcnt vmcnt(0)
	v_cmpx_lt_i16_e32 0x7f, v8
	s_xor_b32 s16, exec_lo, s16
	s_cbranch_execz .LBB22_2064
; %bb.2061:
	s_mov_b32 s17, -1
	s_mov_b32 s15, exec_lo
                                        ; implicit-def: $sgpr0_sgpr1
	v_cmpx_eq_u16_e32 0x80, v8
; %bb.2062:
	s_mov_b32 s1, 0x7ff80000
	s_brev_b32 s0, 4
	s_xor_b32 s17, exec_lo, -1
; %bb.2063:
	s_or_b32 exec_lo, exec_lo, s15
	s_delay_alu instid0(SALU_CYCLE_1)
	s_and_b32 s15, s17, exec_lo
.LBB22_2064:
	s_or_saveexec_b32 s16, s16
	v_dual_mov_b32 v7, s1 :: v_dual_mov_b32 v6, s0
	s_xor_b32 exec_lo, exec_lo, s16
; %bb.2065:
	v_cmp_ne_u16_e32 vcc_lo, 0, v8
	v_mov_b32_e32 v6, 0
	v_mov_b32_e32 v7, 0
	s_and_not1_b32 s0, s15, exec_lo
	s_and_b32 s1, vcc_lo, exec_lo
	s_delay_alu instid0(SALU_CYCLE_1)
	s_or_b32 s15, s0, s1
; %bb.2066:
	s_or_b32 exec_lo, exec_lo, s16
	s_and_saveexec_b32 s0, s15
	s_cbranch_execz .LBB22_2068
; %bb.2067:
	v_and_b32_e32 v6, 0xffff, v8
	v_lshlrev_b32_e32 v8, 24, v8
	s_delay_alu instid0(VALU_DEP_2) | instskip(NEXT) | instid1(VALU_DEP_2)
	v_and_b32_e32 v7, 3, v6
	v_and_b32_e32 v8, 0x80000000, v8
	s_delay_alu instid0(VALU_DEP_2) | instskip(NEXT) | instid1(VALU_DEP_1)
	v_clz_i32_u32_e32 v9, v7
	v_min_u32_e32 v9, 32, v9
	s_delay_alu instid0(VALU_DEP_1) | instskip(SKIP_1) | instid1(VALU_DEP_2)
	v_subrev_nc_u32_e32 v16, 29, v9
	v_sub_nc_u32_e32 v9, 30, v9
	v_lshlrev_b32_e32 v16, v16, v6
	v_bfe_u32 v6, v6, 2, 5
	s_delay_alu instid0(VALU_DEP_2) | instskip(NEXT) | instid1(VALU_DEP_2)
	v_and_b32_e32 v16, 3, v16
	v_cmp_eq_u32_e32 vcc_lo, 0, v6
	s_delay_alu instid0(VALU_DEP_2) | instskip(NEXT) | instid1(VALU_DEP_1)
	v_dual_cndmask_b32 v6, v6, v9 :: v_dual_cndmask_b32 v7, v7, v16
	v_lshl_add_u32 v6, v6, 23, 0x37800000
	s_delay_alu instid0(VALU_DEP_2) | instskip(NEXT) | instid1(VALU_DEP_1)
	v_lshlrev_b32_e32 v7, 21, v7
	v_or3_b32 v6, v8, v6, v7
	s_delay_alu instid0(VALU_DEP_1)
	v_cvt_f64_f32_e32 v[6:7], v6
.LBB22_2068:
	s_or_b32 exec_lo, exec_lo, s0
	s_mov_b32 s0, 0
	s_branch .LBB22_2072
.LBB22_2069:
	s_mov_b32 s1, -1
                                        ; implicit-def: $vgpr6_vgpr7
	s_branch .LBB22_2078
.LBB22_2070:
	s_mov_b32 s0, -1
                                        ; implicit-def: $vgpr6_vgpr7
	s_branch .LBB22_2075
.LBB22_2071:
	s_mov_b32 s0, -1
                                        ; implicit-def: $vgpr6_vgpr7
.LBB22_2072:
	s_delay_alu instid0(SALU_CYCLE_1)
	s_and_b32 vcc_lo, exec_lo, s0
	s_cbranch_vccz .LBB22_2074
; %bb.2073:
	global_load_u8 v6, v[4:5], off
	s_waitcnt vmcnt(0)
	v_lshlrev_b32_e32 v6, 24, v6
	s_delay_alu instid0(VALU_DEP_1) | instskip(NEXT) | instid1(VALU_DEP_1)
	v_and_b32_e32 v7, 0x7f000000, v6
	v_clz_i32_u32_e32 v8, v7
	v_add_nc_u32_e32 v16, 0x1000000, v7
	v_cmp_ne_u32_e32 vcc_lo, 0, v7
	s_delay_alu instid0(VALU_DEP_3) | instskip(NEXT) | instid1(VALU_DEP_1)
	v_min_u32_e32 v8, 32, v8
	v_sub_nc_u32_e64 v8, v8, 4 clamp
	s_delay_alu instid0(VALU_DEP_1) | instskip(SKIP_1) | instid1(VALU_DEP_2)
	v_lshlrev_b32_e32 v9, v8, v7
	v_lshlrev_b32_e32 v8, 23, v8
	v_lshrrev_b32_e32 v9, 4, v9
	s_delay_alu instid0(VALU_DEP_1) | instskip(SKIP_1) | instid1(VALU_DEP_2)
	v_sub_nc_u32_e32 v8, v9, v8
	v_ashrrev_i32_e32 v9, 8, v16
	v_add_nc_u32_e32 v8, 0x3c000000, v8
	s_delay_alu instid0(VALU_DEP_1) | instskip(NEXT) | instid1(VALU_DEP_1)
	v_and_or_b32 v8, 0x7f800000, v9, v8
	v_cndmask_b32_e32 v7, 0, v8, vcc_lo
	s_delay_alu instid0(VALU_DEP_1) | instskip(NEXT) | instid1(VALU_DEP_1)
	v_and_or_b32 v6, 0x80000000, v6, v7
	v_cvt_f64_f32_e32 v[6:7], v6
.LBB22_2074:
	s_mov_b32 s0, 0
.LBB22_2075:
	s_delay_alu instid0(SALU_CYCLE_1)
	s_and_not1_b32 vcc_lo, exec_lo, s0
	s_cbranch_vccnz .LBB22_2077
; %bb.2076:
	global_load_u8 v6, v[4:5], off
	s_waitcnt vmcnt(0)
	v_lshlrev_b32_e32 v7, 25, v6
	v_lshlrev_b16 v6, 8, v6
	s_delay_alu instid0(VALU_DEP_2) | instskip(NEXT) | instid1(VALU_DEP_2)
	v_lshrrev_b32_e32 v8, 4, v7
	v_and_or_b32 v9, 0x7f00, v6, 0.5
	v_bfe_i32 v6, v6, 0, 16
	s_delay_alu instid0(VALU_DEP_3) | instskip(NEXT) | instid1(VALU_DEP_1)
	v_or_b32_e32 v8, 0x70000000, v8
	v_dual_add_f32 v9, -0.5, v9 :: v_dual_mul_f32 v8, 0x7800000, v8
	v_cmp_gt_u32_e32 vcc_lo, 0x8000000, v7
	s_delay_alu instid0(VALU_DEP_2) | instskip(NEXT) | instid1(VALU_DEP_1)
	v_cndmask_b32_e32 v7, v8, v9, vcc_lo
	v_and_or_b32 v6, 0x80000000, v6, v7
	s_delay_alu instid0(VALU_DEP_1)
	v_cvt_f64_f32_e32 v[6:7], v6
.LBB22_2077:
	s_mov_b32 s1, 0
	s_mov_b32 s0, -1
.LBB22_2078:
	s_and_not1_b32 vcc_lo, exec_lo, s1
	s_mov_b32 s15, 0
	s_cbranch_vccnz .LBB22_2087
; %bb.2079:
	v_cmp_lt_i16_e32 vcc_lo, 14, v13
	s_cbranch_vccz .LBB22_2082
; %bb.2080:
	v_cmp_eq_u16_e32 vcc_lo, 15, v13
	s_cbranch_vccz .LBB22_2083
; %bb.2081:
	global_load_u16 v6, v[4:5], off
	s_mov_b32 s14, 0
	s_mov_b32 s0, -1
	s_waitcnt vmcnt(0)
	v_lshlrev_b32_e32 v6, 16, v6
	s_delay_alu instid0(VALU_DEP_1)
	v_cvt_f64_f32_e32 v[6:7], v6
	s_branch .LBB22_2084
.LBB22_2082:
	s_mov_b32 s1, -1
                                        ; implicit-def: $vgpr6_vgpr7
	s_branch .LBB22_2085
.LBB22_2083:
	s_mov_b32 s14, -1
                                        ; implicit-def: $vgpr6_vgpr7
.LBB22_2084:
	s_mov_b32 s1, 0
.LBB22_2085:
	s_delay_alu instid0(SALU_CYCLE_1)
	s_and_b32 vcc_lo, exec_lo, s1
	s_cbranch_vccz .LBB22_2087
; %bb.2086:
	v_cmp_ne_u16_e64 s14, 11, v13
	s_mov_b32 s15, -1
                                        ; implicit-def: $vgpr6_vgpr7
.LBB22_2087:
	s_delay_alu instid0(VALU_DEP_1)
	s_and_b32 vcc_lo, exec_lo, s14
	s_cbranch_vccnz .LBB22_2164
; %bb.2088:
	s_and_not1_b32 vcc_lo, exec_lo, s15
	s_cbranch_vccnz .LBB22_2090
.LBB22_2089:
	global_load_u8 v6, v[4:5], off
	s_mov_b32 s0, -1
	s_waitcnt vmcnt(0)
	v_cmp_ne_u16_e32 vcc_lo, 0, v6
	v_mov_b32_e32 v6, 0
	v_cndmask_b32_e64 v7, 0, 0x3ff00000, vcc_lo
.LBB22_2090:
	s_mov_b32 s1, 0
.LBB22_2091:
	s_delay_alu instid0(SALU_CYCLE_1)
	s_and_b32 vcc_lo, exec_lo, s1
	s_cbranch_vccz .LBB22_2140
; %bb.2092:
	v_cmp_gt_i16_e32 vcc_lo, 5, v13
	s_cbranch_vccnz .LBB22_2097
; %bb.2093:
	v_cmp_gt_i16_e32 vcc_lo, 8, v13
	s_cbranch_vccnz .LBB22_2098
	;; [unrolled: 3-line block ×3, first 2 shown]
; %bb.2095:
	v_cmp_lt_i16_e32 vcc_lo, 9, v13
	s_cbranch_vccz .LBB22_2100
; %bb.2096:
	global_load_b64 v[6:7], v[4:5], off
	s_mov_b32 s0, 0
	s_branch .LBB22_2101
.LBB22_2097:
	s_mov_b32 s0, -1
                                        ; implicit-def: $vgpr6_vgpr7
	s_branch .LBB22_2119
.LBB22_2098:
	s_mov_b32 s0, -1
                                        ; implicit-def: $vgpr6_vgpr7
	s_branch .LBB22_2107
.LBB22_2099:
	s_mov_b32 s0, -1
                                        ; implicit-def: $vgpr6_vgpr7
	s_branch .LBB22_2104
.LBB22_2100:
	s_mov_b32 s0, -1
                                        ; implicit-def: $vgpr6_vgpr7
.LBB22_2101:
	s_delay_alu instid0(SALU_CYCLE_1)
	s_and_not1_b32 vcc_lo, exec_lo, s0
	s_cbranch_vccnz .LBB22_2103
; %bb.2102:
	global_load_b32 v6, v[4:5], off
	s_waitcnt vmcnt(0)
	v_cvt_f64_f32_e32 v[6:7], v6
.LBB22_2103:
	s_mov_b32 s0, 0
.LBB22_2104:
	s_delay_alu instid0(SALU_CYCLE_1)
	s_and_not1_b32 vcc_lo, exec_lo, s0
	s_cbranch_vccnz .LBB22_2106
; %bb.2105:
	global_load_b32 v6, v[4:5], off
	s_waitcnt vmcnt(0)
	v_cvt_f32_f16_e32 v6, v6
	s_delay_alu instid0(VALU_DEP_1)
	v_cvt_f64_f32_e32 v[6:7], v6
.LBB22_2106:
	s_mov_b32 s0, 0
.LBB22_2107:
	s_delay_alu instid0(SALU_CYCLE_1)
	s_and_not1_b32 vcc_lo, exec_lo, s0
	s_cbranch_vccnz .LBB22_2118
; %bb.2108:
	v_cmp_gt_i16_e32 vcc_lo, 6, v13
	s_cbranch_vccnz .LBB22_2111
; %bb.2109:
	v_cmp_lt_i16_e32 vcc_lo, 6, v13
	s_cbranch_vccz .LBB22_2112
; %bb.2110:
	global_load_b64 v[6:7], v[4:5], off
	s_mov_b32 s0, 0
	s_branch .LBB22_2113
.LBB22_2111:
	s_mov_b32 s0, -1
                                        ; implicit-def: $vgpr6_vgpr7
	s_branch .LBB22_2116
.LBB22_2112:
	s_mov_b32 s0, -1
                                        ; implicit-def: $vgpr6_vgpr7
.LBB22_2113:
	s_delay_alu instid0(SALU_CYCLE_1)
	s_and_not1_b32 vcc_lo, exec_lo, s0
	s_cbranch_vccnz .LBB22_2115
; %bb.2114:
	global_load_b32 v6, v[4:5], off
	s_waitcnt vmcnt(0)
	v_cvt_f64_f32_e32 v[6:7], v6
.LBB22_2115:
	s_mov_b32 s0, 0
.LBB22_2116:
	s_delay_alu instid0(SALU_CYCLE_1)
	s_and_not1_b32 vcc_lo, exec_lo, s0
	s_cbranch_vccnz .LBB22_2118
; %bb.2117:
	global_load_u16 v6, v[4:5], off
	s_waitcnt vmcnt(0)
	v_cvt_f32_f16_e32 v6, v6
	s_delay_alu instid0(VALU_DEP_1)
	v_cvt_f64_f32_e32 v[6:7], v6
.LBB22_2118:
	s_mov_b32 s0, 0
.LBB22_2119:
	s_delay_alu instid0(SALU_CYCLE_1)
	s_and_not1_b32 vcc_lo, exec_lo, s0
	s_cbranch_vccnz .LBB22_2139
; %bb.2120:
	v_cmp_gt_i16_e32 vcc_lo, 2, v13
	s_cbranch_vccnz .LBB22_2124
; %bb.2121:
	v_cmp_gt_i16_e32 vcc_lo, 3, v13
	s_cbranch_vccnz .LBB22_2125
; %bb.2122:
	v_cmp_lt_i16_e32 vcc_lo, 3, v13
	s_cbranch_vccz .LBB22_2126
; %bb.2123:
	global_load_b64 v[6:7], v[4:5], off
	s_mov_b32 s0, 0
	s_waitcnt vmcnt(0)
	v_cvt_f64_i32_e32 v[7:8], v7
	v_cvt_f64_u32_e32 v[16:17], v6
	s_delay_alu instid0(VALU_DEP_2) | instskip(NEXT) | instid1(VALU_DEP_1)
	v_ldexp_f64 v[7:8], v[7:8], 32
	v_add_f64 v[6:7], v[7:8], v[16:17]
	s_branch .LBB22_2127
.LBB22_2124:
	s_mov_b32 s0, -1
                                        ; implicit-def: $vgpr6_vgpr7
	s_branch .LBB22_2133
.LBB22_2125:
	s_mov_b32 s0, -1
                                        ; implicit-def: $vgpr6_vgpr7
	s_branch .LBB22_2130
.LBB22_2126:
	s_mov_b32 s0, -1
                                        ; implicit-def: $vgpr6_vgpr7
.LBB22_2127:
	s_delay_alu instid0(SALU_CYCLE_1)
	s_and_not1_b32 vcc_lo, exec_lo, s0
	s_cbranch_vccnz .LBB22_2129
; %bb.2128:
	global_load_b32 v6, v[4:5], off
	s_waitcnt vmcnt(0)
	v_cvt_f64_i32_e32 v[6:7], v6
.LBB22_2129:
	s_mov_b32 s0, 0
.LBB22_2130:
	s_delay_alu instid0(SALU_CYCLE_1)
	s_and_not1_b32 vcc_lo, exec_lo, s0
	s_cbranch_vccnz .LBB22_2132
; %bb.2131:
	global_load_i16 v6, v[4:5], off
	s_waitcnt vmcnt(0)
	v_cvt_f64_i32_e32 v[6:7], v6
.LBB22_2132:
	s_mov_b32 s0, 0
.LBB22_2133:
	s_delay_alu instid0(SALU_CYCLE_1)
	s_and_not1_b32 vcc_lo, exec_lo, s0
	s_cbranch_vccnz .LBB22_2139
; %bb.2134:
	v_cmp_lt_i16_e32 vcc_lo, 0, v13
	s_mov_b32 s0, 0
	s_cbranch_vccz .LBB22_2136
; %bb.2135:
	global_load_i8 v6, v[4:5], off
	s_waitcnt vmcnt(0)
	v_cvt_f64_i32_e32 v[6:7], v6
	s_branch .LBB22_2137
.LBB22_2136:
	s_mov_b32 s0, -1
                                        ; implicit-def: $vgpr6_vgpr7
.LBB22_2137:
	s_delay_alu instid0(SALU_CYCLE_1)
	s_and_not1_b32 vcc_lo, exec_lo, s0
	s_cbranch_vccnz .LBB22_2139
; %bb.2138:
	global_load_u8 v4, v[4:5], off
	s_waitcnt vmcnt(0)
	v_cvt_f64_u32_e32 v[6:7], v4
.LBB22_2139:
	s_mov_b32 s0, -1
.LBB22_2140:
	s_delay_alu instid0(SALU_CYCLE_1)
	s_and_not1_b32 vcc_lo, exec_lo, s0
	s_cbranch_vccnz .LBB22_2793
; %bb.2141:
	s_waitcnt vmcnt(0)
	s_delay_alu instid0(VALU_DEP_1) | instskip(SKIP_2) | instid1(VALU_DEP_2)
	v_trunc_f64_e32 v[4:5], v[6:7]
	v_cmp_class_f64_e64 vcc_lo, v[6:7], 0x1f8
	s_mov_b32 s14, exec_lo
	v_ldexp_f64 v[8:9], v[4:5], 0xffffffe0
	s_delay_alu instid0(VALU_DEP_1) | instskip(NEXT) | instid1(VALU_DEP_1)
	v_floor_f64_e32 v[8:9], v[8:9]
	v_fma_f64 v[4:5], 0xc1f00000, v[8:9], v[4:5]
	v_cvt_i32_f64_e32 v8, v[8:9]
	s_delay_alu instid0(VALU_DEP_2) | instskip(NEXT) | instid1(VALU_DEP_2)
	v_cvt_u32_f64_e32 v4, v[4:5]
	v_cndmask_b32_e32 v7, -1, v8, vcc_lo
	s_delay_alu instid0(VALU_DEP_2) | instskip(SKIP_2) | instid1(VALU_DEP_3)
	v_cndmask_b32_e32 v6, -1, v4, vcc_lo
	v_mov_b32_e32 v4, 0
	v_mov_b32_e32 v5, 0
	v_cmpx_lt_i64_e32 -1, v[6:7]
	s_cbranch_execz .LBB22_2153
; %bb.2142:
	v_mov_b32_e32 v4, 0
	v_mov_b32_e32 v5, 0x3ff00000
	s_mov_b32 s15, exec_lo
	v_cmpx_lt_i64_e32 0, v[6:7]
	s_cbranch_execz .LBB22_2152
; %bb.2143:
                                        ; implicit-def: $vgpr4_vgpr5
	s_mov_b32 s0, exec_lo
	v_cmpx_ne_u64_e32 1, v[6:7]
	s_xor_b32 s16, exec_lo, s0
	s_cbranch_execz .LBB22_2149
; %bb.2144:
	v_mov_b32_e32 v4, 0
	v_mov_b32_e32 v5, 0x7ff80000
	s_mov_b32 s17, exec_lo
	v_cmpx_gt_u64_e32 0x201, v[6:7]
	s_cbranch_execz .LBB22_2148
; %bb.2145:
	v_add_f64 v[2:3], v[2:3], v[2:3]
	v_lshlrev_b64 v[6:7], 1, v[6:7]
	v_mov_b32_e32 v8, 0
	v_mov_b32_e32 v9, 0x3ff00000
	s_mov_b64 s[0:1], 2
	s_mov_b32 s18, 0
	s_delay_alu instid0(VALU_DEP_4)
	v_dual_mov_b32 v5, v3 :: v_dual_mov_b32 v4, v2
.LBB22_2146:                            ; =>This Inner Loop Header: Depth=1
	v_cvt_f64_u32_e32 v[16:17], s1
	v_cvt_f64_u32_e32 v[18:19], s0
	s_add_u32 s0, s0, 2
	s_addc_u32 s1, s1, 0
	s_delay_alu instid0(SALU_CYCLE_1) | instskip(SKIP_1) | instid1(VALU_DEP_3)
	v_cmp_ge_u64_e32 vcc_lo, s[0:1], v[6:7]
	s_or_b32 s18, vcc_lo, s18
	v_ldexp_f64 v[16:17], v[16:17], 32
	s_delay_alu instid0(VALU_DEP_1) | instskip(NEXT) | instid1(VALU_DEP_1)
	v_add_f64 v[16:17], v[16:17], v[18:19]
	v_mul_f64 v[8:9], v[8:9], v[16:17]
	v_dual_mov_b32 v17, v5 :: v_dual_mov_b32 v16, v4
	s_delay_alu instid0(VALU_DEP_1)
	v_fma_f64 v[4:5], v[2:3], v[16:17], -v[8:9]
	v_dual_mov_b32 v8, v16 :: v_dual_mov_b32 v9, v17
	s_and_not1_b32 exec_lo, exec_lo, s18
	s_cbranch_execnz .LBB22_2146
; %bb.2147:
	s_or_b32 exec_lo, exec_lo, s18
.LBB22_2148:
	s_delay_alu instid0(SALU_CYCLE_1)
	s_or_b32 exec_lo, exec_lo, s17
                                        ; implicit-def: $vgpr2_vgpr3
.LBB22_2149:
	s_and_not1_saveexec_b32 s0, s16
; %bb.2150:
	v_add_f64 v[4:5], v[2:3], v[2:3]
; %bb.2151:
	s_or_b32 exec_lo, exec_lo, s0
.LBB22_2152:
	s_delay_alu instid0(SALU_CYCLE_1)
	s_or_b32 exec_lo, exec_lo, s15
.LBB22_2153:
	s_delay_alu instid0(SALU_CYCLE_1) | instskip(SKIP_2) | instid1(VALU_DEP_2)
	s_or_b32 exec_lo, exec_lo, s14
	v_add_nc_u32_e32 v16, s9, v10
	v_cmp_gt_i16_e32 vcc_lo, 11, v12
	v_ashrrev_i32_e32 v2, 31, v16
	v_add_co_u32 v6, s0, s6, v16
	s_delay_alu instid0(VALU_DEP_1)
	v_add_co_ci_u32_e64 v7, s0, s7, v2, s0
	s_cbranch_vccnz .LBB22_2160
; %bb.2154:
	v_cmp_lt_i16_e32 vcc_lo, 25, v12
	s_mov_b32 s15, 0
	s_cbranch_vccz .LBB22_2161
; %bb.2155:
	v_cmp_lt_i16_e32 vcc_lo, 28, v12
	s_cbranch_vccz .LBB22_2162
; %bb.2156:
	v_cmp_lt_i16_e32 vcc_lo, 43, v12
	;; [unrolled: 3-line block ×3, first 2 shown]
	s_cbranch_vccz .LBB22_2166
; %bb.2158:
	v_cmp_eq_u16_e32 vcc_lo, 46, v12
	s_mov_b32 s1, 0
	s_cbranch_vccz .LBB22_2169
; %bb.2159:
	global_load_b32 v2, v[6:7], off
	s_mov_b32 s14, 0
	s_mov_b32 s0, -1
	s_waitcnt vmcnt(0)
	v_lshlrev_b32_e32 v2, 16, v2
	s_delay_alu instid0(VALU_DEP_1)
	v_cvt_f64_f32_e32 v[2:3], v2
	s_branch .LBB22_2171
.LBB22_2160:
	s_mov_b32 s1, -1
	s_mov_b32 s0, 0
                                        ; implicit-def: $vgpr2_vgpr3
	s_branch .LBB22_2237
.LBB22_2161:
	s_mov_b32 s1, -1
	s_mov_b32 s0, 0
	s_mov_b32 s14, 0
                                        ; implicit-def: $vgpr2_vgpr3
	s_branch .LBB22_2202
.LBB22_2162:
	s_mov_b32 s1, -1
	s_mov_b32 s0, 0
	s_mov_b32 s14, 0
                                        ; implicit-def: $vgpr2_vgpr3
	s_branch .LBB22_2181
.LBB22_2163:
	s_mov_b32 s1, -1
	s_mov_b32 s0, 0
	s_mov_b32 s14, 0
                                        ; implicit-def: $vgpr2_vgpr3
	s_branch .LBB22_2176
.LBB22_2164:
	s_cbranch_execnz .LBB22_2167
; %bb.2165:
	s_or_b32 s11, s11, exec_lo
                                        ; implicit-def: $vgpr6_vgpr7
	s_cbranch_execz .LBB22_2089
	s_branch .LBB22_2090
.LBB22_2166:
	s_mov_b32 s1, -1
	s_mov_b32 s0, 0
	s_mov_b32 s14, 0
	s_branch .LBB22_2170
.LBB22_2167:
	s_trap 2
	s_sendmsg_rtn_b32 s0, sendmsg(MSG_RTN_GET_DOORBELL)
	s_mov_b32 ttmp2, m0
	s_waitcnt lgkmcnt(0)
	s_and_b32 s0, s0, 0x3ff
	s_delay_alu instid0(SALU_CYCLE_1) | instskip(NEXT) | instid1(SALU_CYCLE_1)
	s_bitset1_b32 s0, 10
	s_mov_b32 m0, s0
	s_sendmsg sendmsg(MSG_INTERRUPT)
	s_mov_b32 m0, ttmp2
.LBB22_2168:                            ; =>This Inner Loop Header: Depth=1
	s_sethalt 5
	s_branch .LBB22_2168
.LBB22_2169:
	s_mov_b32 s14, -1
	s_mov_b32 s0, 0
.LBB22_2170:
                                        ; implicit-def: $vgpr2_vgpr3
.LBB22_2171:
	s_and_b32 vcc_lo, exec_lo, s1
	s_cbranch_vccz .LBB22_2175
; %bb.2172:
	v_cmp_eq_u16_e32 vcc_lo, 44, v12
	s_cbranch_vccz .LBB22_2174
; %bb.2173:
	global_load_u8 v8, v[6:7], off
	s_mov_b32 s14, 0
	s_mov_b32 s0, -1
	s_waitcnt vmcnt(0)
	v_cmp_ne_u32_e32 vcc_lo, 0xff, v8
	v_lshlrev_b32_e32 v2, 23, v8
	s_delay_alu instid0(VALU_DEP_1) | instskip(NEXT) | instid1(VALU_DEP_1)
	v_cvt_f64_f32_e32 v[2:3], v2
	v_cndmask_b32_e32 v3, 0x7ff80000, v3, vcc_lo
	s_delay_alu instid0(VALU_DEP_2) | instskip(SKIP_1) | instid1(VALU_DEP_3)
	v_cndmask_b32_e32 v2, 0x20000000, v2, vcc_lo
	v_cmp_ne_u32_e32 vcc_lo, 0, v8
	v_cndmask_b32_e32 v3, 0x38000000, v3, vcc_lo
	s_delay_alu instid0(VALU_DEP_3)
	v_cndmask_b32_e32 v2, 0, v2, vcc_lo
	s_branch .LBB22_2175
.LBB22_2174:
	s_mov_b32 s14, -1
                                        ; implicit-def: $vgpr2_vgpr3
.LBB22_2175:
	s_mov_b32 s1, 0
.LBB22_2176:
	s_delay_alu instid0(SALU_CYCLE_1)
	s_and_b32 vcc_lo, exec_lo, s1
	s_cbranch_vccz .LBB22_2180
; %bb.2177:
	v_cmp_eq_u16_e32 vcc_lo, 29, v12
	s_cbranch_vccz .LBB22_2179
; %bb.2178:
	global_load_b64 v[2:3], v[6:7], off
	s_mov_b32 s14, 0
	s_mov_b32 s0, -1
	s_mov_b32 s1, 0
	s_waitcnt vmcnt(0)
	v_cvt_f64_u32_e32 v[8:9], v3
	v_cvt_f64_u32_e32 v[2:3], v2
	s_delay_alu instid0(VALU_DEP_2) | instskip(NEXT) | instid1(VALU_DEP_1)
	v_ldexp_f64 v[8:9], v[8:9], 32
	v_add_f64 v[2:3], v[8:9], v[2:3]
	s_branch .LBB22_2181
.LBB22_2179:
	s_mov_b32 s14, -1
                                        ; implicit-def: $vgpr2_vgpr3
.LBB22_2180:
	s_mov_b32 s1, 0
.LBB22_2181:
	s_delay_alu instid0(SALU_CYCLE_1)
	s_and_b32 vcc_lo, exec_lo, s1
	s_cbranch_vccz .LBB22_2201
; %bb.2182:
	v_cmp_gt_i16_e32 vcc_lo, 27, v12
	s_cbranch_vccnz .LBB22_2185
; %bb.2183:
	v_cmp_lt_i16_e32 vcc_lo, 27, v12
	s_cbranch_vccz .LBB22_2186
; %bb.2184:
	global_load_b32 v2, v[6:7], off
	s_mov_b32 s0, 0
	s_waitcnt vmcnt(0)
	v_cvt_f64_u32_e32 v[2:3], v2
	s_branch .LBB22_2187
.LBB22_2185:
	s_mov_b32 s0, -1
                                        ; implicit-def: $vgpr2_vgpr3
	s_branch .LBB22_2190
.LBB22_2186:
	s_mov_b32 s0, -1
                                        ; implicit-def: $vgpr2_vgpr3
.LBB22_2187:
	s_delay_alu instid0(SALU_CYCLE_1)
	s_and_not1_b32 vcc_lo, exec_lo, s0
	s_cbranch_vccnz .LBB22_2189
; %bb.2188:
	global_load_u16 v2, v[6:7], off
	s_waitcnt vmcnt(0)
	v_cvt_f64_u32_e32 v[2:3], v2
.LBB22_2189:
	s_mov_b32 s0, 0
.LBB22_2190:
	s_delay_alu instid0(SALU_CYCLE_1)
	s_and_not1_b32 vcc_lo, exec_lo, s0
	s_cbranch_vccnz .LBB22_2200
; %bb.2191:
	global_load_u8 v8, v[6:7], off
	s_mov_b32 s16, 0
	s_mov_b32 s17, exec_lo
                                        ; implicit-def: $sgpr0_sgpr1
	s_waitcnt vmcnt(0)
	v_cmpx_lt_i16_e32 0x7f, v8
	s_xor_b32 s17, exec_lo, s17
	s_cbranch_execz .LBB22_2195
; %bb.2192:
	s_mov_b32 s18, -1
	s_mov_b32 s16, exec_lo
                                        ; implicit-def: $sgpr0_sgpr1
	v_cmpx_eq_u16_e32 0x80, v8
; %bb.2193:
	s_mov_b32 s1, 0x7ff80000
	s_brev_b32 s0, 4
	s_xor_b32 s18, exec_lo, -1
; %bb.2194:
	s_or_b32 exec_lo, exec_lo, s16
	s_delay_alu instid0(SALU_CYCLE_1)
	s_and_b32 s16, s18, exec_lo
.LBB22_2195:
	s_or_saveexec_b32 s17, s17
	v_dual_mov_b32 v3, s1 :: v_dual_mov_b32 v2, s0
	s_xor_b32 exec_lo, exec_lo, s17
; %bb.2196:
	v_cmp_ne_u16_e32 vcc_lo, 0, v8
	v_mov_b32_e32 v2, 0
	v_mov_b32_e32 v3, 0
	s_and_not1_b32 s0, s16, exec_lo
	s_and_b32 s1, vcc_lo, exec_lo
	s_delay_alu instid0(SALU_CYCLE_1)
	s_or_b32 s16, s0, s1
; %bb.2197:
	s_or_b32 exec_lo, exec_lo, s17
	s_and_saveexec_b32 s0, s16
	s_cbranch_execz .LBB22_2199
; %bb.2198:
	v_and_b32_e32 v2, 0xffff, v8
	v_lshlrev_b32_e32 v8, 24, v8
	s_delay_alu instid0(VALU_DEP_2) | instskip(NEXT) | instid1(VALU_DEP_2)
	v_and_b32_e32 v3, 7, v2
	v_and_b32_e32 v8, 0x80000000, v8
	s_delay_alu instid0(VALU_DEP_2) | instskip(NEXT) | instid1(VALU_DEP_1)
	v_clz_i32_u32_e32 v9, v3
	v_min_u32_e32 v9, 32, v9
	s_delay_alu instid0(VALU_DEP_1) | instskip(SKIP_1) | instid1(VALU_DEP_2)
	v_subrev_nc_u32_e32 v10, 28, v9
	v_sub_nc_u32_e32 v9, 29, v9
	v_lshlrev_b32_e32 v10, v10, v2
	v_bfe_u32 v2, v2, 3, 4
	s_delay_alu instid0(VALU_DEP_2) | instskip(NEXT) | instid1(VALU_DEP_2)
	v_and_b32_e32 v10, 7, v10
	v_cmp_eq_u32_e32 vcc_lo, 0, v2
	s_delay_alu instid0(VALU_DEP_2) | instskip(NEXT) | instid1(VALU_DEP_1)
	v_dual_cndmask_b32 v2, v2, v9 :: v_dual_cndmask_b32 v3, v3, v10
	v_lshl_add_u32 v2, v2, 23, 0x3b800000
	s_delay_alu instid0(VALU_DEP_2) | instskip(NEXT) | instid1(VALU_DEP_1)
	v_lshlrev_b32_e32 v3, 20, v3
	v_or3_b32 v2, v8, v2, v3
	s_delay_alu instid0(VALU_DEP_1)
	v_cvt_f64_f32_e32 v[2:3], v2
.LBB22_2199:
	s_or_b32 exec_lo, exec_lo, s0
.LBB22_2200:
	s_mov_b32 s0, -1
.LBB22_2201:
	s_mov_b32 s1, 0
.LBB22_2202:
	s_delay_alu instid0(SALU_CYCLE_1)
	s_and_b32 vcc_lo, exec_lo, s1
	s_cbranch_vccz .LBB22_2233
; %bb.2203:
	v_cmp_lt_i16_e32 vcc_lo, 22, v12
	s_cbranch_vccz .LBB22_2215
; %bb.2204:
	v_cmp_gt_i16_e32 vcc_lo, 24, v12
	s_cbranch_vccnz .LBB22_2216
; %bb.2205:
	v_cmp_lt_i16_e32 vcc_lo, 24, v12
	s_cbranch_vccz .LBB22_2217
; %bb.2206:
	global_load_u8 v8, v[6:7], off
	s_mov_b32 s16, exec_lo
                                        ; implicit-def: $sgpr0_sgpr1
	s_waitcnt vmcnt(0)
	v_cmpx_lt_i16_e32 0x7f, v8
	s_xor_b32 s16, exec_lo, s16
	s_cbranch_execz .LBB22_2210
; %bb.2207:
	s_mov_b32 s17, -1
	s_mov_b32 s15, exec_lo
                                        ; implicit-def: $sgpr0_sgpr1
	v_cmpx_eq_u16_e32 0x80, v8
; %bb.2208:
	s_mov_b32 s1, 0x7ff80000
	s_brev_b32 s0, 4
	s_xor_b32 s17, exec_lo, -1
; %bb.2209:
	s_or_b32 exec_lo, exec_lo, s15
	s_delay_alu instid0(SALU_CYCLE_1)
	s_and_b32 s15, s17, exec_lo
.LBB22_2210:
	s_or_saveexec_b32 s16, s16
	v_dual_mov_b32 v3, s1 :: v_dual_mov_b32 v2, s0
	s_xor_b32 exec_lo, exec_lo, s16
; %bb.2211:
	v_cmp_ne_u16_e32 vcc_lo, 0, v8
	v_mov_b32_e32 v2, 0
	v_mov_b32_e32 v3, 0
	s_and_not1_b32 s0, s15, exec_lo
	s_and_b32 s1, vcc_lo, exec_lo
	s_delay_alu instid0(SALU_CYCLE_1)
	s_or_b32 s15, s0, s1
; %bb.2212:
	s_or_b32 exec_lo, exec_lo, s16
	s_and_saveexec_b32 s0, s15
	s_cbranch_execz .LBB22_2214
; %bb.2213:
	v_and_b32_e32 v2, 0xffff, v8
	v_lshlrev_b32_e32 v8, 24, v8
	s_delay_alu instid0(VALU_DEP_2) | instskip(NEXT) | instid1(VALU_DEP_2)
	v_and_b32_e32 v3, 3, v2
	v_and_b32_e32 v8, 0x80000000, v8
	s_delay_alu instid0(VALU_DEP_2) | instskip(NEXT) | instid1(VALU_DEP_1)
	v_clz_i32_u32_e32 v9, v3
	v_min_u32_e32 v9, 32, v9
	s_delay_alu instid0(VALU_DEP_1) | instskip(SKIP_1) | instid1(VALU_DEP_2)
	v_subrev_nc_u32_e32 v10, 29, v9
	v_sub_nc_u32_e32 v9, 30, v9
	v_lshlrev_b32_e32 v10, v10, v2
	v_bfe_u32 v2, v2, 2, 5
	s_delay_alu instid0(VALU_DEP_2) | instskip(NEXT) | instid1(VALU_DEP_2)
	v_and_b32_e32 v10, 3, v10
	v_cmp_eq_u32_e32 vcc_lo, 0, v2
	s_delay_alu instid0(VALU_DEP_2) | instskip(NEXT) | instid1(VALU_DEP_1)
	v_dual_cndmask_b32 v2, v2, v9 :: v_dual_cndmask_b32 v3, v3, v10
	v_lshl_add_u32 v2, v2, 23, 0x37800000
	s_delay_alu instid0(VALU_DEP_2) | instskip(NEXT) | instid1(VALU_DEP_1)
	v_lshlrev_b32_e32 v3, 21, v3
	v_or3_b32 v2, v8, v2, v3
	s_delay_alu instid0(VALU_DEP_1)
	v_cvt_f64_f32_e32 v[2:3], v2
.LBB22_2214:
	s_or_b32 exec_lo, exec_lo, s0
	s_mov_b32 s0, 0
	s_branch .LBB22_2218
.LBB22_2215:
	s_mov_b32 s1, -1
                                        ; implicit-def: $vgpr2_vgpr3
	s_branch .LBB22_2224
.LBB22_2216:
	s_mov_b32 s0, -1
                                        ; implicit-def: $vgpr2_vgpr3
	s_branch .LBB22_2221
.LBB22_2217:
	s_mov_b32 s0, -1
                                        ; implicit-def: $vgpr2_vgpr3
.LBB22_2218:
	s_delay_alu instid0(SALU_CYCLE_1)
	s_and_b32 vcc_lo, exec_lo, s0
	s_cbranch_vccz .LBB22_2220
; %bb.2219:
	global_load_u8 v2, v[6:7], off
	s_waitcnt vmcnt(0)
	v_lshlrev_b32_e32 v2, 24, v2
	s_delay_alu instid0(VALU_DEP_1) | instskip(NEXT) | instid1(VALU_DEP_1)
	v_and_b32_e32 v3, 0x7f000000, v2
	v_clz_i32_u32_e32 v8, v3
	v_add_nc_u32_e32 v10, 0x1000000, v3
	v_cmp_ne_u32_e32 vcc_lo, 0, v3
	s_delay_alu instid0(VALU_DEP_3) | instskip(NEXT) | instid1(VALU_DEP_1)
	v_min_u32_e32 v8, 32, v8
	v_sub_nc_u32_e64 v8, v8, 4 clamp
	s_delay_alu instid0(VALU_DEP_1) | instskip(SKIP_1) | instid1(VALU_DEP_2)
	v_lshlrev_b32_e32 v9, v8, v3
	v_lshlrev_b32_e32 v8, 23, v8
	v_lshrrev_b32_e32 v9, 4, v9
	s_delay_alu instid0(VALU_DEP_1) | instskip(SKIP_1) | instid1(VALU_DEP_2)
	v_sub_nc_u32_e32 v8, v9, v8
	v_ashrrev_i32_e32 v9, 8, v10
	v_add_nc_u32_e32 v8, 0x3c000000, v8
	s_delay_alu instid0(VALU_DEP_1) | instskip(NEXT) | instid1(VALU_DEP_1)
	v_and_or_b32 v8, 0x7f800000, v9, v8
	v_cndmask_b32_e32 v3, 0, v8, vcc_lo
	s_delay_alu instid0(VALU_DEP_1) | instskip(NEXT) | instid1(VALU_DEP_1)
	v_and_or_b32 v2, 0x80000000, v2, v3
	v_cvt_f64_f32_e32 v[2:3], v2
.LBB22_2220:
	s_mov_b32 s0, 0
.LBB22_2221:
	s_delay_alu instid0(SALU_CYCLE_1)
	s_and_not1_b32 vcc_lo, exec_lo, s0
	s_cbranch_vccnz .LBB22_2223
; %bb.2222:
	global_load_u8 v2, v[6:7], off
	s_waitcnt vmcnt(0)
	v_lshlrev_b32_e32 v3, 25, v2
	v_lshlrev_b16 v2, 8, v2
	s_delay_alu instid0(VALU_DEP_2) | instskip(NEXT) | instid1(VALU_DEP_2)
	v_lshrrev_b32_e32 v8, 4, v3
	v_and_or_b32 v9, 0x7f00, v2, 0.5
	v_bfe_i32 v2, v2, 0, 16
	s_delay_alu instid0(VALU_DEP_3) | instskip(NEXT) | instid1(VALU_DEP_1)
	v_or_b32_e32 v8, 0x70000000, v8
	v_dual_add_f32 v9, -0.5, v9 :: v_dual_mul_f32 v8, 0x7800000, v8
	v_cmp_gt_u32_e32 vcc_lo, 0x8000000, v3
	s_delay_alu instid0(VALU_DEP_2) | instskip(NEXT) | instid1(VALU_DEP_1)
	v_cndmask_b32_e32 v3, v8, v9, vcc_lo
	v_and_or_b32 v2, 0x80000000, v2, v3
	s_delay_alu instid0(VALU_DEP_1)
	v_cvt_f64_f32_e32 v[2:3], v2
.LBB22_2223:
	s_mov_b32 s1, 0
	s_mov_b32 s0, -1
.LBB22_2224:
	s_and_not1_b32 vcc_lo, exec_lo, s1
	s_mov_b32 s15, 0
	s_cbranch_vccnz .LBB22_2233
; %bb.2225:
	v_cmp_lt_i16_e32 vcc_lo, 14, v12
	s_cbranch_vccz .LBB22_2228
; %bb.2226:
	v_cmp_eq_u16_e32 vcc_lo, 15, v12
	s_cbranch_vccz .LBB22_2229
; %bb.2227:
	global_load_u16 v2, v[6:7], off
	s_mov_b32 s14, 0
	s_mov_b32 s0, -1
	s_waitcnt vmcnt(0)
	v_lshlrev_b32_e32 v2, 16, v2
	s_delay_alu instid0(VALU_DEP_1)
	v_cvt_f64_f32_e32 v[2:3], v2
	s_branch .LBB22_2230
.LBB22_2228:
	s_mov_b32 s1, -1
                                        ; implicit-def: $vgpr2_vgpr3
	s_branch .LBB22_2231
.LBB22_2229:
	s_mov_b32 s14, -1
                                        ; implicit-def: $vgpr2_vgpr3
.LBB22_2230:
	s_mov_b32 s1, 0
.LBB22_2231:
	s_delay_alu instid0(SALU_CYCLE_1)
	s_and_b32 vcc_lo, exec_lo, s1
	s_cbranch_vccz .LBB22_2233
; %bb.2232:
	v_cmp_ne_u16_e64 s14, 11, v12
	s_mov_b32 s15, -1
                                        ; implicit-def: $vgpr2_vgpr3
.LBB22_2233:
	s_delay_alu instid0(VALU_DEP_1)
	s_and_b32 vcc_lo, exec_lo, s14
	s_cbranch_vccnz .LBB22_2298
; %bb.2234:
	s_and_not1_b32 vcc_lo, exec_lo, s15
	s_cbranch_vccnz .LBB22_2236
.LBB22_2235:
	global_load_u8 v2, v[6:7], off
	s_mov_b32 s0, -1
	s_waitcnt vmcnt(0)
	v_cmp_ne_u16_e32 vcc_lo, 0, v2
	v_mov_b32_e32 v2, 0
	v_cndmask_b32_e64 v3, 0, 0x3ff00000, vcc_lo
.LBB22_2236:
	s_mov_b32 s1, 0
.LBB22_2237:
	s_delay_alu instid0(SALU_CYCLE_1)
	s_and_b32 vcc_lo, exec_lo, s1
	s_cbranch_vccz .LBB22_2286
; %bb.2238:
	v_cmp_gt_i16_e32 vcc_lo, 5, v12
	s_cbranch_vccnz .LBB22_2243
; %bb.2239:
	v_cmp_gt_i16_e32 vcc_lo, 8, v12
	s_cbranch_vccnz .LBB22_2244
	;; [unrolled: 3-line block ×3, first 2 shown]
; %bb.2241:
	v_cmp_lt_i16_e32 vcc_lo, 9, v12
	s_cbranch_vccz .LBB22_2246
; %bb.2242:
	global_load_b64 v[2:3], v[6:7], off
	s_mov_b32 s0, 0
	s_branch .LBB22_2247
.LBB22_2243:
	s_mov_b32 s0, -1
                                        ; implicit-def: $vgpr2_vgpr3
	s_branch .LBB22_2265
.LBB22_2244:
	s_mov_b32 s0, -1
                                        ; implicit-def: $vgpr2_vgpr3
	s_branch .LBB22_2253
.LBB22_2245:
	s_mov_b32 s0, -1
                                        ; implicit-def: $vgpr2_vgpr3
	s_branch .LBB22_2250
.LBB22_2246:
	s_mov_b32 s0, -1
                                        ; implicit-def: $vgpr2_vgpr3
.LBB22_2247:
	s_delay_alu instid0(SALU_CYCLE_1)
	s_and_not1_b32 vcc_lo, exec_lo, s0
	s_cbranch_vccnz .LBB22_2249
; %bb.2248:
	global_load_b32 v2, v[6:7], off
	s_waitcnt vmcnt(0)
	v_cvt_f64_f32_e32 v[2:3], v2
.LBB22_2249:
	s_mov_b32 s0, 0
.LBB22_2250:
	s_delay_alu instid0(SALU_CYCLE_1)
	s_and_not1_b32 vcc_lo, exec_lo, s0
	s_cbranch_vccnz .LBB22_2252
; %bb.2251:
	global_load_b32 v2, v[6:7], off
	s_waitcnt vmcnt(0)
	v_cvt_f32_f16_e32 v2, v2
	s_delay_alu instid0(VALU_DEP_1)
	v_cvt_f64_f32_e32 v[2:3], v2
.LBB22_2252:
	s_mov_b32 s0, 0
.LBB22_2253:
	s_delay_alu instid0(SALU_CYCLE_1)
	s_and_not1_b32 vcc_lo, exec_lo, s0
	s_cbranch_vccnz .LBB22_2264
; %bb.2254:
	v_cmp_gt_i16_e32 vcc_lo, 6, v12
	s_cbranch_vccnz .LBB22_2257
; %bb.2255:
	v_cmp_lt_i16_e32 vcc_lo, 6, v12
	s_cbranch_vccz .LBB22_2258
; %bb.2256:
	global_load_b64 v[2:3], v[6:7], off
	s_mov_b32 s0, 0
	s_branch .LBB22_2259
.LBB22_2257:
	s_mov_b32 s0, -1
                                        ; implicit-def: $vgpr2_vgpr3
	s_branch .LBB22_2262
.LBB22_2258:
	s_mov_b32 s0, -1
                                        ; implicit-def: $vgpr2_vgpr3
.LBB22_2259:
	s_delay_alu instid0(SALU_CYCLE_1)
	s_and_not1_b32 vcc_lo, exec_lo, s0
	s_cbranch_vccnz .LBB22_2261
; %bb.2260:
	global_load_b32 v2, v[6:7], off
	s_waitcnt vmcnt(0)
	v_cvt_f64_f32_e32 v[2:3], v2
.LBB22_2261:
	s_mov_b32 s0, 0
.LBB22_2262:
	s_delay_alu instid0(SALU_CYCLE_1)
	s_and_not1_b32 vcc_lo, exec_lo, s0
	s_cbranch_vccnz .LBB22_2264
; %bb.2263:
	global_load_u16 v2, v[6:7], off
	s_waitcnt vmcnt(0)
	v_cvt_f32_f16_e32 v2, v2
	s_delay_alu instid0(VALU_DEP_1)
	v_cvt_f64_f32_e32 v[2:3], v2
.LBB22_2264:
	s_mov_b32 s0, 0
.LBB22_2265:
	s_delay_alu instid0(SALU_CYCLE_1)
	s_and_not1_b32 vcc_lo, exec_lo, s0
	s_cbranch_vccnz .LBB22_2285
; %bb.2266:
	v_cmp_gt_i16_e32 vcc_lo, 2, v12
	s_cbranch_vccnz .LBB22_2270
; %bb.2267:
	v_cmp_gt_i16_e32 vcc_lo, 3, v12
	s_cbranch_vccnz .LBB22_2271
; %bb.2268:
	v_cmp_lt_i16_e32 vcc_lo, 3, v12
	s_cbranch_vccz .LBB22_2272
; %bb.2269:
	global_load_b64 v[2:3], v[6:7], off
	s_mov_b32 s0, 0
	s_waitcnt vmcnt(0)
	v_cvt_f64_i32_e32 v[8:9], v3
	v_cvt_f64_u32_e32 v[2:3], v2
	s_delay_alu instid0(VALU_DEP_2) | instskip(NEXT) | instid1(VALU_DEP_1)
	v_ldexp_f64 v[8:9], v[8:9], 32
	v_add_f64 v[2:3], v[8:9], v[2:3]
	s_branch .LBB22_2273
.LBB22_2270:
	s_mov_b32 s0, -1
                                        ; implicit-def: $vgpr2_vgpr3
	s_branch .LBB22_2279
.LBB22_2271:
	s_mov_b32 s0, -1
                                        ; implicit-def: $vgpr2_vgpr3
	s_branch .LBB22_2276
.LBB22_2272:
	s_mov_b32 s0, -1
                                        ; implicit-def: $vgpr2_vgpr3
.LBB22_2273:
	s_delay_alu instid0(SALU_CYCLE_1)
	s_and_not1_b32 vcc_lo, exec_lo, s0
	s_cbranch_vccnz .LBB22_2275
; %bb.2274:
	global_load_b32 v2, v[6:7], off
	s_waitcnt vmcnt(0)
	v_cvt_f64_i32_e32 v[2:3], v2
.LBB22_2275:
	s_mov_b32 s0, 0
.LBB22_2276:
	s_delay_alu instid0(SALU_CYCLE_1)
	s_and_not1_b32 vcc_lo, exec_lo, s0
	s_cbranch_vccnz .LBB22_2278
; %bb.2277:
	global_load_i16 v2, v[6:7], off
	s_waitcnt vmcnt(0)
	v_cvt_f64_i32_e32 v[2:3], v2
.LBB22_2278:
	s_mov_b32 s0, 0
.LBB22_2279:
	s_delay_alu instid0(SALU_CYCLE_1)
	s_and_not1_b32 vcc_lo, exec_lo, s0
	s_cbranch_vccnz .LBB22_2285
; %bb.2280:
	v_cmp_lt_i16_e32 vcc_lo, 0, v12
	s_mov_b32 s0, 0
	s_cbranch_vccz .LBB22_2282
; %bb.2281:
	global_load_i8 v2, v[6:7], off
	s_waitcnt vmcnt(0)
	v_cvt_f64_i32_e32 v[2:3], v2
	s_branch .LBB22_2283
.LBB22_2282:
	s_mov_b32 s0, -1
                                        ; implicit-def: $vgpr2_vgpr3
.LBB22_2283:
	s_delay_alu instid0(SALU_CYCLE_1)
	s_and_not1_b32 vcc_lo, exec_lo, s0
	s_cbranch_vccnz .LBB22_2285
; %bb.2284:
	global_load_u8 v2, v[6:7], off
	s_waitcnt vmcnt(0)
	v_cvt_f64_u32_e32 v[2:3], v2
.LBB22_2285:
	s_mov_b32 s0, -1
.LBB22_2286:
	s_delay_alu instid0(SALU_CYCLE_1)
	s_and_not1_b32 vcc_lo, exec_lo, s0
	s_cbranch_vccnz .LBB22_2793
; %bb.2287:
	v_add_nc_u32_e32 v17, s10, v11
	v_cmp_gt_i16_e32 vcc_lo, 11, v13
	s_delay_alu instid0(VALU_DEP_2) | instskip(SKIP_1) | instid1(VALU_DEP_1)
	v_ashrrev_i32_e32 v7, 31, v17
	v_add_co_u32 v6, s0, s2, v17
	v_add_co_ci_u32_e64 v7, s0, s3, v7, s0
	s_cbranch_vccnz .LBB22_2294
; %bb.2288:
	v_cmp_lt_i16_e32 vcc_lo, 25, v13
	s_mov_b32 s15, 0
	s_cbranch_vccz .LBB22_2295
; %bb.2289:
	v_cmp_lt_i16_e32 vcc_lo, 28, v13
	s_cbranch_vccz .LBB22_2296
; %bb.2290:
	v_cmp_lt_i16_e32 vcc_lo, 43, v13
	;; [unrolled: 3-line block ×3, first 2 shown]
	s_cbranch_vccz .LBB22_2300
; %bb.2292:
	v_cmp_eq_u16_e32 vcc_lo, 46, v13
	s_mov_b32 s1, 0
	s_cbranch_vccz .LBB22_2305
; %bb.2293:
	global_load_b32 v8, v[6:7], off
	s_mov_b32 s14, 0
	s_mov_b32 s0, -1
	s_waitcnt vmcnt(0)
	v_lshlrev_b32_e32 v8, 16, v8
	s_delay_alu instid0(VALU_DEP_1)
	v_cvt_f64_f32_e32 v[8:9], v8
	s_branch .LBB22_2307
.LBB22_2294:
	s_mov_b32 s1, -1
	s_mov_b32 s0, 0
                                        ; implicit-def: $vgpr8_vgpr9
	s_branch .LBB22_2373
.LBB22_2295:
	s_mov_b32 s1, -1
	s_mov_b32 s0, 0
	s_mov_b32 s14, 0
                                        ; implicit-def: $vgpr8_vgpr9
	s_branch .LBB22_2338
.LBB22_2296:
	s_mov_b32 s1, -1
	s_mov_b32 s0, 0
	s_mov_b32 s14, 0
                                        ; implicit-def: $vgpr8_vgpr9
	s_branch .LBB22_2317
.LBB22_2297:
	s_mov_b32 s1, -1
	s_mov_b32 s0, 0
	s_mov_b32 s14, 0
                                        ; implicit-def: $vgpr8_vgpr9
	s_branch .LBB22_2312
.LBB22_2298:
	s_cbranch_execnz .LBB22_2301
; %bb.2299:
	s_or_b32 s11, s11, exec_lo
                                        ; implicit-def: $vgpr2_vgpr3
	s_cbranch_execz .LBB22_2235
	s_branch .LBB22_2236
.LBB22_2300:
	s_mov_b32 s1, -1
	s_mov_b32 s0, 0
	s_mov_b32 s14, 0
	s_branch .LBB22_2306
.LBB22_2301:
	s_trap 2
	s_sendmsg_rtn_b32 s0, sendmsg(MSG_RTN_GET_DOORBELL)
	s_mov_b32 ttmp2, m0
	s_waitcnt lgkmcnt(0)
	s_and_b32 s0, s0, 0x3ff
	s_delay_alu instid0(SALU_CYCLE_1) | instskip(NEXT) | instid1(SALU_CYCLE_1)
	s_bitset1_b32 s0, 10
	s_mov_b32 m0, s0
	s_sendmsg sendmsg(MSG_INTERRUPT)
	s_mov_b32 m0, ttmp2
.LBB22_2302:                            ; =>This Inner Loop Header: Depth=1
	s_sethalt 5
	s_branch .LBB22_2302
.LBB22_2303:
	s_or_saveexec_b32 s26, s26
                                        ; implicit-def: $sgpr27
	s_delay_alu instid0(SALU_CYCLE_1)
	s_xor_b32 exec_lo, exec_lo, s26
	s_cbranch_execz .LBB22_1119
.LBB22_2304:
	v_add_f32_e64 v3, 0x42800000, |v2|
	s_and_not1_b32 s25, s25, exec_lo
	s_mov_b32 s27, 0
	s_delay_alu instid0(VALU_DEP_1) | instskip(NEXT) | instid1(VALU_DEP_1)
	v_and_b32_e32 v3, 0xff, v3
	v_cmp_ne_u32_e32 vcc_lo, 0, v3
	s_and_b32 s28, vcc_lo, exec_lo
	s_delay_alu instid0(SALU_CYCLE_1)
	s_or_b32 s25, s25, s28
	s_or_b32 exec_lo, exec_lo, s26
	v_mov_b32_e32 v7, s27
	s_and_saveexec_b32 s26, s25
	s_cbranch_execnz .LBB22_1120
	s_branch .LBB22_1121
.LBB22_2305:
	s_mov_b32 s14, -1
	s_mov_b32 s0, 0
.LBB22_2306:
                                        ; implicit-def: $vgpr8_vgpr9
.LBB22_2307:
	s_and_b32 vcc_lo, exec_lo, s1
	s_cbranch_vccz .LBB22_2311
; %bb.2308:
	v_cmp_eq_u16_e32 vcc_lo, 44, v13
	s_cbranch_vccz .LBB22_2310
; %bb.2309:
	global_load_u8 v10, v[6:7], off
	s_mov_b32 s14, 0
	s_mov_b32 s0, -1
	s_waitcnt vmcnt(0)
	v_cmp_ne_u32_e32 vcc_lo, 0xff, v10
	v_lshlrev_b32_e32 v8, 23, v10
	s_delay_alu instid0(VALU_DEP_1) | instskip(NEXT) | instid1(VALU_DEP_1)
	v_cvt_f64_f32_e32 v[8:9], v8
	v_cndmask_b32_e32 v9, 0x7ff80000, v9, vcc_lo
	s_delay_alu instid0(VALU_DEP_2) | instskip(SKIP_1) | instid1(VALU_DEP_3)
	v_cndmask_b32_e32 v8, 0x20000000, v8, vcc_lo
	v_cmp_ne_u32_e32 vcc_lo, 0, v10
	v_cndmask_b32_e32 v9, 0x38000000, v9, vcc_lo
	s_delay_alu instid0(VALU_DEP_3)
	v_cndmask_b32_e32 v8, 0, v8, vcc_lo
	s_branch .LBB22_2311
.LBB22_2310:
	s_mov_b32 s14, -1
                                        ; implicit-def: $vgpr8_vgpr9
.LBB22_2311:
	s_mov_b32 s1, 0
.LBB22_2312:
	s_delay_alu instid0(SALU_CYCLE_1)
	s_and_b32 vcc_lo, exec_lo, s1
	s_cbranch_vccz .LBB22_2316
; %bb.2313:
	v_cmp_eq_u16_e32 vcc_lo, 29, v13
	s_cbranch_vccz .LBB22_2315
; %bb.2314:
	global_load_b64 v[8:9], v[6:7], off
	s_mov_b32 s14, 0
	s_mov_b32 s0, -1
	s_mov_b32 s1, 0
	s_waitcnt vmcnt(0)
	v_cvt_f64_u32_e32 v[9:10], v9
	v_cvt_f64_u32_e32 v[18:19], v8
	s_delay_alu instid0(VALU_DEP_2) | instskip(NEXT) | instid1(VALU_DEP_1)
	v_ldexp_f64 v[9:10], v[9:10], 32
	v_add_f64 v[8:9], v[9:10], v[18:19]
	s_branch .LBB22_2317
.LBB22_2315:
	s_mov_b32 s14, -1
                                        ; implicit-def: $vgpr8_vgpr9
.LBB22_2316:
	s_mov_b32 s1, 0
.LBB22_2317:
	s_delay_alu instid0(SALU_CYCLE_1)
	s_and_b32 vcc_lo, exec_lo, s1
	s_cbranch_vccz .LBB22_2337
; %bb.2318:
	v_cmp_gt_i16_e32 vcc_lo, 27, v13
	s_cbranch_vccnz .LBB22_2321
; %bb.2319:
	v_cmp_lt_i16_e32 vcc_lo, 27, v13
	s_cbranch_vccz .LBB22_2322
; %bb.2320:
	global_load_b32 v8, v[6:7], off
	s_mov_b32 s0, 0
	s_waitcnt vmcnt(0)
	v_cvt_f64_u32_e32 v[8:9], v8
	s_branch .LBB22_2323
.LBB22_2321:
	s_mov_b32 s0, -1
                                        ; implicit-def: $vgpr8_vgpr9
	s_branch .LBB22_2326
.LBB22_2322:
	s_mov_b32 s0, -1
                                        ; implicit-def: $vgpr8_vgpr9
.LBB22_2323:
	s_delay_alu instid0(SALU_CYCLE_1)
	s_and_not1_b32 vcc_lo, exec_lo, s0
	s_cbranch_vccnz .LBB22_2325
; %bb.2324:
	global_load_u16 v8, v[6:7], off
	s_waitcnt vmcnt(0)
	v_cvt_f64_u32_e32 v[8:9], v8
.LBB22_2325:
	s_mov_b32 s0, 0
.LBB22_2326:
	s_delay_alu instid0(SALU_CYCLE_1)
	s_and_not1_b32 vcc_lo, exec_lo, s0
	s_cbranch_vccnz .LBB22_2336
; %bb.2327:
	global_load_u8 v10, v[6:7], off
	s_mov_b32 s16, 0
	s_mov_b32 s17, exec_lo
                                        ; implicit-def: $sgpr0_sgpr1
	s_waitcnt vmcnt(0)
	v_cmpx_lt_i16_e32 0x7f, v10
	s_xor_b32 s17, exec_lo, s17
	s_cbranch_execz .LBB22_2331
; %bb.2328:
	s_mov_b32 s18, -1
	s_mov_b32 s16, exec_lo
                                        ; implicit-def: $sgpr0_sgpr1
	v_cmpx_eq_u16_e32 0x80, v10
; %bb.2329:
	s_mov_b32 s1, 0x7ff80000
	s_brev_b32 s0, 4
	s_xor_b32 s18, exec_lo, -1
; %bb.2330:
	s_or_b32 exec_lo, exec_lo, s16
	s_delay_alu instid0(SALU_CYCLE_1)
	s_and_b32 s16, s18, exec_lo
.LBB22_2331:
	s_or_saveexec_b32 s17, s17
	v_dual_mov_b32 v9, s1 :: v_dual_mov_b32 v8, s0
	s_xor_b32 exec_lo, exec_lo, s17
; %bb.2332:
	v_cmp_ne_u16_e32 vcc_lo, 0, v10
	v_mov_b32_e32 v8, 0
	v_mov_b32_e32 v9, 0
	s_and_not1_b32 s0, s16, exec_lo
	s_and_b32 s1, vcc_lo, exec_lo
	s_delay_alu instid0(SALU_CYCLE_1)
	s_or_b32 s16, s0, s1
; %bb.2333:
	s_or_b32 exec_lo, exec_lo, s17
	s_and_saveexec_b32 s0, s16
	s_cbranch_execz .LBB22_2335
; %bb.2334:
	v_and_b32_e32 v8, 0xffff, v10
	v_lshlrev_b32_e32 v10, 24, v10
	s_delay_alu instid0(VALU_DEP_2) | instskip(NEXT) | instid1(VALU_DEP_2)
	v_and_b32_e32 v9, 7, v8
	v_and_b32_e32 v10, 0x80000000, v10
	s_delay_alu instid0(VALU_DEP_2) | instskip(NEXT) | instid1(VALU_DEP_1)
	v_clz_i32_u32_e32 v11, v9
	v_min_u32_e32 v11, 32, v11
	s_delay_alu instid0(VALU_DEP_1) | instskip(SKIP_1) | instid1(VALU_DEP_2)
	v_subrev_nc_u32_e32 v18, 28, v11
	v_sub_nc_u32_e32 v11, 29, v11
	v_lshlrev_b32_e32 v18, v18, v8
	v_bfe_u32 v8, v8, 3, 4
	s_delay_alu instid0(VALU_DEP_2) | instskip(NEXT) | instid1(VALU_DEP_2)
	v_and_b32_e32 v18, 7, v18
	v_cmp_eq_u32_e32 vcc_lo, 0, v8
	s_delay_alu instid0(VALU_DEP_2) | instskip(NEXT) | instid1(VALU_DEP_1)
	v_dual_cndmask_b32 v8, v8, v11 :: v_dual_cndmask_b32 v9, v9, v18
	v_lshl_add_u32 v8, v8, 23, 0x3b800000
	s_delay_alu instid0(VALU_DEP_2) | instskip(NEXT) | instid1(VALU_DEP_1)
	v_lshlrev_b32_e32 v9, 20, v9
	v_or3_b32 v8, v10, v8, v9
	s_delay_alu instid0(VALU_DEP_1)
	v_cvt_f64_f32_e32 v[8:9], v8
.LBB22_2335:
	s_or_b32 exec_lo, exec_lo, s0
.LBB22_2336:
	s_mov_b32 s0, -1
.LBB22_2337:
	s_mov_b32 s1, 0
.LBB22_2338:
	s_delay_alu instid0(SALU_CYCLE_1)
	s_and_b32 vcc_lo, exec_lo, s1
	s_cbranch_vccz .LBB22_2369
; %bb.2339:
	v_cmp_lt_i16_e32 vcc_lo, 22, v13
	s_cbranch_vccz .LBB22_2351
; %bb.2340:
	v_cmp_gt_i16_e32 vcc_lo, 24, v13
	s_cbranch_vccnz .LBB22_2352
; %bb.2341:
	v_cmp_lt_i16_e32 vcc_lo, 24, v13
	s_cbranch_vccz .LBB22_2353
; %bb.2342:
	global_load_u8 v10, v[6:7], off
	s_mov_b32 s16, exec_lo
                                        ; implicit-def: $sgpr0_sgpr1
	s_waitcnt vmcnt(0)
	v_cmpx_lt_i16_e32 0x7f, v10
	s_xor_b32 s16, exec_lo, s16
	s_cbranch_execz .LBB22_2346
; %bb.2343:
	s_mov_b32 s17, -1
	s_mov_b32 s15, exec_lo
                                        ; implicit-def: $sgpr0_sgpr1
	v_cmpx_eq_u16_e32 0x80, v10
; %bb.2344:
	s_mov_b32 s1, 0x7ff80000
	s_brev_b32 s0, 4
	s_xor_b32 s17, exec_lo, -1
; %bb.2345:
	s_or_b32 exec_lo, exec_lo, s15
	s_delay_alu instid0(SALU_CYCLE_1)
	s_and_b32 s15, s17, exec_lo
.LBB22_2346:
	s_or_saveexec_b32 s16, s16
	v_dual_mov_b32 v9, s1 :: v_dual_mov_b32 v8, s0
	s_xor_b32 exec_lo, exec_lo, s16
; %bb.2347:
	v_cmp_ne_u16_e32 vcc_lo, 0, v10
	v_mov_b32_e32 v8, 0
	v_mov_b32_e32 v9, 0
	s_and_not1_b32 s0, s15, exec_lo
	s_and_b32 s1, vcc_lo, exec_lo
	s_delay_alu instid0(SALU_CYCLE_1)
	s_or_b32 s15, s0, s1
; %bb.2348:
	s_or_b32 exec_lo, exec_lo, s16
	s_and_saveexec_b32 s0, s15
	s_cbranch_execz .LBB22_2350
; %bb.2349:
	v_and_b32_e32 v8, 0xffff, v10
	v_lshlrev_b32_e32 v10, 24, v10
	s_delay_alu instid0(VALU_DEP_2) | instskip(NEXT) | instid1(VALU_DEP_2)
	v_and_b32_e32 v9, 3, v8
	v_and_b32_e32 v10, 0x80000000, v10
	s_delay_alu instid0(VALU_DEP_2) | instskip(NEXT) | instid1(VALU_DEP_1)
	v_clz_i32_u32_e32 v11, v9
	v_min_u32_e32 v11, 32, v11
	s_delay_alu instid0(VALU_DEP_1) | instskip(SKIP_1) | instid1(VALU_DEP_2)
	v_subrev_nc_u32_e32 v18, 29, v11
	v_sub_nc_u32_e32 v11, 30, v11
	v_lshlrev_b32_e32 v18, v18, v8
	v_bfe_u32 v8, v8, 2, 5
	s_delay_alu instid0(VALU_DEP_2) | instskip(NEXT) | instid1(VALU_DEP_2)
	v_and_b32_e32 v18, 3, v18
	v_cmp_eq_u32_e32 vcc_lo, 0, v8
	s_delay_alu instid0(VALU_DEP_2) | instskip(NEXT) | instid1(VALU_DEP_1)
	v_dual_cndmask_b32 v8, v8, v11 :: v_dual_cndmask_b32 v9, v9, v18
	v_lshl_add_u32 v8, v8, 23, 0x37800000
	s_delay_alu instid0(VALU_DEP_2) | instskip(NEXT) | instid1(VALU_DEP_1)
	v_lshlrev_b32_e32 v9, 21, v9
	v_or3_b32 v8, v10, v8, v9
	s_delay_alu instid0(VALU_DEP_1)
	v_cvt_f64_f32_e32 v[8:9], v8
.LBB22_2350:
	s_or_b32 exec_lo, exec_lo, s0
	s_mov_b32 s0, 0
	s_branch .LBB22_2354
.LBB22_2351:
	s_mov_b32 s1, -1
                                        ; implicit-def: $vgpr8_vgpr9
	s_branch .LBB22_2360
.LBB22_2352:
	s_mov_b32 s0, -1
                                        ; implicit-def: $vgpr8_vgpr9
	s_branch .LBB22_2357
.LBB22_2353:
	s_mov_b32 s0, -1
                                        ; implicit-def: $vgpr8_vgpr9
.LBB22_2354:
	s_delay_alu instid0(SALU_CYCLE_1)
	s_and_b32 vcc_lo, exec_lo, s0
	s_cbranch_vccz .LBB22_2356
; %bb.2355:
	global_load_u8 v8, v[6:7], off
	s_waitcnt vmcnt(0)
	v_lshlrev_b32_e32 v8, 24, v8
	s_delay_alu instid0(VALU_DEP_1) | instskip(NEXT) | instid1(VALU_DEP_1)
	v_and_b32_e32 v9, 0x7f000000, v8
	v_clz_i32_u32_e32 v10, v9
	v_add_nc_u32_e32 v18, 0x1000000, v9
	v_cmp_ne_u32_e32 vcc_lo, 0, v9
	s_delay_alu instid0(VALU_DEP_3) | instskip(NEXT) | instid1(VALU_DEP_1)
	v_min_u32_e32 v10, 32, v10
	v_sub_nc_u32_e64 v10, v10, 4 clamp
	s_delay_alu instid0(VALU_DEP_1) | instskip(SKIP_1) | instid1(VALU_DEP_2)
	v_lshlrev_b32_e32 v11, v10, v9
	v_lshlrev_b32_e32 v10, 23, v10
	v_lshrrev_b32_e32 v11, 4, v11
	s_delay_alu instid0(VALU_DEP_1) | instskip(SKIP_1) | instid1(VALU_DEP_2)
	v_sub_nc_u32_e32 v10, v11, v10
	v_ashrrev_i32_e32 v11, 8, v18
	v_add_nc_u32_e32 v10, 0x3c000000, v10
	s_delay_alu instid0(VALU_DEP_1) | instskip(NEXT) | instid1(VALU_DEP_1)
	v_and_or_b32 v10, 0x7f800000, v11, v10
	v_cndmask_b32_e32 v9, 0, v10, vcc_lo
	s_delay_alu instid0(VALU_DEP_1) | instskip(NEXT) | instid1(VALU_DEP_1)
	v_and_or_b32 v8, 0x80000000, v8, v9
	v_cvt_f64_f32_e32 v[8:9], v8
.LBB22_2356:
	s_mov_b32 s0, 0
.LBB22_2357:
	s_delay_alu instid0(SALU_CYCLE_1)
	s_and_not1_b32 vcc_lo, exec_lo, s0
	s_cbranch_vccnz .LBB22_2359
; %bb.2358:
	global_load_u8 v8, v[6:7], off
	s_waitcnt vmcnt(0)
	v_lshlrev_b32_e32 v9, 25, v8
	v_lshlrev_b16 v8, 8, v8
	s_delay_alu instid0(VALU_DEP_2) | instskip(NEXT) | instid1(VALU_DEP_2)
	v_lshrrev_b32_e32 v10, 4, v9
	v_and_or_b32 v11, 0x7f00, v8, 0.5
	v_bfe_i32 v8, v8, 0, 16
	s_delay_alu instid0(VALU_DEP_3) | instskip(NEXT) | instid1(VALU_DEP_1)
	v_or_b32_e32 v10, 0x70000000, v10
	v_dual_add_f32 v11, -0.5, v11 :: v_dual_mul_f32 v10, 0x7800000, v10
	v_cmp_gt_u32_e32 vcc_lo, 0x8000000, v9
	s_delay_alu instid0(VALU_DEP_2) | instskip(NEXT) | instid1(VALU_DEP_1)
	v_cndmask_b32_e32 v9, v10, v11, vcc_lo
	v_and_or_b32 v8, 0x80000000, v8, v9
	s_delay_alu instid0(VALU_DEP_1)
	v_cvt_f64_f32_e32 v[8:9], v8
.LBB22_2359:
	s_mov_b32 s1, 0
	s_mov_b32 s0, -1
.LBB22_2360:
	s_and_not1_b32 vcc_lo, exec_lo, s1
	s_mov_b32 s15, 0
	s_cbranch_vccnz .LBB22_2369
; %bb.2361:
	v_cmp_lt_i16_e32 vcc_lo, 14, v13
	s_cbranch_vccz .LBB22_2364
; %bb.2362:
	v_cmp_eq_u16_e32 vcc_lo, 15, v13
	s_cbranch_vccz .LBB22_2365
; %bb.2363:
	global_load_u16 v8, v[6:7], off
	s_mov_b32 s14, 0
	s_mov_b32 s0, -1
	s_waitcnt vmcnt(0)
	v_lshlrev_b32_e32 v8, 16, v8
	s_delay_alu instid0(VALU_DEP_1)
	v_cvt_f64_f32_e32 v[8:9], v8
	s_branch .LBB22_2366
.LBB22_2364:
	s_mov_b32 s1, -1
                                        ; implicit-def: $vgpr8_vgpr9
	s_branch .LBB22_2367
.LBB22_2365:
	s_mov_b32 s14, -1
                                        ; implicit-def: $vgpr8_vgpr9
.LBB22_2366:
	s_mov_b32 s1, 0
.LBB22_2367:
	s_delay_alu instid0(SALU_CYCLE_1)
	s_and_b32 vcc_lo, exec_lo, s1
	s_cbranch_vccz .LBB22_2369
; %bb.2368:
	v_cmp_ne_u16_e64 s14, 11, v13
	s_mov_b32 s15, -1
                                        ; implicit-def: $vgpr8_vgpr9
.LBB22_2369:
	s_delay_alu instid0(VALU_DEP_1)
	s_and_b32 vcc_lo, exec_lo, s14
	s_cbranch_vccnz .LBB22_2446
; %bb.2370:
	s_and_not1_b32 vcc_lo, exec_lo, s15
	s_cbranch_vccnz .LBB22_2372
.LBB22_2371:
	global_load_u8 v8, v[6:7], off
	s_mov_b32 s0, -1
	s_waitcnt vmcnt(0)
	v_cmp_ne_u16_e32 vcc_lo, 0, v8
	v_mov_b32_e32 v8, 0
	v_cndmask_b32_e64 v9, 0, 0x3ff00000, vcc_lo
.LBB22_2372:
	s_mov_b32 s1, 0
.LBB22_2373:
	s_delay_alu instid0(SALU_CYCLE_1)
	s_and_b32 vcc_lo, exec_lo, s1
	s_cbranch_vccz .LBB22_2422
; %bb.2374:
	v_cmp_gt_i16_e32 vcc_lo, 5, v13
	s_cbranch_vccnz .LBB22_2379
; %bb.2375:
	v_cmp_gt_i16_e32 vcc_lo, 8, v13
	s_cbranch_vccnz .LBB22_2380
	;; [unrolled: 3-line block ×3, first 2 shown]
; %bb.2377:
	v_cmp_lt_i16_e32 vcc_lo, 9, v13
	s_cbranch_vccz .LBB22_2382
; %bb.2378:
	global_load_b64 v[8:9], v[6:7], off
	s_mov_b32 s0, 0
	s_branch .LBB22_2383
.LBB22_2379:
	s_mov_b32 s0, -1
                                        ; implicit-def: $vgpr8_vgpr9
	s_branch .LBB22_2401
.LBB22_2380:
	s_mov_b32 s0, -1
                                        ; implicit-def: $vgpr8_vgpr9
	s_branch .LBB22_2389
.LBB22_2381:
	s_mov_b32 s0, -1
                                        ; implicit-def: $vgpr8_vgpr9
	s_branch .LBB22_2386
.LBB22_2382:
	s_mov_b32 s0, -1
                                        ; implicit-def: $vgpr8_vgpr9
.LBB22_2383:
	s_delay_alu instid0(SALU_CYCLE_1)
	s_and_not1_b32 vcc_lo, exec_lo, s0
	s_cbranch_vccnz .LBB22_2385
; %bb.2384:
	global_load_b32 v8, v[6:7], off
	s_waitcnt vmcnt(0)
	v_cvt_f64_f32_e32 v[8:9], v8
.LBB22_2385:
	s_mov_b32 s0, 0
.LBB22_2386:
	s_delay_alu instid0(SALU_CYCLE_1)
	s_and_not1_b32 vcc_lo, exec_lo, s0
	s_cbranch_vccnz .LBB22_2388
; %bb.2387:
	global_load_b32 v8, v[6:7], off
	s_waitcnt vmcnt(0)
	v_cvt_f32_f16_e32 v8, v8
	s_delay_alu instid0(VALU_DEP_1)
	v_cvt_f64_f32_e32 v[8:9], v8
.LBB22_2388:
	s_mov_b32 s0, 0
.LBB22_2389:
	s_delay_alu instid0(SALU_CYCLE_1)
	s_and_not1_b32 vcc_lo, exec_lo, s0
	s_cbranch_vccnz .LBB22_2400
; %bb.2390:
	v_cmp_gt_i16_e32 vcc_lo, 6, v13
	s_cbranch_vccnz .LBB22_2393
; %bb.2391:
	v_cmp_lt_i16_e32 vcc_lo, 6, v13
	s_cbranch_vccz .LBB22_2394
; %bb.2392:
	global_load_b64 v[8:9], v[6:7], off
	s_mov_b32 s0, 0
	s_branch .LBB22_2395
.LBB22_2393:
	s_mov_b32 s0, -1
                                        ; implicit-def: $vgpr8_vgpr9
	s_branch .LBB22_2398
.LBB22_2394:
	s_mov_b32 s0, -1
                                        ; implicit-def: $vgpr8_vgpr9
.LBB22_2395:
	s_delay_alu instid0(SALU_CYCLE_1)
	s_and_not1_b32 vcc_lo, exec_lo, s0
	s_cbranch_vccnz .LBB22_2397
; %bb.2396:
	global_load_b32 v8, v[6:7], off
	s_waitcnt vmcnt(0)
	v_cvt_f64_f32_e32 v[8:9], v8
.LBB22_2397:
	s_mov_b32 s0, 0
.LBB22_2398:
	s_delay_alu instid0(SALU_CYCLE_1)
	s_and_not1_b32 vcc_lo, exec_lo, s0
	s_cbranch_vccnz .LBB22_2400
; %bb.2399:
	global_load_u16 v8, v[6:7], off
	s_waitcnt vmcnt(0)
	v_cvt_f32_f16_e32 v8, v8
	s_delay_alu instid0(VALU_DEP_1)
	v_cvt_f64_f32_e32 v[8:9], v8
.LBB22_2400:
	s_mov_b32 s0, 0
.LBB22_2401:
	s_delay_alu instid0(SALU_CYCLE_1)
	s_and_not1_b32 vcc_lo, exec_lo, s0
	s_cbranch_vccnz .LBB22_2421
; %bb.2402:
	v_cmp_gt_i16_e32 vcc_lo, 2, v13
	s_cbranch_vccnz .LBB22_2406
; %bb.2403:
	v_cmp_gt_i16_e32 vcc_lo, 3, v13
	s_cbranch_vccnz .LBB22_2407
; %bb.2404:
	v_cmp_lt_i16_e32 vcc_lo, 3, v13
	s_cbranch_vccz .LBB22_2408
; %bb.2405:
	global_load_b64 v[8:9], v[6:7], off
	s_mov_b32 s0, 0
	s_waitcnt vmcnt(0)
	v_cvt_f64_i32_e32 v[9:10], v9
	v_cvt_f64_u32_e32 v[18:19], v8
	s_delay_alu instid0(VALU_DEP_2) | instskip(NEXT) | instid1(VALU_DEP_1)
	v_ldexp_f64 v[9:10], v[9:10], 32
	v_add_f64 v[8:9], v[9:10], v[18:19]
	s_branch .LBB22_2409
.LBB22_2406:
	s_mov_b32 s0, -1
                                        ; implicit-def: $vgpr8_vgpr9
	s_branch .LBB22_2415
.LBB22_2407:
	s_mov_b32 s0, -1
                                        ; implicit-def: $vgpr8_vgpr9
	s_branch .LBB22_2412
.LBB22_2408:
	s_mov_b32 s0, -1
                                        ; implicit-def: $vgpr8_vgpr9
.LBB22_2409:
	s_delay_alu instid0(SALU_CYCLE_1)
	s_and_not1_b32 vcc_lo, exec_lo, s0
	s_cbranch_vccnz .LBB22_2411
; %bb.2410:
	global_load_b32 v8, v[6:7], off
	s_waitcnt vmcnt(0)
	v_cvt_f64_i32_e32 v[8:9], v8
.LBB22_2411:
	s_mov_b32 s0, 0
.LBB22_2412:
	s_delay_alu instid0(SALU_CYCLE_1)
	s_and_not1_b32 vcc_lo, exec_lo, s0
	s_cbranch_vccnz .LBB22_2414
; %bb.2413:
	global_load_i16 v8, v[6:7], off
	s_waitcnt vmcnt(0)
	v_cvt_f64_i32_e32 v[8:9], v8
.LBB22_2414:
	s_mov_b32 s0, 0
.LBB22_2415:
	s_delay_alu instid0(SALU_CYCLE_1)
	s_and_not1_b32 vcc_lo, exec_lo, s0
	s_cbranch_vccnz .LBB22_2421
; %bb.2416:
	v_cmp_lt_i16_e32 vcc_lo, 0, v13
	s_mov_b32 s0, 0
	s_cbranch_vccz .LBB22_2418
; %bb.2417:
	global_load_i8 v8, v[6:7], off
	s_waitcnt vmcnt(0)
	v_cvt_f64_i32_e32 v[8:9], v8
	s_branch .LBB22_2419
.LBB22_2418:
	s_mov_b32 s0, -1
                                        ; implicit-def: $vgpr8_vgpr9
.LBB22_2419:
	s_delay_alu instid0(SALU_CYCLE_1)
	s_and_not1_b32 vcc_lo, exec_lo, s0
	s_cbranch_vccnz .LBB22_2421
; %bb.2420:
	global_load_u8 v6, v[6:7], off
	s_waitcnt vmcnt(0)
	v_cvt_f64_u32_e32 v[8:9], v6
.LBB22_2421:
	s_mov_b32 s0, -1
.LBB22_2422:
	s_delay_alu instid0(SALU_CYCLE_1)
	s_and_not1_b32 vcc_lo, exec_lo, s0
	s_cbranch_vccnz .LBB22_2793
; %bb.2423:
	s_waitcnt vmcnt(0)
	s_delay_alu instid0(VALU_DEP_1) | instskip(SKIP_4) | instid1(VALU_DEP_4)
	v_trunc_f64_e32 v[6:7], v[8:9]
	v_cmp_class_f64_e64 vcc_lo, v[8:9], 0x1f8
	s_mov_b32 s14, exec_lo
	v_mov_b32_e32 v8, 0
	v_mov_b32_e32 v9, 0
	v_ldexp_f64 v[10:11], v[6:7], 0xffffffe0
	s_delay_alu instid0(VALU_DEP_1) | instskip(NEXT) | instid1(VALU_DEP_1)
	v_floor_f64_e32 v[10:11], v[10:11]
	v_fma_f64 v[6:7], 0xc1f00000, v[10:11], v[6:7]
	v_cvt_i32_f64_e32 v10, v[10:11]
	s_delay_alu instid0(VALU_DEP_2) | instskip(NEXT) | instid1(VALU_DEP_2)
	v_cvt_u32_f64_e32 v6, v[6:7]
	v_cndmask_b32_e32 v7, -1, v10, vcc_lo
	s_delay_alu instid0(VALU_DEP_2) | instskip(NEXT) | instid1(VALU_DEP_1)
	v_cndmask_b32_e32 v6, -1, v6, vcc_lo
	v_cmpx_lt_i64_e32 -1, v[6:7]
	s_cbranch_execz .LBB22_2435
; %bb.2424:
	v_mov_b32_e32 v8, 0
	v_mov_b32_e32 v9, 0x3ff00000
	s_mov_b32 s15, exec_lo
	v_cmpx_lt_i64_e32 0, v[6:7]
	s_cbranch_execz .LBB22_2434
; %bb.2425:
                                        ; implicit-def: $vgpr8_vgpr9
	s_mov_b32 s0, exec_lo
	v_cmpx_ne_u64_e32 1, v[6:7]
	s_xor_b32 s16, exec_lo, s0
	s_cbranch_execz .LBB22_2431
; %bb.2426:
	v_mov_b32_e32 v8, 0
	v_mov_b32_e32 v9, 0x7ff80000
	s_mov_b32 s17, exec_lo
	v_cmpx_gt_u64_e32 0x201, v[6:7]
	s_cbranch_execz .LBB22_2430
; %bb.2427:
	v_add_f64 v[2:3], v[2:3], v[2:3]
	v_lshlrev_b64 v[6:7], 1, v[6:7]
	v_mov_b32_e32 v10, 0
	v_mov_b32_e32 v11, 0x3ff00000
	s_mov_b64 s[0:1], 2
	s_mov_b32 s18, 0
	s_delay_alu instid0(VALU_DEP_4)
	v_dual_mov_b32 v9, v3 :: v_dual_mov_b32 v8, v2
.LBB22_2428:                            ; =>This Inner Loop Header: Depth=1
	v_cvt_f64_u32_e32 v[18:19], s1
	v_cvt_f64_u32_e32 v[20:21], s0
	s_add_u32 s0, s0, 2
	s_addc_u32 s1, s1, 0
	s_delay_alu instid0(SALU_CYCLE_1) | instskip(SKIP_1) | instid1(VALU_DEP_3)
	v_cmp_ge_u64_e32 vcc_lo, s[0:1], v[6:7]
	s_or_b32 s18, vcc_lo, s18
	v_ldexp_f64 v[18:19], v[18:19], 32
	s_delay_alu instid0(VALU_DEP_1) | instskip(NEXT) | instid1(VALU_DEP_1)
	v_add_f64 v[18:19], v[18:19], v[20:21]
	v_mul_f64 v[10:11], v[10:11], v[18:19]
	v_dual_mov_b32 v19, v9 :: v_dual_mov_b32 v18, v8
	s_delay_alu instid0(VALU_DEP_1)
	v_fma_f64 v[8:9], v[2:3], v[18:19], -v[10:11]
	v_dual_mov_b32 v10, v18 :: v_dual_mov_b32 v11, v19
	s_and_not1_b32 exec_lo, exec_lo, s18
	s_cbranch_execnz .LBB22_2428
; %bb.2429:
	s_or_b32 exec_lo, exec_lo, s18
.LBB22_2430:
	s_delay_alu instid0(SALU_CYCLE_1)
	s_or_b32 exec_lo, exec_lo, s17
                                        ; implicit-def: $vgpr2_vgpr3
.LBB22_2431:
	s_and_not1_saveexec_b32 s0, s16
; %bb.2432:
	v_add_f64 v[8:9], v[2:3], v[2:3]
; %bb.2433:
	s_or_b32 exec_lo, exec_lo, s0
.LBB22_2434:
	s_delay_alu instid0(SALU_CYCLE_1)
	s_or_b32 exec_lo, exec_lo, s15
.LBB22_2435:
	s_delay_alu instid0(SALU_CYCLE_1) | instskip(SKIP_2) | instid1(VALU_DEP_2)
	s_or_b32 exec_lo, exec_lo, s14
	v_add_nc_u32_e32 v2, s9, v16
	v_cmp_gt_i16_e32 vcc_lo, 11, v12
	v_ashrrev_i32_e32 v3, 31, v2
	v_add_co_u32 v6, s0, s6, v2
	s_delay_alu instid0(VALU_DEP_1)
	v_add_co_ci_u32_e64 v7, s0, s7, v3, s0
	s_cbranch_vccnz .LBB22_2442
; %bb.2436:
	v_cmp_lt_i16_e32 vcc_lo, 25, v12
	s_mov_b32 s7, 0
	s_cbranch_vccz .LBB22_2443
; %bb.2437:
	v_cmp_lt_i16_e32 vcc_lo, 28, v12
	s_cbranch_vccz .LBB22_2444
; %bb.2438:
	v_cmp_lt_i16_e32 vcc_lo, 43, v12
	;; [unrolled: 3-line block ×3, first 2 shown]
	s_cbranch_vccz .LBB22_2448
; %bb.2440:
	v_cmp_eq_u16_e32 vcc_lo, 46, v12
	s_mov_b32 s1, 0
	s_cbranch_vccz .LBB22_2451
; %bb.2441:
	global_load_b32 v2, v[6:7], off
	s_mov_b32 s6, 0
	s_mov_b32 s0, -1
	s_waitcnt vmcnt(0)
	v_lshlrev_b32_e32 v2, 16, v2
	s_delay_alu instid0(VALU_DEP_1)
	v_cvt_f64_f32_e32 v[2:3], v2
	s_branch .LBB22_2453
.LBB22_2442:
	s_mov_b32 s1, -1
	s_mov_b32 s0, 0
                                        ; implicit-def: $vgpr2_vgpr3
	s_branch .LBB22_2519
.LBB22_2443:
	s_mov_b32 s1, -1
	s_mov_b32 s0, 0
	s_mov_b32 s6, 0
                                        ; implicit-def: $vgpr2_vgpr3
	s_branch .LBB22_2484
.LBB22_2444:
	s_mov_b32 s1, -1
	s_mov_b32 s0, 0
	s_mov_b32 s6, 0
                                        ; implicit-def: $vgpr2_vgpr3
	s_branch .LBB22_2463
.LBB22_2445:
	s_mov_b32 s1, -1
	s_mov_b32 s0, 0
	s_mov_b32 s6, 0
                                        ; implicit-def: $vgpr2_vgpr3
	s_branch .LBB22_2458
.LBB22_2446:
	s_cbranch_execnz .LBB22_2449
; %bb.2447:
	s_or_b32 s11, s11, exec_lo
                                        ; implicit-def: $vgpr8_vgpr9
	s_cbranch_execz .LBB22_2371
	s_branch .LBB22_2372
.LBB22_2448:
	s_mov_b32 s1, -1
	s_mov_b32 s0, 0
	s_mov_b32 s6, 0
	s_branch .LBB22_2452
.LBB22_2449:
	s_trap 2
	s_sendmsg_rtn_b32 s0, sendmsg(MSG_RTN_GET_DOORBELL)
	s_mov_b32 ttmp2, m0
	s_waitcnt lgkmcnt(0)
	s_and_b32 s0, s0, 0x3ff
	s_delay_alu instid0(SALU_CYCLE_1) | instskip(NEXT) | instid1(SALU_CYCLE_1)
	s_bitset1_b32 s0, 10
	s_mov_b32 m0, s0
	s_sendmsg sendmsg(MSG_INTERRUPT)
	s_mov_b32 m0, ttmp2
.LBB22_2450:                            ; =>This Inner Loop Header: Depth=1
	s_sethalt 5
	s_branch .LBB22_2450
.LBB22_2451:
	s_mov_b32 s6, -1
	s_mov_b32 s0, 0
.LBB22_2452:
                                        ; implicit-def: $vgpr2_vgpr3
.LBB22_2453:
	s_and_b32 vcc_lo, exec_lo, s1
	s_cbranch_vccz .LBB22_2457
; %bb.2454:
	v_cmp_eq_u16_e32 vcc_lo, 44, v12
	s_cbranch_vccz .LBB22_2456
; %bb.2455:
	global_load_u8 v10, v[6:7], off
	s_mov_b32 s6, 0
	s_mov_b32 s0, -1
	s_waitcnt vmcnt(0)
	v_cmp_ne_u32_e32 vcc_lo, 0xff, v10
	v_lshlrev_b32_e32 v2, 23, v10
	s_delay_alu instid0(VALU_DEP_1) | instskip(NEXT) | instid1(VALU_DEP_1)
	v_cvt_f64_f32_e32 v[2:3], v2
	v_cndmask_b32_e32 v3, 0x7ff80000, v3, vcc_lo
	s_delay_alu instid0(VALU_DEP_2) | instskip(SKIP_1) | instid1(VALU_DEP_3)
	v_cndmask_b32_e32 v2, 0x20000000, v2, vcc_lo
	v_cmp_ne_u32_e32 vcc_lo, 0, v10
	v_cndmask_b32_e32 v3, 0x38000000, v3, vcc_lo
	s_delay_alu instid0(VALU_DEP_3)
	v_cndmask_b32_e32 v2, 0, v2, vcc_lo
	s_branch .LBB22_2457
.LBB22_2456:
	s_mov_b32 s6, -1
                                        ; implicit-def: $vgpr2_vgpr3
.LBB22_2457:
	s_mov_b32 s1, 0
.LBB22_2458:
	s_delay_alu instid0(SALU_CYCLE_1)
	s_and_b32 vcc_lo, exec_lo, s1
	s_cbranch_vccz .LBB22_2462
; %bb.2459:
	v_cmp_eq_u16_e32 vcc_lo, 29, v12
	s_cbranch_vccz .LBB22_2461
; %bb.2460:
	global_load_b64 v[2:3], v[6:7], off
	s_mov_b32 s6, 0
	s_mov_b32 s0, -1
	s_mov_b32 s1, 0
	s_waitcnt vmcnt(0)
	v_cvt_f64_u32_e32 v[10:11], v3
	v_cvt_f64_u32_e32 v[2:3], v2
	s_delay_alu instid0(VALU_DEP_2) | instskip(NEXT) | instid1(VALU_DEP_1)
	v_ldexp_f64 v[10:11], v[10:11], 32
	v_add_f64 v[2:3], v[10:11], v[2:3]
	s_branch .LBB22_2463
.LBB22_2461:
	s_mov_b32 s6, -1
                                        ; implicit-def: $vgpr2_vgpr3
.LBB22_2462:
	s_mov_b32 s1, 0
.LBB22_2463:
	s_delay_alu instid0(SALU_CYCLE_1)
	s_and_b32 vcc_lo, exec_lo, s1
	s_cbranch_vccz .LBB22_2483
; %bb.2464:
	v_cmp_gt_i16_e32 vcc_lo, 27, v12
	s_cbranch_vccnz .LBB22_2467
; %bb.2465:
	v_cmp_lt_i16_e32 vcc_lo, 27, v12
	s_cbranch_vccz .LBB22_2468
; %bb.2466:
	global_load_b32 v2, v[6:7], off
	s_mov_b32 s0, 0
	s_waitcnt vmcnt(0)
	v_cvt_f64_u32_e32 v[2:3], v2
	s_branch .LBB22_2469
.LBB22_2467:
	s_mov_b32 s0, -1
                                        ; implicit-def: $vgpr2_vgpr3
	s_branch .LBB22_2472
.LBB22_2468:
	s_mov_b32 s0, -1
                                        ; implicit-def: $vgpr2_vgpr3
.LBB22_2469:
	s_delay_alu instid0(SALU_CYCLE_1)
	s_and_not1_b32 vcc_lo, exec_lo, s0
	s_cbranch_vccnz .LBB22_2471
; %bb.2470:
	global_load_u16 v2, v[6:7], off
	s_waitcnt vmcnt(0)
	v_cvt_f64_u32_e32 v[2:3], v2
.LBB22_2471:
	s_mov_b32 s0, 0
.LBB22_2472:
	s_delay_alu instid0(SALU_CYCLE_1)
	s_and_not1_b32 vcc_lo, exec_lo, s0
	s_cbranch_vccnz .LBB22_2482
; %bb.2473:
	global_load_u8 v10, v[6:7], off
	s_mov_b32 s9, 0
	s_mov_b32 s14, exec_lo
                                        ; implicit-def: $sgpr0_sgpr1
	s_waitcnt vmcnt(0)
	v_cmpx_lt_i16_e32 0x7f, v10
	s_xor_b32 s14, exec_lo, s14
	s_cbranch_execz .LBB22_2477
; %bb.2474:
	s_mov_b32 s15, -1
	s_mov_b32 s9, exec_lo
                                        ; implicit-def: $sgpr0_sgpr1
	v_cmpx_eq_u16_e32 0x80, v10
; %bb.2475:
	s_mov_b32 s1, 0x7ff80000
	s_brev_b32 s0, 4
	s_xor_b32 s15, exec_lo, -1
; %bb.2476:
	s_or_b32 exec_lo, exec_lo, s9
	s_delay_alu instid0(SALU_CYCLE_1)
	s_and_b32 s9, s15, exec_lo
.LBB22_2477:
	s_or_saveexec_b32 s14, s14
	v_dual_mov_b32 v3, s1 :: v_dual_mov_b32 v2, s0
	s_xor_b32 exec_lo, exec_lo, s14
; %bb.2478:
	v_cmp_ne_u16_e32 vcc_lo, 0, v10
	v_mov_b32_e32 v2, 0
	v_mov_b32_e32 v3, 0
	s_and_not1_b32 s0, s9, exec_lo
	s_and_b32 s1, vcc_lo, exec_lo
	s_delay_alu instid0(SALU_CYCLE_1)
	s_or_b32 s9, s0, s1
; %bb.2479:
	s_or_b32 exec_lo, exec_lo, s14
	s_and_saveexec_b32 s0, s9
	s_cbranch_execz .LBB22_2481
; %bb.2480:
	v_and_b32_e32 v2, 0xffff, v10
	v_lshlrev_b32_e32 v10, 24, v10
	s_delay_alu instid0(VALU_DEP_2) | instskip(NEXT) | instid1(VALU_DEP_2)
	v_and_b32_e32 v3, 7, v2
	v_and_b32_e32 v10, 0x80000000, v10
	s_delay_alu instid0(VALU_DEP_2) | instskip(NEXT) | instid1(VALU_DEP_1)
	v_clz_i32_u32_e32 v11, v3
	v_min_u32_e32 v11, 32, v11
	s_delay_alu instid0(VALU_DEP_1) | instskip(SKIP_1) | instid1(VALU_DEP_2)
	v_subrev_nc_u32_e32 v16, 28, v11
	v_sub_nc_u32_e32 v11, 29, v11
	v_lshlrev_b32_e32 v16, v16, v2
	v_bfe_u32 v2, v2, 3, 4
	s_delay_alu instid0(VALU_DEP_2) | instskip(NEXT) | instid1(VALU_DEP_2)
	v_and_b32_e32 v16, 7, v16
	v_cmp_eq_u32_e32 vcc_lo, 0, v2
	s_delay_alu instid0(VALU_DEP_2) | instskip(NEXT) | instid1(VALU_DEP_1)
	v_dual_cndmask_b32 v2, v2, v11 :: v_dual_cndmask_b32 v3, v3, v16
	v_lshl_add_u32 v2, v2, 23, 0x3b800000
	s_delay_alu instid0(VALU_DEP_2) | instskip(NEXT) | instid1(VALU_DEP_1)
	v_lshlrev_b32_e32 v3, 20, v3
	v_or3_b32 v2, v10, v2, v3
	s_delay_alu instid0(VALU_DEP_1)
	v_cvt_f64_f32_e32 v[2:3], v2
.LBB22_2481:
	s_or_b32 exec_lo, exec_lo, s0
.LBB22_2482:
	s_mov_b32 s0, -1
.LBB22_2483:
	s_mov_b32 s1, 0
.LBB22_2484:
	s_delay_alu instid0(SALU_CYCLE_1)
	s_and_b32 vcc_lo, exec_lo, s1
	s_cbranch_vccz .LBB22_2515
; %bb.2485:
	v_cmp_lt_i16_e32 vcc_lo, 22, v12
	s_cbranch_vccz .LBB22_2497
; %bb.2486:
	v_cmp_gt_i16_e32 vcc_lo, 24, v12
	s_cbranch_vccnz .LBB22_2498
; %bb.2487:
	v_cmp_lt_i16_e32 vcc_lo, 24, v12
	s_cbranch_vccz .LBB22_2499
; %bb.2488:
	global_load_u8 v10, v[6:7], off
	s_mov_b32 s9, exec_lo
                                        ; implicit-def: $sgpr0_sgpr1
	s_waitcnt vmcnt(0)
	v_cmpx_lt_i16_e32 0x7f, v10
	s_xor_b32 s9, exec_lo, s9
	s_cbranch_execz .LBB22_2492
; %bb.2489:
	s_mov_b32 s14, -1
	s_mov_b32 s7, exec_lo
                                        ; implicit-def: $sgpr0_sgpr1
	v_cmpx_eq_u16_e32 0x80, v10
; %bb.2490:
	s_mov_b32 s1, 0x7ff80000
	s_brev_b32 s0, 4
	s_xor_b32 s14, exec_lo, -1
; %bb.2491:
	s_or_b32 exec_lo, exec_lo, s7
	s_delay_alu instid0(SALU_CYCLE_1)
	s_and_b32 s7, s14, exec_lo
.LBB22_2492:
	s_or_saveexec_b32 s9, s9
	v_dual_mov_b32 v3, s1 :: v_dual_mov_b32 v2, s0
	s_xor_b32 exec_lo, exec_lo, s9
; %bb.2493:
	v_cmp_ne_u16_e32 vcc_lo, 0, v10
	v_mov_b32_e32 v2, 0
	v_mov_b32_e32 v3, 0
	s_and_not1_b32 s0, s7, exec_lo
	s_and_b32 s1, vcc_lo, exec_lo
	s_delay_alu instid0(SALU_CYCLE_1)
	s_or_b32 s7, s0, s1
; %bb.2494:
	s_or_b32 exec_lo, exec_lo, s9
	s_and_saveexec_b32 s0, s7
	s_cbranch_execz .LBB22_2496
; %bb.2495:
	v_and_b32_e32 v2, 0xffff, v10
	v_lshlrev_b32_e32 v10, 24, v10
	s_delay_alu instid0(VALU_DEP_2) | instskip(NEXT) | instid1(VALU_DEP_2)
	v_and_b32_e32 v3, 3, v2
	v_and_b32_e32 v10, 0x80000000, v10
	s_delay_alu instid0(VALU_DEP_2) | instskip(NEXT) | instid1(VALU_DEP_1)
	v_clz_i32_u32_e32 v11, v3
	v_min_u32_e32 v11, 32, v11
	s_delay_alu instid0(VALU_DEP_1) | instskip(SKIP_1) | instid1(VALU_DEP_2)
	v_subrev_nc_u32_e32 v16, 29, v11
	v_sub_nc_u32_e32 v11, 30, v11
	v_lshlrev_b32_e32 v16, v16, v2
	v_bfe_u32 v2, v2, 2, 5
	s_delay_alu instid0(VALU_DEP_2) | instskip(NEXT) | instid1(VALU_DEP_2)
	v_and_b32_e32 v16, 3, v16
	v_cmp_eq_u32_e32 vcc_lo, 0, v2
	s_delay_alu instid0(VALU_DEP_2) | instskip(NEXT) | instid1(VALU_DEP_1)
	v_dual_cndmask_b32 v2, v2, v11 :: v_dual_cndmask_b32 v3, v3, v16
	v_lshl_add_u32 v2, v2, 23, 0x37800000
	s_delay_alu instid0(VALU_DEP_2) | instskip(NEXT) | instid1(VALU_DEP_1)
	v_lshlrev_b32_e32 v3, 21, v3
	v_or3_b32 v2, v10, v2, v3
	s_delay_alu instid0(VALU_DEP_1)
	v_cvt_f64_f32_e32 v[2:3], v2
.LBB22_2496:
	s_or_b32 exec_lo, exec_lo, s0
	s_mov_b32 s0, 0
	s_branch .LBB22_2500
.LBB22_2497:
	s_mov_b32 s1, -1
                                        ; implicit-def: $vgpr2_vgpr3
	s_branch .LBB22_2506
.LBB22_2498:
	s_mov_b32 s0, -1
                                        ; implicit-def: $vgpr2_vgpr3
	s_branch .LBB22_2503
.LBB22_2499:
	s_mov_b32 s0, -1
                                        ; implicit-def: $vgpr2_vgpr3
.LBB22_2500:
	s_delay_alu instid0(SALU_CYCLE_1)
	s_and_b32 vcc_lo, exec_lo, s0
	s_cbranch_vccz .LBB22_2502
; %bb.2501:
	global_load_u8 v2, v[6:7], off
	s_waitcnt vmcnt(0)
	v_lshlrev_b32_e32 v2, 24, v2
	s_delay_alu instid0(VALU_DEP_1) | instskip(NEXT) | instid1(VALU_DEP_1)
	v_and_b32_e32 v3, 0x7f000000, v2
	v_clz_i32_u32_e32 v10, v3
	v_cmp_ne_u32_e32 vcc_lo, 0, v3
	v_add_nc_u32_e32 v16, 0x1000000, v3
	s_delay_alu instid0(VALU_DEP_3) | instskip(NEXT) | instid1(VALU_DEP_1)
	v_min_u32_e32 v10, 32, v10
	v_sub_nc_u32_e64 v10, v10, 4 clamp
	s_delay_alu instid0(VALU_DEP_1) | instskip(SKIP_1) | instid1(VALU_DEP_2)
	v_lshlrev_b32_e32 v11, v10, v3
	v_lshlrev_b32_e32 v10, 23, v10
	v_lshrrev_b32_e32 v11, 4, v11
	s_delay_alu instid0(VALU_DEP_1) | instskip(SKIP_1) | instid1(VALU_DEP_2)
	v_sub_nc_u32_e32 v10, v11, v10
	v_ashrrev_i32_e32 v11, 8, v16
	v_add_nc_u32_e32 v10, 0x3c000000, v10
	s_delay_alu instid0(VALU_DEP_1) | instskip(NEXT) | instid1(VALU_DEP_1)
	v_and_or_b32 v10, 0x7f800000, v11, v10
	v_cndmask_b32_e32 v3, 0, v10, vcc_lo
	s_delay_alu instid0(VALU_DEP_1) | instskip(NEXT) | instid1(VALU_DEP_1)
	v_and_or_b32 v2, 0x80000000, v2, v3
	v_cvt_f64_f32_e32 v[2:3], v2
.LBB22_2502:
	s_mov_b32 s0, 0
.LBB22_2503:
	s_delay_alu instid0(SALU_CYCLE_1)
	s_and_not1_b32 vcc_lo, exec_lo, s0
	s_cbranch_vccnz .LBB22_2505
; %bb.2504:
	global_load_u8 v2, v[6:7], off
	s_waitcnt vmcnt(0)
	v_lshlrev_b32_e32 v3, 25, v2
	v_lshlrev_b16 v2, 8, v2
	s_delay_alu instid0(VALU_DEP_2) | instskip(NEXT) | instid1(VALU_DEP_2)
	v_lshrrev_b32_e32 v10, 4, v3
	v_and_or_b32 v11, 0x7f00, v2, 0.5
	v_cmp_gt_u32_e32 vcc_lo, 0x8000000, v3
	v_bfe_i32 v2, v2, 0, 16
	s_delay_alu instid0(VALU_DEP_4) | instskip(NEXT) | instid1(VALU_DEP_1)
	v_or_b32_e32 v10, 0x70000000, v10
	v_dual_add_f32 v11, -0.5, v11 :: v_dual_mul_f32 v10, 0x7800000, v10
	s_delay_alu instid0(VALU_DEP_1) | instskip(NEXT) | instid1(VALU_DEP_1)
	v_cndmask_b32_e32 v3, v10, v11, vcc_lo
	v_and_or_b32 v2, 0x80000000, v2, v3
	s_delay_alu instid0(VALU_DEP_1)
	v_cvt_f64_f32_e32 v[2:3], v2
.LBB22_2505:
	s_mov_b32 s1, 0
	s_mov_b32 s0, -1
.LBB22_2506:
	s_and_not1_b32 vcc_lo, exec_lo, s1
	s_mov_b32 s7, 0
	s_cbranch_vccnz .LBB22_2515
; %bb.2507:
	v_cmp_lt_i16_e32 vcc_lo, 14, v12
	s_cbranch_vccz .LBB22_2510
; %bb.2508:
	v_cmp_eq_u16_e32 vcc_lo, 15, v12
	s_cbranch_vccz .LBB22_2511
; %bb.2509:
	global_load_u16 v2, v[6:7], off
	s_mov_b32 s6, 0
	s_mov_b32 s0, -1
	s_waitcnt vmcnt(0)
	v_lshlrev_b32_e32 v2, 16, v2
	s_delay_alu instid0(VALU_DEP_1)
	v_cvt_f64_f32_e32 v[2:3], v2
	s_branch .LBB22_2512
.LBB22_2510:
	s_mov_b32 s1, -1
                                        ; implicit-def: $vgpr2_vgpr3
	s_branch .LBB22_2513
.LBB22_2511:
	s_mov_b32 s6, -1
                                        ; implicit-def: $vgpr2_vgpr3
.LBB22_2512:
	s_mov_b32 s1, 0
.LBB22_2513:
	s_delay_alu instid0(SALU_CYCLE_1)
	s_and_b32 vcc_lo, exec_lo, s1
	s_cbranch_vccz .LBB22_2515
; %bb.2514:
	v_cmp_ne_u16_e64 s6, 11, v12
	s_mov_b32 s7, -1
                                        ; implicit-def: $vgpr2_vgpr3
.LBB22_2515:
	s_delay_alu instid0(VALU_DEP_1)
	s_and_b32 vcc_lo, exec_lo, s6
	s_cbranch_vccnz .LBB22_2580
; %bb.2516:
	s_and_not1_b32 vcc_lo, exec_lo, s7
	s_cbranch_vccnz .LBB22_2518
.LBB22_2517:
	global_load_u8 v2, v[6:7], off
	s_mov_b32 s0, -1
	s_waitcnt vmcnt(0)
	v_cmp_ne_u16_e32 vcc_lo, 0, v2
	v_mov_b32_e32 v2, 0
	v_cndmask_b32_e64 v3, 0, 0x3ff00000, vcc_lo
.LBB22_2518:
	s_mov_b32 s1, 0
.LBB22_2519:
	s_delay_alu instid0(SALU_CYCLE_1)
	s_and_b32 vcc_lo, exec_lo, s1
	s_cbranch_vccz .LBB22_2568
; %bb.2520:
	v_cmp_gt_i16_e32 vcc_lo, 5, v12
	s_cbranch_vccnz .LBB22_2525
; %bb.2521:
	v_cmp_gt_i16_e32 vcc_lo, 8, v12
	s_cbranch_vccnz .LBB22_2526
	;; [unrolled: 3-line block ×3, first 2 shown]
; %bb.2523:
	v_cmp_lt_i16_e32 vcc_lo, 9, v12
	s_cbranch_vccz .LBB22_2528
; %bb.2524:
	global_load_b64 v[2:3], v[6:7], off
	s_mov_b32 s0, 0
	s_branch .LBB22_2529
.LBB22_2525:
	s_mov_b32 s0, -1
                                        ; implicit-def: $vgpr2_vgpr3
	s_branch .LBB22_2547
.LBB22_2526:
	s_mov_b32 s0, -1
                                        ; implicit-def: $vgpr2_vgpr3
	s_branch .LBB22_2535
.LBB22_2527:
	s_mov_b32 s0, -1
                                        ; implicit-def: $vgpr2_vgpr3
	s_branch .LBB22_2532
.LBB22_2528:
	s_mov_b32 s0, -1
                                        ; implicit-def: $vgpr2_vgpr3
.LBB22_2529:
	s_delay_alu instid0(SALU_CYCLE_1)
	s_and_not1_b32 vcc_lo, exec_lo, s0
	s_cbranch_vccnz .LBB22_2531
; %bb.2530:
	global_load_b32 v2, v[6:7], off
	s_waitcnt vmcnt(0)
	v_cvt_f64_f32_e32 v[2:3], v2
.LBB22_2531:
	s_mov_b32 s0, 0
.LBB22_2532:
	s_delay_alu instid0(SALU_CYCLE_1)
	s_and_not1_b32 vcc_lo, exec_lo, s0
	s_cbranch_vccnz .LBB22_2534
; %bb.2533:
	global_load_b32 v2, v[6:7], off
	s_waitcnt vmcnt(0)
	v_cvt_f32_f16_e32 v2, v2
	s_delay_alu instid0(VALU_DEP_1)
	v_cvt_f64_f32_e32 v[2:3], v2
.LBB22_2534:
	s_mov_b32 s0, 0
.LBB22_2535:
	s_delay_alu instid0(SALU_CYCLE_1)
	s_and_not1_b32 vcc_lo, exec_lo, s0
	s_cbranch_vccnz .LBB22_2546
; %bb.2536:
	v_cmp_gt_i16_e32 vcc_lo, 6, v12
	s_cbranch_vccnz .LBB22_2539
; %bb.2537:
	v_cmp_lt_i16_e32 vcc_lo, 6, v12
	s_cbranch_vccz .LBB22_2540
; %bb.2538:
	global_load_b64 v[2:3], v[6:7], off
	s_mov_b32 s0, 0
	s_branch .LBB22_2541
.LBB22_2539:
	s_mov_b32 s0, -1
                                        ; implicit-def: $vgpr2_vgpr3
	s_branch .LBB22_2544
.LBB22_2540:
	s_mov_b32 s0, -1
                                        ; implicit-def: $vgpr2_vgpr3
.LBB22_2541:
	s_delay_alu instid0(SALU_CYCLE_1)
	s_and_not1_b32 vcc_lo, exec_lo, s0
	s_cbranch_vccnz .LBB22_2543
; %bb.2542:
	global_load_b32 v2, v[6:7], off
	s_waitcnt vmcnt(0)
	v_cvt_f64_f32_e32 v[2:3], v2
.LBB22_2543:
	s_mov_b32 s0, 0
.LBB22_2544:
	s_delay_alu instid0(SALU_CYCLE_1)
	s_and_not1_b32 vcc_lo, exec_lo, s0
	s_cbranch_vccnz .LBB22_2546
; %bb.2545:
	global_load_u16 v2, v[6:7], off
	s_waitcnt vmcnt(0)
	v_cvt_f32_f16_e32 v2, v2
	s_delay_alu instid0(VALU_DEP_1)
	v_cvt_f64_f32_e32 v[2:3], v2
.LBB22_2546:
	s_mov_b32 s0, 0
.LBB22_2547:
	s_delay_alu instid0(SALU_CYCLE_1)
	s_and_not1_b32 vcc_lo, exec_lo, s0
	s_cbranch_vccnz .LBB22_2567
; %bb.2548:
	v_cmp_gt_i16_e32 vcc_lo, 2, v12
	s_cbranch_vccnz .LBB22_2552
; %bb.2549:
	v_cmp_gt_i16_e32 vcc_lo, 3, v12
	s_cbranch_vccnz .LBB22_2553
; %bb.2550:
	v_cmp_lt_i16_e32 vcc_lo, 3, v12
	s_cbranch_vccz .LBB22_2554
; %bb.2551:
	global_load_b64 v[2:3], v[6:7], off
	s_mov_b32 s0, 0
	s_waitcnt vmcnt(0)
	v_cvt_f64_i32_e32 v[10:11], v3
	v_cvt_f64_u32_e32 v[2:3], v2
	s_delay_alu instid0(VALU_DEP_2) | instskip(NEXT) | instid1(VALU_DEP_1)
	v_ldexp_f64 v[10:11], v[10:11], 32
	v_add_f64 v[2:3], v[10:11], v[2:3]
	s_branch .LBB22_2555
.LBB22_2552:
	s_mov_b32 s0, -1
                                        ; implicit-def: $vgpr2_vgpr3
	s_branch .LBB22_2561
.LBB22_2553:
	s_mov_b32 s0, -1
                                        ; implicit-def: $vgpr2_vgpr3
	s_branch .LBB22_2558
.LBB22_2554:
	s_mov_b32 s0, -1
                                        ; implicit-def: $vgpr2_vgpr3
.LBB22_2555:
	s_delay_alu instid0(SALU_CYCLE_1)
	s_and_not1_b32 vcc_lo, exec_lo, s0
	s_cbranch_vccnz .LBB22_2557
; %bb.2556:
	global_load_b32 v2, v[6:7], off
	s_waitcnt vmcnt(0)
	v_cvt_f64_i32_e32 v[2:3], v2
.LBB22_2557:
	s_mov_b32 s0, 0
.LBB22_2558:
	s_delay_alu instid0(SALU_CYCLE_1)
	s_and_not1_b32 vcc_lo, exec_lo, s0
	s_cbranch_vccnz .LBB22_2560
; %bb.2559:
	global_load_i16 v2, v[6:7], off
	s_waitcnt vmcnt(0)
	v_cvt_f64_i32_e32 v[2:3], v2
.LBB22_2560:
	s_mov_b32 s0, 0
.LBB22_2561:
	s_delay_alu instid0(SALU_CYCLE_1)
	s_and_not1_b32 vcc_lo, exec_lo, s0
	s_cbranch_vccnz .LBB22_2567
; %bb.2562:
	v_cmp_lt_i16_e32 vcc_lo, 0, v12
	s_mov_b32 s0, 0
	s_cbranch_vccz .LBB22_2564
; %bb.2563:
	global_load_i8 v2, v[6:7], off
	s_waitcnt vmcnt(0)
	v_cvt_f64_i32_e32 v[2:3], v2
	s_branch .LBB22_2565
.LBB22_2564:
	s_mov_b32 s0, -1
                                        ; implicit-def: $vgpr2_vgpr3
.LBB22_2565:
	s_delay_alu instid0(SALU_CYCLE_1)
	s_and_not1_b32 vcc_lo, exec_lo, s0
	s_cbranch_vccnz .LBB22_2567
; %bb.2566:
	global_load_u8 v2, v[6:7], off
	s_waitcnt vmcnt(0)
	v_cvt_f64_u32_e32 v[2:3], v2
.LBB22_2567:
	s_mov_b32 s0, -1
.LBB22_2568:
	s_delay_alu instid0(SALU_CYCLE_1)
	s_and_not1_b32 vcc_lo, exec_lo, s0
	s_cbranch_vccnz .LBB22_2793
; %bb.2569:
	v_add_nc_u32_e32 v6, s10, v17
	v_cmp_gt_i16_e32 vcc_lo, 11, v13
	s_delay_alu instid0(VALU_DEP_2) | instskip(SKIP_1) | instid1(VALU_DEP_1)
	v_ashrrev_i32_e32 v7, 31, v6
	v_add_co_u32 v6, s0, s2, v6
	v_add_co_ci_u32_e64 v7, s0, s3, v7, s0
	s_cbranch_vccnz .LBB22_2576
; %bb.2570:
	v_cmp_lt_i16_e32 vcc_lo, 25, v13
	s_mov_b32 s3, 0
	s_cbranch_vccz .LBB22_2577
; %bb.2571:
	v_cmp_lt_i16_e32 vcc_lo, 28, v13
	s_cbranch_vccz .LBB22_2578
; %bb.2572:
	v_cmp_lt_i16_e32 vcc_lo, 43, v13
	;; [unrolled: 3-line block ×3, first 2 shown]
	s_cbranch_vccz .LBB22_2582
; %bb.2574:
	v_cmp_eq_u16_e32 vcc_lo, 46, v13
	s_mov_b32 s1, 0
	s_cbranch_vccz .LBB22_2585
; %bb.2575:
	global_load_b32 v10, v[6:7], off
	s_mov_b32 s2, 0
	s_mov_b32 s0, -1
	s_waitcnt vmcnt(0)
	v_lshlrev_b32_e32 v10, 16, v10
	s_delay_alu instid0(VALU_DEP_1)
	v_cvt_f64_f32_e32 v[10:11], v10
	s_branch .LBB22_2587
.LBB22_2576:
	s_mov_b32 s1, -1
	s_mov_b32 s0, 0
                                        ; implicit-def: $vgpr10_vgpr11
	s_branch .LBB22_2653
.LBB22_2577:
	s_mov_b32 s1, -1
	s_mov_b32 s0, 0
	s_mov_b32 s2, 0
                                        ; implicit-def: $vgpr10_vgpr11
	s_branch .LBB22_2618
.LBB22_2578:
	s_mov_b32 s1, -1
	s_mov_b32 s0, 0
	s_mov_b32 s2, 0
                                        ; implicit-def: $vgpr10_vgpr11
	s_branch .LBB22_2597
.LBB22_2579:
	s_mov_b32 s1, -1
	s_mov_b32 s0, 0
	s_mov_b32 s2, 0
                                        ; implicit-def: $vgpr10_vgpr11
	s_branch .LBB22_2592
.LBB22_2580:
	s_cbranch_execnz .LBB22_2583
; %bb.2581:
	s_or_b32 s11, s11, exec_lo
                                        ; implicit-def: $vgpr2_vgpr3
	s_cbranch_execz .LBB22_2517
	s_branch .LBB22_2518
.LBB22_2582:
	s_mov_b32 s1, -1
	s_mov_b32 s0, 0
	s_mov_b32 s2, 0
	s_branch .LBB22_2586
.LBB22_2583:
	s_trap 2
	s_sendmsg_rtn_b32 s0, sendmsg(MSG_RTN_GET_DOORBELL)
	s_mov_b32 ttmp2, m0
	s_waitcnt lgkmcnt(0)
	s_and_b32 s0, s0, 0x3ff
	s_delay_alu instid0(SALU_CYCLE_1) | instskip(NEXT) | instid1(SALU_CYCLE_1)
	s_bitset1_b32 s0, 10
	s_mov_b32 m0, s0
	s_sendmsg sendmsg(MSG_INTERRUPT)
	s_mov_b32 m0, ttmp2
.LBB22_2584:                            ; =>This Inner Loop Header: Depth=1
	s_sethalt 5
	s_branch .LBB22_2584
.LBB22_2585:
	s_mov_b32 s2, -1
	s_mov_b32 s0, 0
.LBB22_2586:
                                        ; implicit-def: $vgpr10_vgpr11
.LBB22_2587:
	s_and_b32 vcc_lo, exec_lo, s1
	s_cbranch_vccz .LBB22_2591
; %bb.2588:
	v_cmp_eq_u16_e32 vcc_lo, 44, v13
	s_cbranch_vccz .LBB22_2590
; %bb.2589:
	global_load_u8 v12, v[6:7], off
	s_mov_b32 s2, 0
	s_mov_b32 s0, -1
	s_waitcnt vmcnt(0)
	v_cmp_ne_u32_e32 vcc_lo, 0xff, v12
	v_lshlrev_b32_e32 v10, 23, v12
	s_delay_alu instid0(VALU_DEP_1) | instskip(NEXT) | instid1(VALU_DEP_1)
	v_cvt_f64_f32_e32 v[10:11], v10
	v_cndmask_b32_e32 v11, 0x7ff80000, v11, vcc_lo
	s_delay_alu instid0(VALU_DEP_2) | instskip(SKIP_1) | instid1(VALU_DEP_3)
	v_cndmask_b32_e32 v10, 0x20000000, v10, vcc_lo
	v_cmp_ne_u32_e32 vcc_lo, 0, v12
	v_cndmask_b32_e32 v11, 0x38000000, v11, vcc_lo
	s_delay_alu instid0(VALU_DEP_3)
	v_cndmask_b32_e32 v10, 0, v10, vcc_lo
	s_branch .LBB22_2591
.LBB22_2590:
	s_mov_b32 s2, -1
                                        ; implicit-def: $vgpr10_vgpr11
.LBB22_2591:
	s_mov_b32 s1, 0
.LBB22_2592:
	s_delay_alu instid0(SALU_CYCLE_1)
	s_and_b32 vcc_lo, exec_lo, s1
	s_cbranch_vccz .LBB22_2596
; %bb.2593:
	v_cmp_eq_u16_e32 vcc_lo, 29, v13
	s_cbranch_vccz .LBB22_2595
; %bb.2594:
	global_load_b64 v[10:11], v[6:7], off
	s_mov_b32 s2, 0
	s_mov_b32 s0, -1
	s_mov_b32 s1, 0
	s_waitcnt vmcnt(0)
	v_cvt_f64_u32_e32 v[11:12], v11
	v_cvt_f64_u32_e32 v[16:17], v10
	s_delay_alu instid0(VALU_DEP_2) | instskip(NEXT) | instid1(VALU_DEP_1)
	v_ldexp_f64 v[11:12], v[11:12], 32
	v_add_f64 v[10:11], v[11:12], v[16:17]
	s_branch .LBB22_2597
.LBB22_2595:
	s_mov_b32 s2, -1
                                        ; implicit-def: $vgpr10_vgpr11
.LBB22_2596:
	s_mov_b32 s1, 0
.LBB22_2597:
	s_delay_alu instid0(SALU_CYCLE_1)
	s_and_b32 vcc_lo, exec_lo, s1
	s_cbranch_vccz .LBB22_2617
; %bb.2598:
	v_cmp_gt_i16_e32 vcc_lo, 27, v13
	s_cbranch_vccnz .LBB22_2601
; %bb.2599:
	v_cmp_lt_i16_e32 vcc_lo, 27, v13
	s_cbranch_vccz .LBB22_2602
; %bb.2600:
	global_load_b32 v10, v[6:7], off
	s_mov_b32 s0, 0
	s_waitcnt vmcnt(0)
	v_cvt_f64_u32_e32 v[10:11], v10
	s_branch .LBB22_2603
.LBB22_2601:
	s_mov_b32 s0, -1
                                        ; implicit-def: $vgpr10_vgpr11
	s_branch .LBB22_2606
.LBB22_2602:
	s_mov_b32 s0, -1
                                        ; implicit-def: $vgpr10_vgpr11
.LBB22_2603:
	s_delay_alu instid0(SALU_CYCLE_1)
	s_and_not1_b32 vcc_lo, exec_lo, s0
	s_cbranch_vccnz .LBB22_2605
; %bb.2604:
	global_load_u16 v10, v[6:7], off
	s_waitcnt vmcnt(0)
	v_cvt_f64_u32_e32 v[10:11], v10
.LBB22_2605:
	s_mov_b32 s0, 0
.LBB22_2606:
	s_delay_alu instid0(SALU_CYCLE_1)
	s_and_not1_b32 vcc_lo, exec_lo, s0
	s_cbranch_vccnz .LBB22_2616
; %bb.2607:
	global_load_u8 v12, v[6:7], off
	s_mov_b32 s6, 0
	s_mov_b32 s7, exec_lo
                                        ; implicit-def: $sgpr0_sgpr1
	s_waitcnt vmcnt(0)
	v_cmpx_lt_i16_e32 0x7f, v12
	s_xor_b32 s7, exec_lo, s7
	s_cbranch_execz .LBB22_2611
; %bb.2608:
	s_mov_b32 s9, -1
	s_mov_b32 s6, exec_lo
                                        ; implicit-def: $sgpr0_sgpr1
	v_cmpx_eq_u16_e32 0x80, v12
; %bb.2609:
	s_mov_b32 s1, 0x7ff80000
	s_brev_b32 s0, 4
	s_xor_b32 s9, exec_lo, -1
; %bb.2610:
	s_or_b32 exec_lo, exec_lo, s6
	s_delay_alu instid0(SALU_CYCLE_1)
	s_and_b32 s6, s9, exec_lo
.LBB22_2611:
	s_or_saveexec_b32 s7, s7
	v_dual_mov_b32 v11, s1 :: v_dual_mov_b32 v10, s0
	s_xor_b32 exec_lo, exec_lo, s7
; %bb.2612:
	v_cmp_ne_u16_e32 vcc_lo, 0, v12
	v_mov_b32_e32 v10, 0
	v_mov_b32_e32 v11, 0
	s_and_not1_b32 s0, s6, exec_lo
	s_and_b32 s1, vcc_lo, exec_lo
	s_delay_alu instid0(SALU_CYCLE_1)
	s_or_b32 s6, s0, s1
; %bb.2613:
	s_or_b32 exec_lo, exec_lo, s7
	s_and_saveexec_b32 s0, s6
	s_cbranch_execz .LBB22_2615
; %bb.2614:
	v_and_b32_e32 v10, 0xffff, v12
	v_lshlrev_b32_e32 v12, 24, v12
	s_delay_alu instid0(VALU_DEP_2) | instskip(NEXT) | instid1(VALU_DEP_2)
	v_and_b32_e32 v11, 7, v10
	v_and_b32_e32 v12, 0x80000000, v12
	s_delay_alu instid0(VALU_DEP_2) | instskip(NEXT) | instid1(VALU_DEP_1)
	v_clz_i32_u32_e32 v16, v11
	v_min_u32_e32 v16, 32, v16
	s_delay_alu instid0(VALU_DEP_1) | instskip(SKIP_1) | instid1(VALU_DEP_2)
	v_subrev_nc_u32_e32 v17, 28, v16
	v_sub_nc_u32_e32 v16, 29, v16
	v_lshlrev_b32_e32 v17, v17, v10
	v_bfe_u32 v10, v10, 3, 4
	s_delay_alu instid0(VALU_DEP_2) | instskip(NEXT) | instid1(VALU_DEP_2)
	v_and_b32_e32 v17, 7, v17
	v_cmp_eq_u32_e32 vcc_lo, 0, v10
	s_delay_alu instid0(VALU_DEP_2) | instskip(NEXT) | instid1(VALU_DEP_1)
	v_dual_cndmask_b32 v10, v10, v16 :: v_dual_cndmask_b32 v11, v11, v17
	v_lshl_add_u32 v10, v10, 23, 0x3b800000
	s_delay_alu instid0(VALU_DEP_2) | instskip(NEXT) | instid1(VALU_DEP_1)
	v_lshlrev_b32_e32 v11, 20, v11
	v_or3_b32 v10, v12, v10, v11
	s_delay_alu instid0(VALU_DEP_1)
	v_cvt_f64_f32_e32 v[10:11], v10
.LBB22_2615:
	s_or_b32 exec_lo, exec_lo, s0
.LBB22_2616:
	s_mov_b32 s0, -1
.LBB22_2617:
	s_mov_b32 s1, 0
.LBB22_2618:
	s_delay_alu instid0(SALU_CYCLE_1)
	s_and_b32 vcc_lo, exec_lo, s1
	s_cbranch_vccz .LBB22_2649
; %bb.2619:
	v_cmp_lt_i16_e32 vcc_lo, 22, v13
	s_cbranch_vccz .LBB22_2631
; %bb.2620:
	v_cmp_gt_i16_e32 vcc_lo, 24, v13
	s_cbranch_vccnz .LBB22_2632
; %bb.2621:
	v_cmp_lt_i16_e32 vcc_lo, 24, v13
	s_cbranch_vccz .LBB22_2633
; %bb.2622:
	global_load_u8 v12, v[6:7], off
	s_mov_b32 s6, exec_lo
                                        ; implicit-def: $sgpr0_sgpr1
	s_waitcnt vmcnt(0)
	v_cmpx_lt_i16_e32 0x7f, v12
	s_xor_b32 s6, exec_lo, s6
	s_cbranch_execz .LBB22_2626
; %bb.2623:
	s_mov_b32 s7, -1
	s_mov_b32 s3, exec_lo
                                        ; implicit-def: $sgpr0_sgpr1
	v_cmpx_eq_u16_e32 0x80, v12
; %bb.2624:
	s_mov_b32 s1, 0x7ff80000
	s_brev_b32 s0, 4
	s_xor_b32 s7, exec_lo, -1
; %bb.2625:
	s_or_b32 exec_lo, exec_lo, s3
	s_delay_alu instid0(SALU_CYCLE_1)
	s_and_b32 s3, s7, exec_lo
.LBB22_2626:
	s_or_saveexec_b32 s6, s6
	v_dual_mov_b32 v11, s1 :: v_dual_mov_b32 v10, s0
	s_xor_b32 exec_lo, exec_lo, s6
; %bb.2627:
	v_cmp_ne_u16_e32 vcc_lo, 0, v12
	v_mov_b32_e32 v10, 0
	v_mov_b32_e32 v11, 0
	s_and_not1_b32 s0, s3, exec_lo
	s_and_b32 s1, vcc_lo, exec_lo
	s_delay_alu instid0(SALU_CYCLE_1)
	s_or_b32 s3, s0, s1
; %bb.2628:
	s_or_b32 exec_lo, exec_lo, s6
	s_and_saveexec_b32 s0, s3
	s_cbranch_execz .LBB22_2630
; %bb.2629:
	v_and_b32_e32 v10, 0xffff, v12
	v_lshlrev_b32_e32 v12, 24, v12
	s_delay_alu instid0(VALU_DEP_2) | instskip(NEXT) | instid1(VALU_DEP_2)
	v_and_b32_e32 v11, 3, v10
	v_and_b32_e32 v12, 0x80000000, v12
	s_delay_alu instid0(VALU_DEP_2) | instskip(NEXT) | instid1(VALU_DEP_1)
	v_clz_i32_u32_e32 v16, v11
	v_min_u32_e32 v16, 32, v16
	s_delay_alu instid0(VALU_DEP_1) | instskip(SKIP_1) | instid1(VALU_DEP_2)
	v_subrev_nc_u32_e32 v17, 29, v16
	v_sub_nc_u32_e32 v16, 30, v16
	v_lshlrev_b32_e32 v17, v17, v10
	v_bfe_u32 v10, v10, 2, 5
	s_delay_alu instid0(VALU_DEP_2) | instskip(NEXT) | instid1(VALU_DEP_2)
	v_and_b32_e32 v17, 3, v17
	v_cmp_eq_u32_e32 vcc_lo, 0, v10
	s_delay_alu instid0(VALU_DEP_2) | instskip(NEXT) | instid1(VALU_DEP_1)
	v_dual_cndmask_b32 v10, v10, v16 :: v_dual_cndmask_b32 v11, v11, v17
	v_lshl_add_u32 v10, v10, 23, 0x37800000
	s_delay_alu instid0(VALU_DEP_2) | instskip(NEXT) | instid1(VALU_DEP_1)
	v_lshlrev_b32_e32 v11, 21, v11
	v_or3_b32 v10, v12, v10, v11
	s_delay_alu instid0(VALU_DEP_1)
	v_cvt_f64_f32_e32 v[10:11], v10
.LBB22_2630:
	s_or_b32 exec_lo, exec_lo, s0
	s_mov_b32 s0, 0
	s_branch .LBB22_2634
.LBB22_2631:
	s_mov_b32 s1, -1
                                        ; implicit-def: $vgpr10_vgpr11
	s_branch .LBB22_2640
.LBB22_2632:
	s_mov_b32 s0, -1
                                        ; implicit-def: $vgpr10_vgpr11
	s_branch .LBB22_2637
.LBB22_2633:
	s_mov_b32 s0, -1
                                        ; implicit-def: $vgpr10_vgpr11
.LBB22_2634:
	s_delay_alu instid0(SALU_CYCLE_1)
	s_and_b32 vcc_lo, exec_lo, s0
	s_cbranch_vccz .LBB22_2636
; %bb.2635:
	global_load_u8 v10, v[6:7], off
	s_waitcnt vmcnt(0)
	v_lshlrev_b32_e32 v10, 24, v10
	s_delay_alu instid0(VALU_DEP_1) | instskip(NEXT) | instid1(VALU_DEP_1)
	v_and_b32_e32 v11, 0x7f000000, v10
	v_clz_i32_u32_e32 v12, v11
	v_add_nc_u32_e32 v17, 0x1000000, v11
	v_cmp_ne_u32_e32 vcc_lo, 0, v11
	s_delay_alu instid0(VALU_DEP_3) | instskip(NEXT) | instid1(VALU_DEP_1)
	v_min_u32_e32 v12, 32, v12
	v_sub_nc_u32_e64 v12, v12, 4 clamp
	s_delay_alu instid0(VALU_DEP_1) | instskip(SKIP_1) | instid1(VALU_DEP_2)
	v_lshlrev_b32_e32 v16, v12, v11
	v_lshlrev_b32_e32 v12, 23, v12
	v_lshrrev_b32_e32 v16, 4, v16
	s_delay_alu instid0(VALU_DEP_1) | instskip(SKIP_1) | instid1(VALU_DEP_2)
	v_sub_nc_u32_e32 v12, v16, v12
	v_ashrrev_i32_e32 v16, 8, v17
	v_add_nc_u32_e32 v12, 0x3c000000, v12
	s_delay_alu instid0(VALU_DEP_1) | instskip(NEXT) | instid1(VALU_DEP_1)
	v_and_or_b32 v12, 0x7f800000, v16, v12
	v_cndmask_b32_e32 v11, 0, v12, vcc_lo
	s_delay_alu instid0(VALU_DEP_1) | instskip(NEXT) | instid1(VALU_DEP_1)
	v_and_or_b32 v10, 0x80000000, v10, v11
	v_cvt_f64_f32_e32 v[10:11], v10
.LBB22_2636:
	s_mov_b32 s0, 0
.LBB22_2637:
	s_delay_alu instid0(SALU_CYCLE_1)
	s_and_not1_b32 vcc_lo, exec_lo, s0
	s_cbranch_vccnz .LBB22_2639
; %bb.2638:
	global_load_u8 v10, v[6:7], off
	s_waitcnt vmcnt(0)
	v_lshlrev_b32_e32 v11, 25, v10
	v_lshlrev_b16 v10, 8, v10
	s_delay_alu instid0(VALU_DEP_1) | instskip(SKIP_1) | instid1(VALU_DEP_2)
	v_and_or_b32 v16, 0x7f00, v10, 0.5
	v_bfe_i32 v10, v10, 0, 16
	v_add_f32_e32 v16, -0.5, v16
	v_lshrrev_b32_e32 v12, 4, v11
	v_cmp_gt_u32_e32 vcc_lo, 0x8000000, v11
	s_delay_alu instid0(VALU_DEP_2) | instskip(NEXT) | instid1(VALU_DEP_1)
	v_or_b32_e32 v12, 0x70000000, v12
	v_mul_f32_e32 v12, 0x7800000, v12
	s_delay_alu instid0(VALU_DEP_1) | instskip(NEXT) | instid1(VALU_DEP_1)
	v_cndmask_b32_e32 v11, v12, v16, vcc_lo
	v_and_or_b32 v10, 0x80000000, v10, v11
	s_delay_alu instid0(VALU_DEP_1)
	v_cvt_f64_f32_e32 v[10:11], v10
.LBB22_2639:
	s_mov_b32 s1, 0
	s_mov_b32 s0, -1
.LBB22_2640:
	s_and_not1_b32 vcc_lo, exec_lo, s1
	s_mov_b32 s3, 0
	s_cbranch_vccnz .LBB22_2649
; %bb.2641:
	v_cmp_lt_i16_e32 vcc_lo, 14, v13
	s_cbranch_vccz .LBB22_2644
; %bb.2642:
	v_cmp_eq_u16_e32 vcc_lo, 15, v13
	s_cbranch_vccz .LBB22_2645
; %bb.2643:
	global_load_u16 v10, v[6:7], off
	s_mov_b32 s2, 0
	s_mov_b32 s0, -1
	s_waitcnt vmcnt(0)
	v_lshlrev_b32_e32 v10, 16, v10
	s_delay_alu instid0(VALU_DEP_1)
	v_cvt_f64_f32_e32 v[10:11], v10
	s_branch .LBB22_2646
.LBB22_2644:
	s_mov_b32 s1, -1
                                        ; implicit-def: $vgpr10_vgpr11
	s_branch .LBB22_2647
.LBB22_2645:
	s_mov_b32 s2, -1
                                        ; implicit-def: $vgpr10_vgpr11
.LBB22_2646:
	s_mov_b32 s1, 0
.LBB22_2647:
	s_delay_alu instid0(SALU_CYCLE_1)
	s_and_b32 vcc_lo, exec_lo, s1
	s_cbranch_vccz .LBB22_2649
; %bb.2648:
	v_cmp_ne_u16_e64 s2, 11, v13
	s_mov_b32 s3, -1
                                        ; implicit-def: $vgpr10_vgpr11
.LBB22_2649:
	s_delay_alu instid0(VALU_DEP_1)
	s_and_b32 vcc_lo, exec_lo, s2
	s_cbranch_vccnz .LBB22_3195
; %bb.2650:
	s_and_not1_b32 vcc_lo, exec_lo, s3
	s_cbranch_vccnz .LBB22_2652
.LBB22_2651:
	global_load_u8 v10, v[6:7], off
	s_mov_b32 s0, -1
	s_waitcnt vmcnt(0)
	v_cmp_ne_u16_e32 vcc_lo, 0, v10
	v_mov_b32_e32 v10, 0
	v_cndmask_b32_e64 v11, 0, 0x3ff00000, vcc_lo
.LBB22_2652:
	s_mov_b32 s1, 0
.LBB22_2653:
	s_delay_alu instid0(SALU_CYCLE_1)
	s_and_b32 vcc_lo, exec_lo, s1
	s_cbranch_vccz .LBB22_2702
; %bb.2654:
	v_cmp_gt_i16_e32 vcc_lo, 5, v13
	s_cbranch_vccnz .LBB22_2659
; %bb.2655:
	v_cmp_gt_i16_e32 vcc_lo, 8, v13
	s_cbranch_vccnz .LBB22_2660
	;; [unrolled: 3-line block ×3, first 2 shown]
; %bb.2657:
	v_cmp_lt_i16_e32 vcc_lo, 9, v13
	s_cbranch_vccz .LBB22_2662
; %bb.2658:
	global_load_b64 v[10:11], v[6:7], off
	s_mov_b32 s0, 0
	s_branch .LBB22_2663
.LBB22_2659:
	s_mov_b32 s0, -1
                                        ; implicit-def: $vgpr10_vgpr11
	s_branch .LBB22_2681
.LBB22_2660:
	s_mov_b32 s0, -1
                                        ; implicit-def: $vgpr10_vgpr11
	s_branch .LBB22_2669
.LBB22_2661:
	s_mov_b32 s0, -1
                                        ; implicit-def: $vgpr10_vgpr11
	s_branch .LBB22_2666
.LBB22_2662:
	s_mov_b32 s0, -1
                                        ; implicit-def: $vgpr10_vgpr11
.LBB22_2663:
	s_delay_alu instid0(SALU_CYCLE_1)
	s_and_not1_b32 vcc_lo, exec_lo, s0
	s_cbranch_vccnz .LBB22_2665
; %bb.2664:
	global_load_b32 v10, v[6:7], off
	s_waitcnt vmcnt(0)
	v_cvt_f64_f32_e32 v[10:11], v10
.LBB22_2665:
	s_mov_b32 s0, 0
.LBB22_2666:
	s_delay_alu instid0(SALU_CYCLE_1)
	s_and_not1_b32 vcc_lo, exec_lo, s0
	s_cbranch_vccnz .LBB22_2668
; %bb.2667:
	global_load_b32 v10, v[6:7], off
	s_waitcnt vmcnt(0)
	v_cvt_f32_f16_e32 v10, v10
	s_delay_alu instid0(VALU_DEP_1)
	v_cvt_f64_f32_e32 v[10:11], v10
.LBB22_2668:
	s_mov_b32 s0, 0
.LBB22_2669:
	s_delay_alu instid0(SALU_CYCLE_1)
	s_and_not1_b32 vcc_lo, exec_lo, s0
	s_cbranch_vccnz .LBB22_2680
; %bb.2670:
	v_cmp_gt_i16_e32 vcc_lo, 6, v13
	s_cbranch_vccnz .LBB22_2673
; %bb.2671:
	v_cmp_lt_i16_e32 vcc_lo, 6, v13
	s_cbranch_vccz .LBB22_2674
; %bb.2672:
	global_load_b64 v[10:11], v[6:7], off
	s_mov_b32 s0, 0
	s_branch .LBB22_2675
.LBB22_2673:
	s_mov_b32 s0, -1
                                        ; implicit-def: $vgpr10_vgpr11
	s_branch .LBB22_2678
.LBB22_2674:
	s_mov_b32 s0, -1
                                        ; implicit-def: $vgpr10_vgpr11
.LBB22_2675:
	s_delay_alu instid0(SALU_CYCLE_1)
	s_and_not1_b32 vcc_lo, exec_lo, s0
	s_cbranch_vccnz .LBB22_2677
; %bb.2676:
	global_load_b32 v10, v[6:7], off
	s_waitcnt vmcnt(0)
	v_cvt_f64_f32_e32 v[10:11], v10
.LBB22_2677:
	s_mov_b32 s0, 0
.LBB22_2678:
	s_delay_alu instid0(SALU_CYCLE_1)
	s_and_not1_b32 vcc_lo, exec_lo, s0
	s_cbranch_vccnz .LBB22_2680
; %bb.2679:
	global_load_u16 v10, v[6:7], off
	s_waitcnt vmcnt(0)
	v_cvt_f32_f16_e32 v10, v10
	s_delay_alu instid0(VALU_DEP_1)
	v_cvt_f64_f32_e32 v[10:11], v10
.LBB22_2680:
	s_mov_b32 s0, 0
.LBB22_2681:
	s_delay_alu instid0(SALU_CYCLE_1)
	s_and_not1_b32 vcc_lo, exec_lo, s0
	s_cbranch_vccnz .LBB22_2701
; %bb.2682:
	v_cmp_gt_i16_e32 vcc_lo, 2, v13
	s_cbranch_vccnz .LBB22_2686
; %bb.2683:
	v_cmp_gt_i16_e32 vcc_lo, 3, v13
	s_cbranch_vccnz .LBB22_2687
; %bb.2684:
	v_cmp_lt_i16_e32 vcc_lo, 3, v13
	s_cbranch_vccz .LBB22_2688
; %bb.2685:
	global_load_b64 v[10:11], v[6:7], off
	s_mov_b32 s0, 0
	s_waitcnt vmcnt(0)
	v_cvt_f64_i32_e32 v[11:12], v11
	v_cvt_f64_u32_e32 v[16:17], v10
	s_delay_alu instid0(VALU_DEP_2) | instskip(NEXT) | instid1(VALU_DEP_1)
	v_ldexp_f64 v[11:12], v[11:12], 32
	v_add_f64 v[10:11], v[11:12], v[16:17]
	s_branch .LBB22_2689
.LBB22_2686:
	s_mov_b32 s0, -1
                                        ; implicit-def: $vgpr10_vgpr11
	s_branch .LBB22_2695
.LBB22_2687:
	s_mov_b32 s0, -1
                                        ; implicit-def: $vgpr10_vgpr11
	s_branch .LBB22_2692
.LBB22_2688:
	s_mov_b32 s0, -1
                                        ; implicit-def: $vgpr10_vgpr11
.LBB22_2689:
	s_delay_alu instid0(SALU_CYCLE_1)
	s_and_not1_b32 vcc_lo, exec_lo, s0
	s_cbranch_vccnz .LBB22_2691
; %bb.2690:
	global_load_b32 v10, v[6:7], off
	s_waitcnt vmcnt(0)
	v_cvt_f64_i32_e32 v[10:11], v10
.LBB22_2691:
	s_mov_b32 s0, 0
.LBB22_2692:
	s_delay_alu instid0(SALU_CYCLE_1)
	s_and_not1_b32 vcc_lo, exec_lo, s0
	s_cbranch_vccnz .LBB22_2694
; %bb.2693:
	global_load_i16 v10, v[6:7], off
	s_waitcnt vmcnt(0)
	v_cvt_f64_i32_e32 v[10:11], v10
.LBB22_2694:
	s_mov_b32 s0, 0
.LBB22_2695:
	s_delay_alu instid0(SALU_CYCLE_1)
	s_and_not1_b32 vcc_lo, exec_lo, s0
	s_cbranch_vccnz .LBB22_2701
; %bb.2696:
	v_cmp_lt_i16_e32 vcc_lo, 0, v13
	s_mov_b32 s0, 0
	s_cbranch_vccz .LBB22_2698
; %bb.2697:
	global_load_i8 v10, v[6:7], off
	s_waitcnt vmcnt(0)
	v_cvt_f64_i32_e32 v[10:11], v10
	s_branch .LBB22_2699
.LBB22_2698:
	s_mov_b32 s0, -1
                                        ; implicit-def: $vgpr10_vgpr11
.LBB22_2699:
	s_delay_alu instid0(SALU_CYCLE_1)
	s_and_not1_b32 vcc_lo, exec_lo, s0
	s_cbranch_vccnz .LBB22_2701
; %bb.2700:
	global_load_u8 v6, v[6:7], off
	s_waitcnt vmcnt(0)
	v_cvt_f64_u32_e32 v[10:11], v6
.LBB22_2701:
	s_mov_b32 s0, -1
.LBB22_2702:
	s_delay_alu instid0(SALU_CYCLE_1)
	s_and_not1_b32 vcc_lo, exec_lo, s0
	s_cbranch_vccnz .LBB22_2793
; %bb.2703:
	s_waitcnt vmcnt(0)
	s_delay_alu instid0(VALU_DEP_1) | instskip(SKIP_2) | instid1(VALU_DEP_2)
	v_trunc_f64_e32 v[6:7], v[10:11]
	v_cmp_class_f64_e64 vcc_lo, v[10:11], 0x1f8
	s_mov_b32 s2, exec_lo
	v_ldexp_f64 v[12:13], v[6:7], 0xffffffe0
	s_delay_alu instid0(VALU_DEP_1) | instskip(NEXT) | instid1(VALU_DEP_1)
	v_floor_f64_e32 v[12:13], v[12:13]
	v_fma_f64 v[6:7], 0xc1f00000, v[12:13], v[6:7]
	v_cvt_i32_f64_e32 v12, v[12:13]
	s_delay_alu instid0(VALU_DEP_2) | instskip(NEXT) | instid1(VALU_DEP_2)
	v_cvt_u32_f64_e32 v6, v[6:7]
	v_dual_cndmask_b32 v7, -1, v12 :: v_dual_mov_b32 v12, 0
	s_delay_alu instid0(VALU_DEP_2) | instskip(NEXT) | instid1(VALU_DEP_1)
	v_dual_mov_b32 v13, 0 :: v_dual_cndmask_b32 v6, -1, v6
	v_cmpx_lt_i64_e32 -1, v[6:7]
	s_cbranch_execz .LBB22_2715
; %bb.2704:
	v_mov_b32_e32 v12, 0
	v_mov_b32_e32 v13, 0x3ff00000
	s_mov_b32 s3, exec_lo
	v_cmpx_lt_i64_e32 0, v[6:7]
	s_cbranch_execz .LBB22_2714
; %bb.2705:
                                        ; implicit-def: $vgpr12_vgpr13
	s_mov_b32 s0, exec_lo
	v_cmpx_ne_u64_e32 1, v[6:7]
	s_xor_b32 s6, exec_lo, s0
	s_cbranch_execz .LBB22_2711
; %bb.2706:
	v_mov_b32_e32 v12, 0
	v_mov_b32_e32 v13, 0x7ff80000
	s_mov_b32 s7, exec_lo
	v_cmpx_gt_u64_e32 0x201, v[6:7]
	s_cbranch_execz .LBB22_2710
; %bb.2707:
	v_add_f64 v[2:3], v[2:3], v[2:3]
	v_lshlrev_b64 v[6:7], 1, v[6:7]
	v_mov_b32_e32 v10, 0
	v_mov_b32_e32 v11, 0x3ff00000
	s_mov_b64 s[0:1], 2
	s_mov_b32 s9, 0
	s_delay_alu instid0(VALU_DEP_4)
	v_dual_mov_b32 v13, v3 :: v_dual_mov_b32 v12, v2
.LBB22_2708:                            ; =>This Inner Loop Header: Depth=1
	v_cvt_f64_u32_e32 v[16:17], s1
	v_cvt_f64_u32_e32 v[18:19], s0
	s_add_u32 s0, s0, 2
	s_addc_u32 s1, s1, 0
	s_delay_alu instid0(SALU_CYCLE_1) | instskip(SKIP_1) | instid1(VALU_DEP_3)
	v_cmp_ge_u64_e32 vcc_lo, s[0:1], v[6:7]
	s_or_b32 s9, vcc_lo, s9
	v_ldexp_f64 v[16:17], v[16:17], 32
	s_delay_alu instid0(VALU_DEP_1) | instskip(NEXT) | instid1(VALU_DEP_1)
	v_add_f64 v[16:17], v[16:17], v[18:19]
	v_mul_f64 v[10:11], v[10:11], v[16:17]
	v_dual_mov_b32 v17, v13 :: v_dual_mov_b32 v16, v12
	s_delay_alu instid0(VALU_DEP_1)
	v_fma_f64 v[12:13], v[2:3], v[16:17], -v[10:11]
	v_dual_mov_b32 v10, v16 :: v_dual_mov_b32 v11, v17
	s_and_not1_b32 exec_lo, exec_lo, s9
	s_cbranch_execnz .LBB22_2708
; %bb.2709:
	s_or_b32 exec_lo, exec_lo, s9
.LBB22_2710:
	s_delay_alu instid0(SALU_CYCLE_1)
	s_or_b32 exec_lo, exec_lo, s7
                                        ; implicit-def: $vgpr2_vgpr3
.LBB22_2711:
	s_and_not1_saveexec_b32 s0, s6
; %bb.2712:
	v_add_f64 v[12:13], v[2:3], v[2:3]
; %bb.2713:
	s_or_b32 exec_lo, exec_lo, s0
.LBB22_2714:
	s_delay_alu instid0(SALU_CYCLE_1)
	s_or_b32 exec_lo, exec_lo, s3
.LBB22_2715:
	s_delay_alu instid0(SALU_CYCLE_1) | instskip(SKIP_2) | instid1(VALU_DEP_1)
	s_or_b32 exec_lo, exec_lo, s2
	v_mul_lo_u32 v10, s8, v15
	v_and_b32_e32 v16, 0xff, v14
	v_cmp_gt_i16_e32 vcc_lo, 11, v16
	s_delay_alu instid0(VALU_DEP_3) | instskip(SKIP_1) | instid1(VALU_DEP_1)
	v_ashrrev_i32_e32 v2, 31, v10
	v_add_co_u32 v6, s0, s4, v10
	v_add_co_ci_u32_e64 v7, s0, s5, v2, s0
	s_cbranch_vccnz .LBB22_2838
; %bb.2716:
	v_cmp_lt_i16_e32 vcc_lo, 25, v16
	s_mov_b32 s3, -1
	s_mov_b32 s1, 0
	s_mov_b32 s2, 0
	;; [unrolled: 1-line block ×3, first 2 shown]
	s_cbranch_vccz .LBB22_2749
; %bb.2717:
	v_cmp_lt_i16_e32 vcc_lo, 28, v16
	s_cbranch_vccz .LBB22_2732
; %bb.2718:
	v_cmp_lt_i16_e32 vcc_lo, 43, v16
	;; [unrolled: 3-line block ×3, first 2 shown]
	s_cbranch_vccz .LBB22_2722
; %bb.2720:
	v_cmp_eq_u16_e32 vcc_lo, 46, v16
	s_mov_b32 s0, -1
	s_mov_b32 s3, 0
	s_cbranch_vccz .LBB22_2722
; %bb.2721:
	v_cvt_f32_f64_e32 v2, v[0:1]
	s_mov_b32 s0, 0
	s_mov_b32 s2, -1
	s_delay_alu instid0(VALU_DEP_1) | instskip(SKIP_1) | instid1(VALU_DEP_2)
	v_bfe_u32 v3, v2, 16, 1
	v_cmp_o_f32_e32 vcc_lo, v2, v2
	v_add3_u32 v3, v2, v3, 0x7fff
	s_delay_alu instid0(VALU_DEP_1) | instskip(NEXT) | instid1(VALU_DEP_1)
	v_lshrrev_b32_e32 v3, 16, v3
	v_cndmask_b32_e32 v2, 0x7fc0, v3, vcc_lo
	global_store_b32 v[6:7], v2, off
.LBB22_2722:
	s_and_b32 vcc_lo, exec_lo, s3
	s_cbranch_vccz .LBB22_2727
; %bb.2723:
	v_cmp_eq_u16_e32 vcc_lo, 44, v16
	s_mov_b32 s0, -1
	s_cbranch_vccz .LBB22_2727
; %bb.2724:
	v_cvt_f32_f64_e32 v2, v[0:1]
	v_mov_b32_e32 v3, 0xff
	s_mov_b32 s2, exec_lo
	s_delay_alu instid0(VALU_DEP_2) | instskip(NEXT) | instid1(VALU_DEP_1)
	v_bfe_u32 v11, v2, 23, 8
	v_cmpx_ne_u32_e32 0xff, v11
; %bb.2725:
	v_and_b32_e32 v3, 0x400000, v2
	v_and_or_b32 v11, 0x3fffff, v2, v11
	v_lshrrev_b32_e32 v2, 23, v2
	s_delay_alu instid0(VALU_DEP_3) | instskip(NEXT) | instid1(VALU_DEP_3)
	v_cmp_ne_u32_e32 vcc_lo, 0, v3
	v_cmp_ne_u32_e64 s0, 0, v11
	s_delay_alu instid0(VALU_DEP_1) | instskip(NEXT) | instid1(SALU_CYCLE_1)
	s_and_b32 s0, vcc_lo, s0
	v_cndmask_b32_e64 v3, 0, 1, s0
	s_delay_alu instid0(VALU_DEP_1)
	v_add_nc_u32_e32 v3, v2, v3
; %bb.2726:
	s_or_b32 exec_lo, exec_lo, s2
	s_mov_b32 s0, 0
	s_mov_b32 s2, -1
	global_store_b8 v[6:7], v3, off
.LBB22_2727:
	s_mov_b32 s3, 0
.LBB22_2728:
	s_delay_alu instid0(SALU_CYCLE_1)
	s_and_b32 vcc_lo, exec_lo, s3
	s_cbranch_vccz .LBB22_2731
; %bb.2729:
	v_cmp_eq_u16_e32 vcc_lo, 29, v16
	s_mov_b32 s0, -1
	s_cbranch_vccz .LBB22_2731
; %bb.2730:
	v_trunc_f64_e32 v[2:3], v[0:1]
	s_mov_b32 s0, 0
	s_mov_b32 s2, -1
	s_delay_alu instid0(VALU_DEP_1) | instskip(NEXT) | instid1(VALU_DEP_1)
	v_ldexp_f64 v[14:15], v[2:3], 0xffffffe0
	v_floor_f64_e32 v[14:15], v[14:15]
	s_delay_alu instid0(VALU_DEP_1) | instskip(SKIP_1) | instid1(VALU_DEP_2)
	v_fma_f64 v[2:3], 0xc1f00000, v[14:15], v[2:3]
	v_cvt_u32_f64_e32 v15, v[14:15]
	v_cvt_u32_f64_e32 v14, v[2:3]
	global_store_b64 v[6:7], v[14:15], off
.LBB22_2731:
	s_mov_b32 s3, 0
.LBB22_2732:
	s_delay_alu instid0(SALU_CYCLE_1)
	s_and_b32 vcc_lo, exec_lo, s3
	s_cbranch_vccz .LBB22_2748
; %bb.2733:
	v_cmp_gt_i16_e32 vcc_lo, 27, v16
	s_mov_b32 s2, -1
	s_cbranch_vccnz .LBB22_2739
; %bb.2734:
	v_cvt_u32_f64_e32 v2, v[0:1]
	v_cmp_lt_i16_e32 vcc_lo, 27, v16
	s_cbranch_vccz .LBB22_2736
; %bb.2735:
	s_mov_b32 s2, 0
	global_store_b32 v[6:7], v2, off
.LBB22_2736:
	s_and_not1_b32 vcc_lo, exec_lo, s2
	s_cbranch_vccnz .LBB22_2738
; %bb.2737:
	global_store_b16 v[6:7], v2, off
.LBB22_2738:
	s_mov_b32 s2, 0
.LBB22_2739:
	s_delay_alu instid0(SALU_CYCLE_1)
	s_and_not1_b32 vcc_lo, exec_lo, s2
	s_cbranch_vccnz .LBB22_2747
; %bb.2740:
	v_cvt_f32_f64_e32 v2, v[0:1]
	v_mov_b32_e32 v11, 0x80
	s_mov_b32 s2, exec_lo
	s_delay_alu instid0(VALU_DEP_2) | instskip(NEXT) | instid1(VALU_DEP_1)
	v_and_b32_e32 v3, 0x7fffffff, v2
	v_cmpx_gt_u32_e32 0x43800000, v3
	s_cbranch_execz .LBB22_2746
; %bb.2741:
	v_cmp_lt_u32_e32 vcc_lo, 0x3bffffff, v3
	s_mov_b32 s3, 0
                                        ; implicit-def: $vgpr3
	s_and_saveexec_b32 s6, vcc_lo
	s_delay_alu instid0(SALU_CYCLE_1)
	s_xor_b32 s6, exec_lo, s6
	s_cbranch_execz .LBB22_3197
; %bb.2742:
	v_bfe_u32 v3, v2, 20, 1
	s_mov_b32 s3, exec_lo
	s_delay_alu instid0(VALU_DEP_1) | instskip(NEXT) | instid1(VALU_DEP_1)
	v_add3_u32 v3, v2, v3, 0x487ffff
	v_lshrrev_b32_e32 v3, 20, v3
	s_or_saveexec_b32 s6, s6
                                        ; implicit-def: $sgpr7
	s_delay_alu instid0(SALU_CYCLE_1)
	s_xor_b32 exec_lo, exec_lo, s6
	s_cbranch_execnz .LBB22_3198
.LBB22_2743:
	s_or_b32 exec_lo, exec_lo, s6
	v_mov_b32_e32 v11, s7
	s_and_saveexec_b32 s6, s3
.LBB22_2744:
	v_lshrrev_b32_e32 v2, 24, v2
	s_delay_alu instid0(VALU_DEP_1)
	v_and_or_b32 v11, 0x80, v2, v3
.LBB22_2745:
	s_or_b32 exec_lo, exec_lo, s6
.LBB22_2746:
	s_delay_alu instid0(SALU_CYCLE_1)
	s_or_b32 exec_lo, exec_lo, s2
	global_store_b8 v[6:7], v11, off
.LBB22_2747:
	s_mov_b32 s2, -1
.LBB22_2748:
	s_mov_b32 s3, 0
.LBB22_2749:
	s_delay_alu instid0(SALU_CYCLE_1)
	s_and_b32 vcc_lo, exec_lo, s3
	s_cbranch_vccz .LBB22_2789
; %bb.2750:
	v_cmp_lt_i16_e32 vcc_lo, 22, v16
	s_mov_b32 s1, -1
	s_cbranch_vccz .LBB22_2782
; %bb.2751:
	v_cmp_gt_i16_e32 vcc_lo, 24, v16
	s_cbranch_vccnz .LBB22_2771
; %bb.2752:
	v_cmp_lt_i16_e32 vcc_lo, 24, v16
	s_cbranch_vccz .LBB22_2760
; %bb.2753:
	v_cvt_f32_f64_e32 v2, v[0:1]
	v_mov_b32_e32 v11, 0x80
	s_mov_b32 s1, exec_lo
	s_delay_alu instid0(VALU_DEP_2) | instskip(NEXT) | instid1(VALU_DEP_1)
	v_and_b32_e32 v3, 0x7fffffff, v2
	v_cmpx_gt_u32_e32 0x47800000, v3
	s_cbranch_execz .LBB22_2759
; %bb.2754:
	v_cmp_lt_u32_e32 vcc_lo, 0x37ffffff, v3
	s_mov_b32 s2, 0
                                        ; implicit-def: $vgpr3
	s_and_saveexec_b32 s3, vcc_lo
	s_delay_alu instid0(SALU_CYCLE_1)
	s_xor_b32 s3, exec_lo, s3
	s_cbranch_execz .LBB22_3203
; %bb.2755:
	v_bfe_u32 v3, v2, 21, 1
	s_mov_b32 s2, exec_lo
	s_delay_alu instid0(VALU_DEP_1) | instskip(NEXT) | instid1(VALU_DEP_1)
	v_add3_u32 v3, v2, v3, 0x88fffff
	v_lshrrev_b32_e32 v3, 21, v3
	s_or_saveexec_b32 s3, s3
                                        ; implicit-def: $sgpr6
	s_delay_alu instid0(SALU_CYCLE_1)
	s_xor_b32 exec_lo, exec_lo, s3
	s_cbranch_execnz .LBB22_3204
.LBB22_2756:
	s_or_b32 exec_lo, exec_lo, s3
	v_mov_b32_e32 v11, s6
	s_and_saveexec_b32 s3, s2
.LBB22_2757:
	v_lshrrev_b32_e32 v2, 24, v2
	s_delay_alu instid0(VALU_DEP_1)
	v_and_or_b32 v11, 0x80, v2, v3
.LBB22_2758:
	s_or_b32 exec_lo, exec_lo, s3
.LBB22_2759:
	s_delay_alu instid0(SALU_CYCLE_1)
	s_or_b32 exec_lo, exec_lo, s1
	s_mov_b32 s1, 0
	global_store_b8 v[6:7], v11, off
.LBB22_2760:
	s_and_b32 vcc_lo, exec_lo, s1
	s_cbranch_vccz .LBB22_2770
; %bb.2761:
	v_cvt_f32_f64_e32 v2, v[0:1]
	s_mov_b32 s1, exec_lo
                                        ; implicit-def: $vgpr3
	s_delay_alu instid0(VALU_DEP_1) | instskip(NEXT) | instid1(VALU_DEP_1)
	v_and_b32_e32 v11, 0x7fffffff, v2
	v_cmpx_gt_u32_e32 0x43f00000, v11
	s_xor_b32 s1, exec_lo, s1
	s_cbranch_execz .LBB22_2767
; %bb.2762:
	s_mov_b32 s2, exec_lo
                                        ; implicit-def: $vgpr3
	v_cmpx_lt_u32_e32 0x3c7fffff, v11
	s_xor_b32 s2, exec_lo, s2
; %bb.2763:
	v_bfe_u32 v3, v2, 20, 1
	s_delay_alu instid0(VALU_DEP_1) | instskip(NEXT) | instid1(VALU_DEP_1)
	v_add3_u32 v3, v2, v3, 0x407ffff
	v_and_b32_e32 v11, 0xff00000, v3
	v_lshrrev_b32_e32 v3, 20, v3
	s_delay_alu instid0(VALU_DEP_2) | instskip(NEXT) | instid1(VALU_DEP_2)
	v_cmp_ne_u32_e32 vcc_lo, 0x7f00000, v11
	v_cndmask_b32_e32 v3, 0x7e, v3, vcc_lo
; %bb.2764:
	s_and_not1_saveexec_b32 s2, s2
; %bb.2765:
	v_add_f32_e64 v3, 0x46800000, |v2|
; %bb.2766:
	s_or_b32 exec_lo, exec_lo, s2
                                        ; implicit-def: $vgpr11
.LBB22_2767:
	s_and_not1_saveexec_b32 s1, s1
; %bb.2768:
	v_mov_b32_e32 v3, 0x7f
	v_cmp_lt_u32_e32 vcc_lo, 0x7f800000, v11
	s_delay_alu instid0(VALU_DEP_2)
	v_cndmask_b32_e32 v3, 0x7e, v3, vcc_lo
; %bb.2769:
	s_or_b32 exec_lo, exec_lo, s1
	v_lshrrev_b32_e32 v2, 24, v2
	s_delay_alu instid0(VALU_DEP_1)
	v_and_or_b32 v2, 0x80, v2, v3
	global_store_b8 v[6:7], v2, off
.LBB22_2770:
	s_mov_b32 s1, 0
.LBB22_2771:
	s_delay_alu instid0(SALU_CYCLE_1)
	s_and_not1_b32 vcc_lo, exec_lo, s1
	s_cbranch_vccnz .LBB22_2781
; %bb.2772:
	v_cvt_f32_f64_e32 v2, v[0:1]
	s_mov_b32 s1, exec_lo
                                        ; implicit-def: $vgpr3
	s_delay_alu instid0(VALU_DEP_1) | instskip(NEXT) | instid1(VALU_DEP_1)
	v_and_b32_e32 v11, 0x7fffffff, v2
	v_cmpx_gt_u32_e32 0x47800000, v11
	s_xor_b32 s1, exec_lo, s1
	s_cbranch_execz .LBB22_2778
; %bb.2773:
	s_mov_b32 s2, exec_lo
                                        ; implicit-def: $vgpr3
	v_cmpx_lt_u32_e32 0x387fffff, v11
	s_xor_b32 s2, exec_lo, s2
; %bb.2774:
	v_bfe_u32 v3, v2, 21, 1
	s_delay_alu instid0(VALU_DEP_1) | instskip(NEXT) | instid1(VALU_DEP_1)
	v_add3_u32 v3, v2, v3, 0x80fffff
	v_lshrrev_b32_e32 v3, 21, v3
; %bb.2775:
	s_and_not1_saveexec_b32 s2, s2
; %bb.2776:
	v_add_f32_e64 v3, 0x43000000, |v2|
; %bb.2777:
	s_or_b32 exec_lo, exec_lo, s2
                                        ; implicit-def: $vgpr11
.LBB22_2778:
	s_and_not1_saveexec_b32 s1, s1
; %bb.2779:
	v_mov_b32_e32 v3, 0x7f
	v_cmp_lt_u32_e32 vcc_lo, 0x7f800000, v11
	s_delay_alu instid0(VALU_DEP_2)
	v_cndmask_b32_e32 v3, 0x7c, v3, vcc_lo
; %bb.2780:
	s_or_b32 exec_lo, exec_lo, s1
	v_lshrrev_b32_e32 v2, 24, v2
	s_delay_alu instid0(VALU_DEP_1)
	v_and_or_b32 v2, 0x80, v2, v3
	global_store_b8 v[6:7], v2, off
.LBB22_2781:
	s_mov_b32 s1, 0
	s_mov_b32 s2, -1
.LBB22_2782:
	s_and_not1_b32 vcc_lo, exec_lo, s1
	s_mov_b32 s1, 0
	s_cbranch_vccnz .LBB22_2789
; %bb.2783:
	v_cmp_lt_i16_e32 vcc_lo, 14, v16
	s_mov_b32 s1, -1
	s_cbranch_vccz .LBB22_2787
; %bb.2784:
	v_cmp_eq_u16_e32 vcc_lo, 15, v16
	s_mov_b32 s0, -1
	s_cbranch_vccz .LBB22_2786
; %bb.2785:
	v_cvt_f32_f64_e32 v2, v[0:1]
	s_mov_b32 s0, 0
	s_mov_b32 s2, -1
	s_delay_alu instid0(VALU_DEP_1) | instskip(SKIP_1) | instid1(VALU_DEP_2)
	v_bfe_u32 v3, v2, 16, 1
	v_cmp_o_f32_e32 vcc_lo, v2, v2
	v_add3_u32 v3, v2, v3, 0x7fff
	s_delay_alu instid0(VALU_DEP_1) | instskip(NEXT) | instid1(VALU_DEP_1)
	v_lshrrev_b32_e32 v3, 16, v3
	v_cndmask_b32_e32 v2, 0x7fc0, v3, vcc_lo
	global_store_b16 v[6:7], v2, off
.LBB22_2786:
	s_mov_b32 s1, 0
.LBB22_2787:
	s_delay_alu instid0(SALU_CYCLE_1)
	s_and_b32 vcc_lo, exec_lo, s1
	s_mov_b32 s1, 0
	s_cbranch_vccz .LBB22_2789
; %bb.2788:
	v_cmp_ne_u16_e64 s0, 11, v16
	s_mov_b32 s1, -1
.LBB22_2789:
	s_delay_alu instid0(VALU_DEP_1)
	s_and_b32 vcc_lo, exec_lo, s0
	s_cbranch_vccnz .LBB22_3201
; %bb.2790:
	s_and_not1_b32 vcc_lo, exec_lo, s1
	s_cbranch_vccnz .LBB22_2792
.LBB22_2791:
	v_cmp_neq_f64_e32 vcc_lo, 0, v[0:1]
	s_mov_b32 s2, -1
	v_cndmask_b32_e64 v2, 0, 1, vcc_lo
	global_store_b8 v[6:7], v2, off
.LBB22_2792:
	s_mov_b32 s0, 0
	s_branch .LBB22_2839
.LBB22_2793:
	s_mov_b32 s0, 0
	s_mov_b32 s1, 0
                                        ; implicit-def: $vgpr16
                                        ; implicit-def: $vgpr0_vgpr1
                                        ; implicit-def: $vgpr12_vgpr13
.LBB22_2794:
	s_and_not1_b32 s2, s13, exec_lo
	s_and_b32 s3, s11, exec_lo
	s_and_b32 s0, s0, exec_lo
	s_and_b32 s11, s1, exec_lo
	s_or_b32 s13, s2, s3
.LBB22_2795:
	s_or_b32 exec_lo, exec_lo, s12
	s_and_saveexec_b32 s1, s13
	s_cbranch_execz .LBB22_2798
; %bb.2796:
	; divergent unreachable
	s_or_b32 exec_lo, exec_lo, s1
	s_and_saveexec_b32 s1, s11
	s_delay_alu instid0(SALU_CYCLE_1)
	s_xor_b32 s1, exec_lo, s1
	s_cbranch_execnz .LBB22_2799
.LBB22_2797:
	s_or_b32 exec_lo, exec_lo, s1
	s_and_saveexec_b32 s1, s0
	s_cbranch_execnz .LBB22_2800
	s_branch .LBB22_2837
.LBB22_2798:
	s_or_b32 exec_lo, exec_lo, s1
	s_and_saveexec_b32 s1, s11
	s_delay_alu instid0(SALU_CYCLE_1)
	s_xor_b32 s1, exec_lo, s1
	s_cbranch_execz .LBB22_2797
.LBB22_2799:
	v_cmp_neq_f64_e32 vcc_lo, 0, v[12:13]
	s_waitcnt vmcnt(0)
	v_cndmask_b32_e64 v2, 0, 1, vcc_lo
	global_store_b8 v[0:1], v2, off
	s_or_b32 exec_lo, exec_lo, s1
	s_and_saveexec_b32 s1, s0
	s_cbranch_execz .LBB22_2837
.LBB22_2800:
	v_cmp_gt_i16_e32 vcc_lo, 5, v16
	s_mov_b32 s0, -1
	s_cbranch_vccnz .LBB22_2821
; %bb.2801:
	v_cmp_gt_i16_e32 vcc_lo, 8, v16
	s_cbranch_vccnz .LBB22_2811
; %bb.2802:
	v_cmp_gt_i16_e32 vcc_lo, 9, v16
	s_cbranch_vccnz .LBB22_2808
; %bb.2803:
	v_cmp_lt_i16_e32 vcc_lo, 9, v16
	s_cbranch_vccz .LBB22_2805
; %bb.2804:
	v_mov_b32_e32 v14, 0
	s_mov_b32 s0, 0
	s_delay_alu instid0(VALU_DEP_1)
	v_mov_b32_e32 v15, v14
	global_store_b128 v[0:1], v[12:15], off
.LBB22_2805:
	s_and_not1_b32 vcc_lo, exec_lo, s0
	s_cbranch_vccnz .LBB22_2807
; %bb.2806:
	s_waitcnt vmcnt(0)
	v_cvt_f32_f64_e32 v2, v[12:13]
	v_mov_b32_e32 v3, 0
	global_store_b64 v[0:1], v[2:3], off
.LBB22_2807:
	s_mov_b32 s0, 0
.LBB22_2808:
	s_delay_alu instid0(SALU_CYCLE_1)
	s_and_not1_b32 vcc_lo, exec_lo, s0
	s_cbranch_vccnz .LBB22_2810
; %bb.2809:
	s_waitcnt vmcnt(0)
	v_cvt_f32_f64_e32 v2, v[12:13]
	s_delay_alu instid0(VALU_DEP_1) | instskip(NEXT) | instid1(VALU_DEP_1)
	v_cvt_f16_f32_e32 v2, v2
	v_and_b32_e32 v2, 0xffff, v2
	global_store_b32 v[0:1], v2, off
.LBB22_2810:
	s_mov_b32 s0, 0
.LBB22_2811:
	s_delay_alu instid0(SALU_CYCLE_1)
	s_and_not1_b32 vcc_lo, exec_lo, s0
	s_cbranch_vccnz .LBB22_2820
; %bb.2812:
	v_cmp_gt_i16_e32 vcc_lo, 6, v16
	s_mov_b32 s0, -1
	s_cbranch_vccnz .LBB22_2818
; %bb.2813:
	v_cmp_lt_i16_e32 vcc_lo, 6, v16
	s_cbranch_vccz .LBB22_2815
; %bb.2814:
	s_mov_b32 s0, 0
	global_store_b64 v[0:1], v[12:13], off
.LBB22_2815:
	s_and_not1_b32 vcc_lo, exec_lo, s0
	s_cbranch_vccnz .LBB22_2817
; %bb.2816:
	s_waitcnt vmcnt(0)
	v_cvt_f32_f64_e32 v2, v[12:13]
	global_store_b32 v[0:1], v2, off
.LBB22_2817:
	s_mov_b32 s0, 0
.LBB22_2818:
	s_delay_alu instid0(SALU_CYCLE_1)
	s_and_not1_b32 vcc_lo, exec_lo, s0
	s_cbranch_vccnz .LBB22_2820
; %bb.2819:
	s_waitcnt vmcnt(0)
	v_cvt_f32_f64_e32 v2, v[12:13]
	s_delay_alu instid0(VALU_DEP_1)
	v_cvt_f16_f32_e32 v2, v2
	global_store_b16 v[0:1], v2, off
.LBB22_2820:
	s_mov_b32 s0, 0
.LBB22_2821:
	s_delay_alu instid0(SALU_CYCLE_1)
	s_and_not1_b32 vcc_lo, exec_lo, s0
	s_cbranch_vccnz .LBB22_2837
; %bb.2822:
	v_cmp_gt_i16_e32 vcc_lo, 2, v16
	s_mov_b32 s0, -1
	s_cbranch_vccnz .LBB22_2832
; %bb.2823:
	v_cmp_gt_i16_e32 vcc_lo, 3, v16
	s_cbranch_vccnz .LBB22_2829
; %bb.2824:
	v_cmp_lt_i16_e32 vcc_lo, 3, v16
	s_cbranch_vccz .LBB22_2826
; %bb.2825:
	s_waitcnt vmcnt(0)
	v_trunc_f64_e32 v[2:3], v[12:13]
	s_mov_b32 s0, 0
	s_delay_alu instid0(VALU_DEP_1) | instskip(NEXT) | instid1(VALU_DEP_1)
	v_ldexp_f64 v[4:5], v[2:3], 0xffffffe0
	v_floor_f64_e32 v[4:5], v[4:5]
	s_delay_alu instid0(VALU_DEP_1) | instskip(SKIP_1) | instid1(VALU_DEP_2)
	v_fma_f64 v[2:3], 0xc1f00000, v[4:5], v[2:3]
	v_cvt_i32_f64_e32 v4, v[4:5]
	v_cvt_u32_f64_e32 v3, v[2:3]
	global_store_b64 v[0:1], v[3:4], off
.LBB22_2826:
	s_and_not1_b32 vcc_lo, exec_lo, s0
	s_cbranch_vccnz .LBB22_2828
; %bb.2827:
	s_waitcnt vmcnt(0)
	v_cvt_i32_f64_e32 v2, v[12:13]
	global_store_b32 v[0:1], v2, off
.LBB22_2828:
	s_mov_b32 s0, 0
.LBB22_2829:
	s_delay_alu instid0(SALU_CYCLE_1)
	s_and_not1_b32 vcc_lo, exec_lo, s0
	s_cbranch_vccnz .LBB22_2831
; %bb.2830:
	s_waitcnt vmcnt(0)
	v_cvt_i32_f64_e32 v2, v[12:13]
	global_store_b16 v[0:1], v2, off
.LBB22_2831:
	s_mov_b32 s0, 0
.LBB22_2832:
	s_delay_alu instid0(SALU_CYCLE_1)
	s_and_not1_b32 vcc_lo, exec_lo, s0
	s_cbranch_vccnz .LBB22_2837
; %bb.2833:
	v_cmp_lt_i16_e32 vcc_lo, 0, v16
	s_mov_b32 s0, -1
	s_cbranch_vccz .LBB22_2835
; %bb.2834:
	s_waitcnt vmcnt(0)
	v_cvt_i32_f64_e32 v2, v[12:13]
	s_mov_b32 s0, 0
	global_store_b8 v[0:1], v2, off
.LBB22_2835:
	s_and_not1_b32 vcc_lo, exec_lo, s0
	s_cbranch_vccnz .LBB22_2837
; %bb.2836:
	s_waitcnt vmcnt(0)
	v_trunc_f64_e32 v[2:3], v[12:13]
	s_delay_alu instid0(VALU_DEP_1) | instskip(NEXT) | instid1(VALU_DEP_1)
	v_ldexp_f64 v[4:5], v[2:3], 0xffffffe0
	v_floor_f64_e32 v[4:5], v[4:5]
	s_delay_alu instid0(VALU_DEP_1) | instskip(NEXT) | instid1(VALU_DEP_1)
	v_fma_f64 v[2:3], 0xc1f00000, v[4:5], v[2:3]
	v_cvt_u32_f64_e32 v2, v[2:3]
	global_store_b8 v[0:1], v2, off
	s_nop 0
	s_sendmsg sendmsg(MSG_DEALLOC_VGPRS)
	s_endpgm
.LBB22_2837:
	s_nop 0
	s_sendmsg sendmsg(MSG_DEALLOC_VGPRS)
	s_endpgm
.LBB22_2838:
	s_mov_b32 s0, -1
	s_mov_b32 s2, 0
.LBB22_2839:
	s_and_b32 vcc_lo, exec_lo, s0
	s_cbranch_vccz .LBB22_2878
; %bb.2840:
	v_cmp_gt_i16_e32 vcc_lo, 5, v16
	s_mov_b32 s0, -1
	s_cbranch_vccnz .LBB22_2861
; %bb.2841:
	v_cmp_gt_i16_e32 vcc_lo, 8, v16
	s_cbranch_vccnz .LBB22_2851
; %bb.2842:
	v_cmp_gt_i16_e32 vcc_lo, 9, v16
	s_cbranch_vccnz .LBB22_2848
; %bb.2843:
	v_cmp_lt_i16_e32 vcc_lo, 9, v16
	s_cbranch_vccz .LBB22_2845
; %bb.2844:
	v_mov_b32_e32 v2, 0
	s_mov_b32 s0, 0
	s_delay_alu instid0(VALU_DEP_1)
	v_mov_b32_e32 v3, v2
	global_store_b128 v[6:7], v[0:3], off
.LBB22_2845:
	s_and_not1_b32 vcc_lo, exec_lo, s0
	s_cbranch_vccnz .LBB22_2847
; %bb.2846:
	v_cvt_f32_f64_e32 v2, v[0:1]
	v_mov_b32_e32 v3, 0
	global_store_b64 v[6:7], v[2:3], off
.LBB22_2847:
	s_mov_b32 s0, 0
.LBB22_2848:
	s_delay_alu instid0(SALU_CYCLE_1)
	s_and_not1_b32 vcc_lo, exec_lo, s0
	s_cbranch_vccnz .LBB22_2850
; %bb.2849:
	v_cvt_f32_f64_e32 v2, v[0:1]
	s_delay_alu instid0(VALU_DEP_1) | instskip(NEXT) | instid1(VALU_DEP_1)
	v_cvt_f16_f32_e32 v2, v2
	v_and_b32_e32 v2, 0xffff, v2
	global_store_b32 v[6:7], v2, off
.LBB22_2850:
	s_mov_b32 s0, 0
.LBB22_2851:
	s_delay_alu instid0(SALU_CYCLE_1)
	s_and_not1_b32 vcc_lo, exec_lo, s0
	s_cbranch_vccnz .LBB22_2860
; %bb.2852:
	v_cmp_gt_i16_e32 vcc_lo, 6, v16
	s_mov_b32 s0, -1
	s_cbranch_vccnz .LBB22_2858
; %bb.2853:
	v_cmp_lt_i16_e32 vcc_lo, 6, v16
	s_cbranch_vccz .LBB22_2855
; %bb.2854:
	s_mov_b32 s0, 0
	global_store_b64 v[6:7], v[0:1], off
.LBB22_2855:
	s_and_not1_b32 vcc_lo, exec_lo, s0
	s_cbranch_vccnz .LBB22_2857
; %bb.2856:
	v_cvt_f32_f64_e32 v2, v[0:1]
	global_store_b32 v[6:7], v2, off
.LBB22_2857:
	s_mov_b32 s0, 0
.LBB22_2858:
	s_delay_alu instid0(SALU_CYCLE_1)
	s_and_not1_b32 vcc_lo, exec_lo, s0
	s_cbranch_vccnz .LBB22_2860
; %bb.2859:
	v_cvt_f32_f64_e32 v2, v[0:1]
	s_delay_alu instid0(VALU_DEP_1)
	v_cvt_f16_f32_e32 v2, v2
	global_store_b16 v[6:7], v2, off
.LBB22_2860:
	s_mov_b32 s0, 0
.LBB22_2861:
	s_delay_alu instid0(SALU_CYCLE_1)
	s_and_not1_b32 vcc_lo, exec_lo, s0
	s_cbranch_vccnz .LBB22_2877
; %bb.2862:
	v_cmp_gt_i16_e32 vcc_lo, 2, v16
	s_mov_b32 s0, -1
	s_cbranch_vccnz .LBB22_2872
; %bb.2863:
	v_cmp_gt_i16_e32 vcc_lo, 3, v16
	s_cbranch_vccnz .LBB22_2869
; %bb.2864:
	v_cmp_lt_i16_e32 vcc_lo, 3, v16
	s_cbranch_vccz .LBB22_2866
; %bb.2865:
	v_trunc_f64_e32 v[2:3], v[0:1]
	s_mov_b32 s0, 0
	s_delay_alu instid0(VALU_DEP_1) | instskip(NEXT) | instid1(VALU_DEP_1)
	v_ldexp_f64 v[14:15], v[2:3], 0xffffffe0
	v_floor_f64_e32 v[14:15], v[14:15]
	s_delay_alu instid0(VALU_DEP_1) | instskip(SKIP_1) | instid1(VALU_DEP_2)
	v_fma_f64 v[2:3], 0xc1f00000, v[14:15], v[2:3]
	v_cvt_i32_f64_e32 v15, v[14:15]
	v_cvt_u32_f64_e32 v14, v[2:3]
	global_store_b64 v[6:7], v[14:15], off
.LBB22_2866:
	s_and_not1_b32 vcc_lo, exec_lo, s0
	s_cbranch_vccnz .LBB22_2868
; %bb.2867:
	v_cvt_i32_f64_e32 v2, v[0:1]
	global_store_b32 v[6:7], v2, off
.LBB22_2868:
	s_mov_b32 s0, 0
.LBB22_2869:
	s_delay_alu instid0(SALU_CYCLE_1)
	s_and_not1_b32 vcc_lo, exec_lo, s0
	s_cbranch_vccnz .LBB22_2871
; %bb.2870:
	v_cvt_i32_f64_e32 v2, v[0:1]
	global_store_b16 v[6:7], v2, off
.LBB22_2871:
	s_mov_b32 s0, 0
.LBB22_2872:
	s_delay_alu instid0(SALU_CYCLE_1)
	s_and_not1_b32 vcc_lo, exec_lo, s0
	s_cbranch_vccnz .LBB22_2877
; %bb.2873:
	v_cmp_lt_i16_e32 vcc_lo, 0, v16
	s_mov_b32 s0, -1
	s_cbranch_vccz .LBB22_2875
; %bb.2874:
	v_cvt_i32_f64_e32 v2, v[0:1]
	s_mov_b32 s0, 0
	global_store_b8 v[6:7], v2, off
.LBB22_2875:
	s_and_not1_b32 vcc_lo, exec_lo, s0
	s_cbranch_vccnz .LBB22_2877
; %bb.2876:
	v_trunc_f64_e32 v[0:1], v[0:1]
	s_delay_alu instid0(VALU_DEP_1) | instskip(NEXT) | instid1(VALU_DEP_1)
	v_ldexp_f64 v[2:3], v[0:1], 0xffffffe0
	v_floor_f64_e32 v[2:3], v[2:3]
	s_delay_alu instid0(VALU_DEP_1) | instskip(NEXT) | instid1(VALU_DEP_1)
	v_fma_f64 v[0:1], 0xc1f00000, v[2:3], v[0:1]
	v_cvt_u32_f64_e32 v0, v[0:1]
	global_store_b8 v[6:7], v0, off
.LBB22_2877:
	s_mov_b32 s2, -1
.LBB22_2878:
	s_delay_alu instid0(SALU_CYCLE_1)
	s_and_not1_b32 vcc_lo, exec_lo, s2
	s_cbranch_vccnz .LBB22_3193
; %bb.2879:
	s_lshl_b32 s1, s8, 7
	v_cmp_gt_i16_e32 vcc_lo, 11, v16
	v_add_nc_u32_e32 v2, s1, v10
	s_delay_alu instid0(VALU_DEP_1) | instskip(SKIP_1) | instid1(VALU_DEP_1)
	v_ashrrev_i32_e32 v1, 31, v2
	v_add_co_u32 v0, s0, s4, v2
	v_add_co_ci_u32_e64 v1, s0, s5, v1, s0
	s_cbranch_vccnz .LBB22_2957
; %bb.2880:
	v_cmp_lt_i16_e32 vcc_lo, 25, v16
	s_mov_b32 s6, -1
	s_mov_b32 s2, 0
	s_mov_b32 s3, 0
	;; [unrolled: 1-line block ×3, first 2 shown]
	s_cbranch_vccz .LBB22_2913
; %bb.2881:
	v_cmp_lt_i16_e32 vcc_lo, 28, v16
	s_cbranch_vccz .LBB22_2896
; %bb.2882:
	v_cmp_lt_i16_e32 vcc_lo, 43, v16
	;; [unrolled: 3-line block ×3, first 2 shown]
	s_cbranch_vccz .LBB22_2886
; %bb.2884:
	v_cmp_eq_u16_e32 vcc_lo, 46, v16
	s_mov_b32 s0, -1
	s_mov_b32 s6, 0
	s_cbranch_vccz .LBB22_2886
; %bb.2885:
	v_cvt_f32_f64_e32 v3, v[4:5]
	s_mov_b32 s0, 0
	s_mov_b32 s3, -1
	s_delay_alu instid0(VALU_DEP_1) | instskip(SKIP_1) | instid1(VALU_DEP_2)
	v_bfe_u32 v6, v3, 16, 1
	v_cmp_o_f32_e32 vcc_lo, v3, v3
	v_add3_u32 v6, v3, v6, 0x7fff
	s_delay_alu instid0(VALU_DEP_1) | instskip(NEXT) | instid1(VALU_DEP_1)
	v_lshrrev_b32_e32 v6, 16, v6
	v_cndmask_b32_e32 v3, 0x7fc0, v6, vcc_lo
	global_store_b32 v[0:1], v3, off
.LBB22_2886:
	s_and_b32 vcc_lo, exec_lo, s6
	s_cbranch_vccz .LBB22_2891
; %bb.2887:
	v_cmp_eq_u16_e32 vcc_lo, 44, v16
	s_mov_b32 s0, -1
	s_cbranch_vccz .LBB22_2891
; %bb.2888:
	v_cvt_f32_f64_e32 v3, v[4:5]
	v_mov_b32_e32 v6, 0xff
	s_mov_b32 s3, exec_lo
	s_delay_alu instid0(VALU_DEP_2) | instskip(NEXT) | instid1(VALU_DEP_1)
	v_bfe_u32 v7, v3, 23, 8
	v_cmpx_ne_u32_e32 0xff, v7
; %bb.2889:
	v_and_b32_e32 v6, 0x400000, v3
	v_and_or_b32 v7, 0x3fffff, v3, v7
	v_lshrrev_b32_e32 v3, 23, v3
	s_delay_alu instid0(VALU_DEP_3) | instskip(NEXT) | instid1(VALU_DEP_3)
	v_cmp_ne_u32_e32 vcc_lo, 0, v6
	v_cmp_ne_u32_e64 s0, 0, v7
	s_delay_alu instid0(VALU_DEP_1) | instskip(NEXT) | instid1(SALU_CYCLE_1)
	s_and_b32 s0, vcc_lo, s0
	v_cndmask_b32_e64 v6, 0, 1, s0
	s_delay_alu instid0(VALU_DEP_1)
	v_add_nc_u32_e32 v6, v3, v6
; %bb.2890:
	s_or_b32 exec_lo, exec_lo, s3
	s_mov_b32 s0, 0
	s_mov_b32 s3, -1
	global_store_b8 v[0:1], v6, off
.LBB22_2891:
	s_mov_b32 s6, 0
.LBB22_2892:
	s_delay_alu instid0(SALU_CYCLE_1)
	s_and_b32 vcc_lo, exec_lo, s6
	s_cbranch_vccz .LBB22_2895
; %bb.2893:
	v_cmp_eq_u16_e32 vcc_lo, 29, v16
	s_mov_b32 s0, -1
	s_cbranch_vccz .LBB22_2895
; %bb.2894:
	v_trunc_f64_e32 v[6:7], v[4:5]
	s_mov_b32 s0, 0
	s_mov_b32 s3, -1
	s_delay_alu instid0(VALU_DEP_1) | instskip(NEXT) | instid1(VALU_DEP_1)
	v_ldexp_f64 v[10:11], v[6:7], 0xffffffe0
	v_floor_f64_e32 v[10:11], v[10:11]
	s_delay_alu instid0(VALU_DEP_1) | instskip(SKIP_1) | instid1(VALU_DEP_2)
	v_fma_f64 v[6:7], 0xc1f00000, v[10:11], v[6:7]
	v_cvt_u32_f64_e32 v11, v[10:11]
	v_cvt_u32_f64_e32 v10, v[6:7]
	global_store_b64 v[0:1], v[10:11], off
.LBB22_2895:
	s_mov_b32 s6, 0
.LBB22_2896:
	s_delay_alu instid0(SALU_CYCLE_1)
	s_and_b32 vcc_lo, exec_lo, s6
	s_cbranch_vccz .LBB22_2912
; %bb.2897:
	v_cmp_gt_i16_e32 vcc_lo, 27, v16
	s_mov_b32 s3, -1
	s_cbranch_vccnz .LBB22_2903
; %bb.2898:
	v_cvt_u32_f64_e32 v3, v[4:5]
	v_cmp_lt_i16_e32 vcc_lo, 27, v16
	s_cbranch_vccz .LBB22_2900
; %bb.2899:
	s_mov_b32 s3, 0
	global_store_b32 v[0:1], v3, off
.LBB22_2900:
	s_and_not1_b32 vcc_lo, exec_lo, s3
	s_cbranch_vccnz .LBB22_2902
; %bb.2901:
	global_store_b16 v[0:1], v3, off
.LBB22_2902:
	s_mov_b32 s3, 0
.LBB22_2903:
	s_delay_alu instid0(SALU_CYCLE_1)
	s_and_not1_b32 vcc_lo, exec_lo, s3
	s_cbranch_vccnz .LBB22_2911
; %bb.2904:
	v_cvt_f32_f64_e32 v3, v[4:5]
	v_mov_b32_e32 v7, 0x80
	s_mov_b32 s3, exec_lo
	s_delay_alu instid0(VALU_DEP_2) | instskip(NEXT) | instid1(VALU_DEP_1)
	v_and_b32_e32 v6, 0x7fffffff, v3
	v_cmpx_gt_u32_e32 0x43800000, v6
	s_cbranch_execz .LBB22_2910
; %bb.2905:
	v_cmp_lt_u32_e32 vcc_lo, 0x3bffffff, v6
	s_mov_b32 s6, 0
                                        ; implicit-def: $vgpr6
	s_and_saveexec_b32 s7, vcc_lo
	s_delay_alu instid0(SALU_CYCLE_1)
	s_xor_b32 s7, exec_lo, s7
	s_cbranch_execz .LBB22_3205
; %bb.2906:
	v_bfe_u32 v6, v3, 20, 1
	s_mov_b32 s6, exec_lo
	s_delay_alu instid0(VALU_DEP_1) | instskip(NEXT) | instid1(VALU_DEP_1)
	v_add3_u32 v6, v3, v6, 0x487ffff
	v_lshrrev_b32_e32 v6, 20, v6
	s_or_saveexec_b32 s7, s7
                                        ; implicit-def: $sgpr8
	s_delay_alu instid0(SALU_CYCLE_1)
	s_xor_b32 exec_lo, exec_lo, s7
	s_cbranch_execnz .LBB22_3206
.LBB22_2907:
	s_or_b32 exec_lo, exec_lo, s7
	v_mov_b32_e32 v7, s8
	s_and_saveexec_b32 s7, s6
.LBB22_2908:
	v_lshrrev_b32_e32 v3, 24, v3
	s_delay_alu instid0(VALU_DEP_1)
	v_and_or_b32 v7, 0x80, v3, v6
.LBB22_2909:
	s_or_b32 exec_lo, exec_lo, s7
.LBB22_2910:
	s_delay_alu instid0(SALU_CYCLE_1)
	s_or_b32 exec_lo, exec_lo, s3
	global_store_b8 v[0:1], v7, off
.LBB22_2911:
	s_mov_b32 s3, -1
.LBB22_2912:
	s_mov_b32 s6, 0
.LBB22_2913:
	s_delay_alu instid0(SALU_CYCLE_1)
	s_and_b32 vcc_lo, exec_lo, s6
	s_cbranch_vccz .LBB22_2953
; %bb.2914:
	v_cmp_lt_i16_e32 vcc_lo, 22, v16
	s_mov_b32 s2, -1
	s_cbranch_vccz .LBB22_2946
; %bb.2915:
	v_cmp_gt_i16_e32 vcc_lo, 24, v16
	s_cbranch_vccnz .LBB22_2935
; %bb.2916:
	v_cmp_lt_i16_e32 vcc_lo, 24, v16
	s_cbranch_vccz .LBB22_2924
; %bb.2917:
	v_cvt_f32_f64_e32 v3, v[4:5]
	v_mov_b32_e32 v7, 0x80
	s_mov_b32 s2, exec_lo
	s_delay_alu instid0(VALU_DEP_2) | instskip(NEXT) | instid1(VALU_DEP_1)
	v_and_b32_e32 v6, 0x7fffffff, v3
	v_cmpx_gt_u32_e32 0x47800000, v6
	s_cbranch_execz .LBB22_2923
; %bb.2918:
	v_cmp_lt_u32_e32 vcc_lo, 0x37ffffff, v6
	s_mov_b32 s3, 0
                                        ; implicit-def: $vgpr6
	s_and_saveexec_b32 s6, vcc_lo
	s_delay_alu instid0(SALU_CYCLE_1)
	s_xor_b32 s6, exec_lo, s6
	s_cbranch_execz .LBB22_3211
; %bb.2919:
	v_bfe_u32 v6, v3, 21, 1
	s_mov_b32 s3, exec_lo
	s_delay_alu instid0(VALU_DEP_1) | instskip(NEXT) | instid1(VALU_DEP_1)
	v_add3_u32 v6, v3, v6, 0x88fffff
	v_lshrrev_b32_e32 v6, 21, v6
	s_or_saveexec_b32 s6, s6
                                        ; implicit-def: $sgpr7
	s_delay_alu instid0(SALU_CYCLE_1)
	s_xor_b32 exec_lo, exec_lo, s6
	s_cbranch_execnz .LBB22_3212
.LBB22_2920:
	s_or_b32 exec_lo, exec_lo, s6
	v_mov_b32_e32 v7, s7
	s_and_saveexec_b32 s6, s3
.LBB22_2921:
	v_lshrrev_b32_e32 v3, 24, v3
	s_delay_alu instid0(VALU_DEP_1)
	v_and_or_b32 v7, 0x80, v3, v6
.LBB22_2922:
	s_or_b32 exec_lo, exec_lo, s6
.LBB22_2923:
	s_delay_alu instid0(SALU_CYCLE_1)
	s_or_b32 exec_lo, exec_lo, s2
	s_mov_b32 s2, 0
	global_store_b8 v[0:1], v7, off
.LBB22_2924:
	s_and_b32 vcc_lo, exec_lo, s2
	s_cbranch_vccz .LBB22_2934
; %bb.2925:
	v_cvt_f32_f64_e32 v3, v[4:5]
	s_mov_b32 s2, exec_lo
                                        ; implicit-def: $vgpr6
	s_delay_alu instid0(VALU_DEP_1) | instskip(NEXT) | instid1(VALU_DEP_1)
	v_and_b32_e32 v7, 0x7fffffff, v3
	v_cmpx_gt_u32_e32 0x43f00000, v7
	s_xor_b32 s2, exec_lo, s2
	s_cbranch_execz .LBB22_2931
; %bb.2926:
	s_mov_b32 s3, exec_lo
                                        ; implicit-def: $vgpr6
	v_cmpx_lt_u32_e32 0x3c7fffff, v7
	s_xor_b32 s3, exec_lo, s3
; %bb.2927:
	v_bfe_u32 v6, v3, 20, 1
	s_delay_alu instid0(VALU_DEP_1) | instskip(NEXT) | instid1(VALU_DEP_1)
	v_add3_u32 v6, v3, v6, 0x407ffff
	v_and_b32_e32 v7, 0xff00000, v6
	v_lshrrev_b32_e32 v6, 20, v6
	s_delay_alu instid0(VALU_DEP_2) | instskip(NEXT) | instid1(VALU_DEP_2)
	v_cmp_ne_u32_e32 vcc_lo, 0x7f00000, v7
	v_cndmask_b32_e32 v6, 0x7e, v6, vcc_lo
; %bb.2928:
	s_and_not1_saveexec_b32 s3, s3
; %bb.2929:
	v_add_f32_e64 v6, 0x46800000, |v3|
; %bb.2930:
	s_or_b32 exec_lo, exec_lo, s3
                                        ; implicit-def: $vgpr7
.LBB22_2931:
	s_and_not1_saveexec_b32 s2, s2
; %bb.2932:
	v_mov_b32_e32 v6, 0x7f
	v_cmp_lt_u32_e32 vcc_lo, 0x7f800000, v7
	s_delay_alu instid0(VALU_DEP_2)
	v_cndmask_b32_e32 v6, 0x7e, v6, vcc_lo
; %bb.2933:
	s_or_b32 exec_lo, exec_lo, s2
	v_lshrrev_b32_e32 v3, 24, v3
	s_delay_alu instid0(VALU_DEP_1)
	v_and_or_b32 v3, 0x80, v3, v6
	global_store_b8 v[0:1], v3, off
.LBB22_2934:
	s_mov_b32 s2, 0
.LBB22_2935:
	s_delay_alu instid0(SALU_CYCLE_1)
	s_and_not1_b32 vcc_lo, exec_lo, s2
	s_cbranch_vccnz .LBB22_2945
; %bb.2936:
	v_cvt_f32_f64_e32 v3, v[4:5]
	s_mov_b32 s2, exec_lo
                                        ; implicit-def: $vgpr6
	s_delay_alu instid0(VALU_DEP_1) | instskip(NEXT) | instid1(VALU_DEP_1)
	v_and_b32_e32 v7, 0x7fffffff, v3
	v_cmpx_gt_u32_e32 0x47800000, v7
	s_xor_b32 s2, exec_lo, s2
	s_cbranch_execz .LBB22_2942
; %bb.2937:
	s_mov_b32 s3, exec_lo
                                        ; implicit-def: $vgpr6
	v_cmpx_lt_u32_e32 0x387fffff, v7
	s_xor_b32 s3, exec_lo, s3
; %bb.2938:
	v_bfe_u32 v6, v3, 21, 1
	s_delay_alu instid0(VALU_DEP_1) | instskip(NEXT) | instid1(VALU_DEP_1)
	v_add3_u32 v6, v3, v6, 0x80fffff
	v_lshrrev_b32_e32 v6, 21, v6
; %bb.2939:
	s_and_not1_saveexec_b32 s3, s3
; %bb.2940:
	v_add_f32_e64 v6, 0x43000000, |v3|
; %bb.2941:
	s_or_b32 exec_lo, exec_lo, s3
                                        ; implicit-def: $vgpr7
.LBB22_2942:
	s_and_not1_saveexec_b32 s2, s2
; %bb.2943:
	v_mov_b32_e32 v6, 0x7f
	v_cmp_lt_u32_e32 vcc_lo, 0x7f800000, v7
	s_delay_alu instid0(VALU_DEP_2)
	v_cndmask_b32_e32 v6, 0x7c, v6, vcc_lo
; %bb.2944:
	s_or_b32 exec_lo, exec_lo, s2
	v_lshrrev_b32_e32 v3, 24, v3
	s_delay_alu instid0(VALU_DEP_1)
	v_and_or_b32 v3, 0x80, v3, v6
	global_store_b8 v[0:1], v3, off
.LBB22_2945:
	s_mov_b32 s2, 0
	s_mov_b32 s3, -1
.LBB22_2946:
	s_and_not1_b32 vcc_lo, exec_lo, s2
	s_mov_b32 s2, 0
	s_cbranch_vccnz .LBB22_2953
; %bb.2947:
	v_cmp_lt_i16_e32 vcc_lo, 14, v16
	s_mov_b32 s2, -1
	s_cbranch_vccz .LBB22_2951
; %bb.2948:
	v_cmp_eq_u16_e32 vcc_lo, 15, v16
	s_mov_b32 s0, -1
	s_cbranch_vccz .LBB22_2950
; %bb.2949:
	v_cvt_f32_f64_e32 v3, v[4:5]
	s_mov_b32 s0, 0
	s_mov_b32 s3, -1
	s_delay_alu instid0(VALU_DEP_1) | instskip(SKIP_1) | instid1(VALU_DEP_2)
	v_bfe_u32 v6, v3, 16, 1
	v_cmp_o_f32_e32 vcc_lo, v3, v3
	v_add3_u32 v6, v3, v6, 0x7fff
	s_delay_alu instid0(VALU_DEP_1) | instskip(NEXT) | instid1(VALU_DEP_1)
	v_lshrrev_b32_e32 v6, 16, v6
	v_cndmask_b32_e32 v3, 0x7fc0, v6, vcc_lo
	global_store_b16 v[0:1], v3, off
.LBB22_2950:
	s_mov_b32 s2, 0
.LBB22_2951:
	s_delay_alu instid0(SALU_CYCLE_1)
	s_and_b32 vcc_lo, exec_lo, s2
	s_mov_b32 s2, 0
	s_cbranch_vccz .LBB22_2953
; %bb.2952:
	v_cmp_ne_u16_e64 s0, 11, v16
	s_mov_b32 s2, -1
.LBB22_2953:
	s_delay_alu instid0(VALU_DEP_1)
	s_and_b32 vcc_lo, exec_lo, s0
	s_cbranch_vccnz .LBB22_3209
; %bb.2954:
	s_and_not1_b32 vcc_lo, exec_lo, s2
	s_cbranch_vccnz .LBB22_2956
.LBB22_2955:
	v_cmp_neq_f64_e32 vcc_lo, 0, v[4:5]
	s_mov_b32 s3, -1
	v_cndmask_b32_e64 v3, 0, 1, vcc_lo
	global_store_b8 v[0:1], v3, off
.LBB22_2956:
	s_mov_b32 s0, 0
	s_branch .LBB22_2958
.LBB22_2957:
	s_mov_b32 s0, -1
	s_mov_b32 s3, 0
.LBB22_2958:
	s_and_b32 vcc_lo, exec_lo, s0
	s_cbranch_vccz .LBB22_2997
; %bb.2959:
	v_cmp_gt_i16_e32 vcc_lo, 5, v16
	s_mov_b32 s0, -1
	s_cbranch_vccnz .LBB22_2980
; %bb.2960:
	v_cmp_gt_i16_e32 vcc_lo, 8, v16
	s_cbranch_vccnz .LBB22_2970
; %bb.2961:
	v_cmp_gt_i16_e32 vcc_lo, 9, v16
	s_cbranch_vccnz .LBB22_2967
; %bb.2962:
	v_cmp_lt_i16_e32 vcc_lo, 9, v16
	s_cbranch_vccz .LBB22_2964
; %bb.2963:
	v_mov_b32_e32 v6, 0
	s_mov_b32 s0, 0
	s_delay_alu instid0(VALU_DEP_1)
	v_mov_b32_e32 v7, v6
	global_store_b128 v[0:1], v[4:7], off
.LBB22_2964:
	s_and_not1_b32 vcc_lo, exec_lo, s0
	s_cbranch_vccnz .LBB22_2966
; %bb.2965:
	v_cvt_f32_f64_e32 v6, v[4:5]
	v_mov_b32_e32 v7, 0
	global_store_b64 v[0:1], v[6:7], off
.LBB22_2966:
	s_mov_b32 s0, 0
.LBB22_2967:
	s_delay_alu instid0(SALU_CYCLE_1)
	s_and_not1_b32 vcc_lo, exec_lo, s0
	s_cbranch_vccnz .LBB22_2969
; %bb.2968:
	v_cvt_f32_f64_e32 v3, v[4:5]
	s_delay_alu instid0(VALU_DEP_1) | instskip(NEXT) | instid1(VALU_DEP_1)
	v_cvt_f16_f32_e32 v3, v3
	v_and_b32_e32 v3, 0xffff, v3
	global_store_b32 v[0:1], v3, off
.LBB22_2969:
	s_mov_b32 s0, 0
.LBB22_2970:
	s_delay_alu instid0(SALU_CYCLE_1)
	s_and_not1_b32 vcc_lo, exec_lo, s0
	s_cbranch_vccnz .LBB22_2979
; %bb.2971:
	v_cmp_gt_i16_e32 vcc_lo, 6, v16
	s_mov_b32 s0, -1
	s_cbranch_vccnz .LBB22_2977
; %bb.2972:
	v_cmp_lt_i16_e32 vcc_lo, 6, v16
	s_cbranch_vccz .LBB22_2974
; %bb.2973:
	s_mov_b32 s0, 0
	global_store_b64 v[0:1], v[4:5], off
.LBB22_2974:
	s_and_not1_b32 vcc_lo, exec_lo, s0
	s_cbranch_vccnz .LBB22_2976
; %bb.2975:
	v_cvt_f32_f64_e32 v3, v[4:5]
	global_store_b32 v[0:1], v3, off
.LBB22_2976:
	s_mov_b32 s0, 0
.LBB22_2977:
	s_delay_alu instid0(SALU_CYCLE_1)
	s_and_not1_b32 vcc_lo, exec_lo, s0
	s_cbranch_vccnz .LBB22_2979
; %bb.2978:
	v_cvt_f32_f64_e32 v3, v[4:5]
	s_delay_alu instid0(VALU_DEP_1)
	v_cvt_f16_f32_e32 v3, v3
	global_store_b16 v[0:1], v3, off
.LBB22_2979:
	s_mov_b32 s0, 0
.LBB22_2980:
	s_delay_alu instid0(SALU_CYCLE_1)
	s_and_not1_b32 vcc_lo, exec_lo, s0
	s_cbranch_vccnz .LBB22_2996
; %bb.2981:
	v_cmp_gt_i16_e32 vcc_lo, 2, v16
	s_mov_b32 s0, -1
	s_cbranch_vccnz .LBB22_2991
; %bb.2982:
	v_cmp_gt_i16_e32 vcc_lo, 3, v16
	s_cbranch_vccnz .LBB22_2988
; %bb.2983:
	v_cmp_lt_i16_e32 vcc_lo, 3, v16
	s_cbranch_vccz .LBB22_2985
; %bb.2984:
	v_trunc_f64_e32 v[6:7], v[4:5]
	s_mov_b32 s0, 0
	s_delay_alu instid0(VALU_DEP_1) | instskip(NEXT) | instid1(VALU_DEP_1)
	v_ldexp_f64 v[10:11], v[6:7], 0xffffffe0
	v_floor_f64_e32 v[10:11], v[10:11]
	s_delay_alu instid0(VALU_DEP_1) | instskip(SKIP_1) | instid1(VALU_DEP_2)
	v_fma_f64 v[6:7], 0xc1f00000, v[10:11], v[6:7]
	v_cvt_i32_f64_e32 v11, v[10:11]
	v_cvt_u32_f64_e32 v10, v[6:7]
	global_store_b64 v[0:1], v[10:11], off
.LBB22_2985:
	s_and_not1_b32 vcc_lo, exec_lo, s0
	s_cbranch_vccnz .LBB22_2987
; %bb.2986:
	v_cvt_i32_f64_e32 v3, v[4:5]
	global_store_b32 v[0:1], v3, off
.LBB22_2987:
	s_mov_b32 s0, 0
.LBB22_2988:
	s_delay_alu instid0(SALU_CYCLE_1)
	s_and_not1_b32 vcc_lo, exec_lo, s0
	s_cbranch_vccnz .LBB22_2990
; %bb.2989:
	v_cvt_i32_f64_e32 v3, v[4:5]
	global_store_b16 v[0:1], v3, off
.LBB22_2990:
	s_mov_b32 s0, 0
.LBB22_2991:
	s_delay_alu instid0(SALU_CYCLE_1)
	s_and_not1_b32 vcc_lo, exec_lo, s0
	s_cbranch_vccnz .LBB22_2996
; %bb.2992:
	v_cmp_lt_i16_e32 vcc_lo, 0, v16
	s_mov_b32 s0, -1
	s_cbranch_vccz .LBB22_2994
; %bb.2993:
	v_cvt_i32_f64_e32 v3, v[4:5]
	s_mov_b32 s0, 0
	global_store_b8 v[0:1], v3, off
.LBB22_2994:
	s_and_not1_b32 vcc_lo, exec_lo, s0
	s_cbranch_vccnz .LBB22_2996
; %bb.2995:
	v_trunc_f64_e32 v[3:4], v[4:5]
	s_delay_alu instid0(VALU_DEP_1) | instskip(NEXT) | instid1(VALU_DEP_1)
	v_ldexp_f64 v[5:6], v[3:4], 0xffffffe0
	v_floor_f64_e32 v[5:6], v[5:6]
	s_delay_alu instid0(VALU_DEP_1) | instskip(NEXT) | instid1(VALU_DEP_1)
	v_fma_f64 v[3:4], 0xc1f00000, v[5:6], v[3:4]
	v_cvt_u32_f64_e32 v3, v[3:4]
	global_store_b8 v[0:1], v3, off
.LBB22_2996:
	s_mov_b32 s3, -1
.LBB22_2997:
	s_delay_alu instid0(SALU_CYCLE_1)
	s_and_not1_b32 vcc_lo, exec_lo, s3
	s_cbranch_vccnz .LBB22_3193
; %bb.2998:
	v_add_nc_u32_e32 v2, s1, v2
	v_cmp_gt_i16_e32 vcc_lo, 11, v16
	s_delay_alu instid0(VALU_DEP_2) | instskip(SKIP_1) | instid1(VALU_DEP_1)
	v_ashrrev_i32_e32 v1, 31, v2
	v_add_co_u32 v0, s0, s4, v2
	v_add_co_ci_u32_e64 v1, s0, s5, v1, s0
	s_cbranch_vccnz .LBB22_3076
; %bb.2999:
	v_cmp_lt_i16_e32 vcc_lo, 25, v16
	s_mov_b32 s6, -1
	s_mov_b32 s2, 0
	s_mov_b32 s3, 0
	;; [unrolled: 1-line block ×3, first 2 shown]
	s_cbranch_vccz .LBB22_3032
; %bb.3000:
	v_cmp_lt_i16_e32 vcc_lo, 28, v16
	s_cbranch_vccz .LBB22_3015
; %bb.3001:
	v_cmp_lt_i16_e32 vcc_lo, 43, v16
	;; [unrolled: 3-line block ×3, first 2 shown]
	s_cbranch_vccz .LBB22_3005
; %bb.3003:
	v_cmp_eq_u16_e32 vcc_lo, 46, v16
	s_mov_b32 s0, -1
	s_mov_b32 s6, 0
	s_cbranch_vccz .LBB22_3005
; %bb.3004:
	v_cvt_f32_f64_e32 v3, v[8:9]
	s_mov_b32 s0, 0
	s_mov_b32 s3, -1
	s_delay_alu instid0(VALU_DEP_1) | instskip(SKIP_1) | instid1(VALU_DEP_2)
	v_bfe_u32 v4, v3, 16, 1
	v_cmp_o_f32_e32 vcc_lo, v3, v3
	v_add3_u32 v4, v3, v4, 0x7fff
	s_delay_alu instid0(VALU_DEP_1) | instskip(NEXT) | instid1(VALU_DEP_1)
	v_lshrrev_b32_e32 v4, 16, v4
	v_cndmask_b32_e32 v3, 0x7fc0, v4, vcc_lo
	global_store_b32 v[0:1], v3, off
.LBB22_3005:
	s_and_b32 vcc_lo, exec_lo, s6
	s_cbranch_vccz .LBB22_3010
; %bb.3006:
	v_cmp_eq_u16_e32 vcc_lo, 44, v16
	s_mov_b32 s0, -1
	s_cbranch_vccz .LBB22_3010
; %bb.3007:
	v_cvt_f32_f64_e32 v3, v[8:9]
	v_mov_b32_e32 v4, 0xff
	s_mov_b32 s3, exec_lo
	s_delay_alu instid0(VALU_DEP_2) | instskip(NEXT) | instid1(VALU_DEP_1)
	v_bfe_u32 v5, v3, 23, 8
	v_cmpx_ne_u32_e32 0xff, v5
; %bb.3008:
	v_and_b32_e32 v4, 0x400000, v3
	v_and_or_b32 v5, 0x3fffff, v3, v5
	v_lshrrev_b32_e32 v3, 23, v3
	s_delay_alu instid0(VALU_DEP_3) | instskip(NEXT) | instid1(VALU_DEP_3)
	v_cmp_ne_u32_e32 vcc_lo, 0, v4
	v_cmp_ne_u32_e64 s0, 0, v5
	s_delay_alu instid0(VALU_DEP_1) | instskip(NEXT) | instid1(SALU_CYCLE_1)
	s_and_b32 s0, vcc_lo, s0
	v_cndmask_b32_e64 v4, 0, 1, s0
	s_delay_alu instid0(VALU_DEP_1)
	v_add_nc_u32_e32 v4, v3, v4
; %bb.3009:
	s_or_b32 exec_lo, exec_lo, s3
	s_mov_b32 s0, 0
	s_mov_b32 s3, -1
	global_store_b8 v[0:1], v4, off
.LBB22_3010:
	s_mov_b32 s6, 0
.LBB22_3011:
	s_delay_alu instid0(SALU_CYCLE_1)
	s_and_b32 vcc_lo, exec_lo, s6
	s_cbranch_vccz .LBB22_3014
; %bb.3012:
	v_cmp_eq_u16_e32 vcc_lo, 29, v16
	s_mov_b32 s0, -1
	s_cbranch_vccz .LBB22_3014
; %bb.3013:
	v_trunc_f64_e32 v[3:4], v[8:9]
	s_mov_b32 s0, 0
	s_mov_b32 s3, -1
	s_delay_alu instid0(VALU_DEP_1) | instskip(NEXT) | instid1(VALU_DEP_1)
	v_ldexp_f64 v[5:6], v[3:4], 0xffffffe0
	v_floor_f64_e32 v[5:6], v[5:6]
	s_delay_alu instid0(VALU_DEP_1) | instskip(SKIP_1) | instid1(VALU_DEP_2)
	v_fma_f64 v[3:4], 0xc1f00000, v[5:6], v[3:4]
	v_cvt_u32_f64_e32 v5, v[5:6]
	v_cvt_u32_f64_e32 v4, v[3:4]
	global_store_b64 v[0:1], v[4:5], off
.LBB22_3014:
	s_mov_b32 s6, 0
.LBB22_3015:
	s_delay_alu instid0(SALU_CYCLE_1)
	s_and_b32 vcc_lo, exec_lo, s6
	s_cbranch_vccz .LBB22_3031
; %bb.3016:
	v_cmp_gt_i16_e32 vcc_lo, 27, v16
	s_mov_b32 s3, -1
	s_cbranch_vccnz .LBB22_3022
; %bb.3017:
	v_cmp_lt_i16_e32 vcc_lo, 27, v16
	s_cbranch_vccz .LBB22_3019
; %bb.3018:
	v_cvt_u32_f64_e32 v3, v[8:9]
	s_mov_b32 s3, 0
	global_store_b32 v[0:1], v3, off
.LBB22_3019:
	s_and_not1_b32 vcc_lo, exec_lo, s3
	s_cbranch_vccnz .LBB22_3021
; %bb.3020:
	v_cvt_u32_f64_e32 v3, v[8:9]
	global_store_b16 v[0:1], v3, off
.LBB22_3021:
	s_mov_b32 s3, 0
.LBB22_3022:
	s_delay_alu instid0(SALU_CYCLE_1)
	s_and_not1_b32 vcc_lo, exec_lo, s3
	s_cbranch_vccnz .LBB22_3030
; %bb.3023:
	v_cvt_f32_f64_e32 v3, v[8:9]
	v_mov_b32_e32 v5, 0x80
	s_mov_b32 s3, exec_lo
	s_delay_alu instid0(VALU_DEP_2) | instskip(NEXT) | instid1(VALU_DEP_1)
	v_and_b32_e32 v4, 0x7fffffff, v3
	v_cmpx_gt_u32_e32 0x43800000, v4
	s_cbranch_execz .LBB22_3029
; %bb.3024:
	v_cmp_lt_u32_e32 vcc_lo, 0x3bffffff, v4
	s_mov_b32 s6, 0
                                        ; implicit-def: $vgpr4
	s_and_saveexec_b32 s7, vcc_lo
	s_delay_alu instid0(SALU_CYCLE_1)
	s_xor_b32 s7, exec_lo, s7
	s_cbranch_execz .LBB22_3213
; %bb.3025:
	v_bfe_u32 v4, v3, 20, 1
	s_mov_b32 s6, exec_lo
	s_delay_alu instid0(VALU_DEP_1) | instskip(NEXT) | instid1(VALU_DEP_1)
	v_add3_u32 v4, v3, v4, 0x487ffff
	v_lshrrev_b32_e32 v4, 20, v4
	s_or_saveexec_b32 s7, s7
                                        ; implicit-def: $sgpr8
	s_delay_alu instid0(SALU_CYCLE_1)
	s_xor_b32 exec_lo, exec_lo, s7
	s_cbranch_execnz .LBB22_3214
.LBB22_3026:
	s_or_b32 exec_lo, exec_lo, s7
	v_mov_b32_e32 v5, s8
	s_and_saveexec_b32 s7, s6
.LBB22_3027:
	v_lshrrev_b32_e32 v3, 24, v3
	s_delay_alu instid0(VALU_DEP_1)
	v_and_or_b32 v5, 0x80, v3, v4
.LBB22_3028:
	s_or_b32 exec_lo, exec_lo, s7
.LBB22_3029:
	s_delay_alu instid0(SALU_CYCLE_1)
	s_or_b32 exec_lo, exec_lo, s3
	global_store_b8 v[0:1], v5, off
.LBB22_3030:
	s_mov_b32 s3, -1
.LBB22_3031:
	s_mov_b32 s6, 0
.LBB22_3032:
	s_delay_alu instid0(SALU_CYCLE_1)
	s_and_b32 vcc_lo, exec_lo, s6
	s_cbranch_vccz .LBB22_3072
; %bb.3033:
	v_cmp_lt_i16_e32 vcc_lo, 22, v16
	s_mov_b32 s2, -1
	s_cbranch_vccz .LBB22_3065
; %bb.3034:
	v_cmp_gt_i16_e32 vcc_lo, 24, v16
	s_cbranch_vccnz .LBB22_3054
; %bb.3035:
	v_cmp_lt_i16_e32 vcc_lo, 24, v16
	s_cbranch_vccz .LBB22_3043
; %bb.3036:
	v_cvt_f32_f64_e32 v3, v[8:9]
	v_mov_b32_e32 v5, 0x80
	s_mov_b32 s2, exec_lo
	s_delay_alu instid0(VALU_DEP_2) | instskip(NEXT) | instid1(VALU_DEP_1)
	v_and_b32_e32 v4, 0x7fffffff, v3
	v_cmpx_gt_u32_e32 0x47800000, v4
	s_cbranch_execz .LBB22_3042
; %bb.3037:
	v_cmp_lt_u32_e32 vcc_lo, 0x37ffffff, v4
	s_mov_b32 s3, 0
                                        ; implicit-def: $vgpr4
	s_and_saveexec_b32 s6, vcc_lo
	s_delay_alu instid0(SALU_CYCLE_1)
	s_xor_b32 s6, exec_lo, s6
	s_cbranch_execz .LBB22_3219
; %bb.3038:
	v_bfe_u32 v4, v3, 21, 1
	s_mov_b32 s3, exec_lo
	s_delay_alu instid0(VALU_DEP_1) | instskip(NEXT) | instid1(VALU_DEP_1)
	v_add3_u32 v4, v3, v4, 0x88fffff
	v_lshrrev_b32_e32 v4, 21, v4
	s_or_saveexec_b32 s6, s6
                                        ; implicit-def: $sgpr7
	s_delay_alu instid0(SALU_CYCLE_1)
	s_xor_b32 exec_lo, exec_lo, s6
	s_cbranch_execnz .LBB22_3220
.LBB22_3039:
	s_or_b32 exec_lo, exec_lo, s6
	v_mov_b32_e32 v5, s7
	s_and_saveexec_b32 s6, s3
.LBB22_3040:
	v_lshrrev_b32_e32 v3, 24, v3
	s_delay_alu instid0(VALU_DEP_1)
	v_and_or_b32 v5, 0x80, v3, v4
.LBB22_3041:
	s_or_b32 exec_lo, exec_lo, s6
.LBB22_3042:
	s_delay_alu instid0(SALU_CYCLE_1)
	s_or_b32 exec_lo, exec_lo, s2
	s_mov_b32 s2, 0
	global_store_b8 v[0:1], v5, off
.LBB22_3043:
	s_and_b32 vcc_lo, exec_lo, s2
	s_cbranch_vccz .LBB22_3053
; %bb.3044:
	v_cvt_f32_f64_e32 v3, v[8:9]
	s_mov_b32 s2, exec_lo
                                        ; implicit-def: $vgpr4
	s_delay_alu instid0(VALU_DEP_1) | instskip(NEXT) | instid1(VALU_DEP_1)
	v_and_b32_e32 v5, 0x7fffffff, v3
	v_cmpx_gt_u32_e32 0x43f00000, v5
	s_xor_b32 s2, exec_lo, s2
	s_cbranch_execz .LBB22_3050
; %bb.3045:
	s_mov_b32 s3, exec_lo
                                        ; implicit-def: $vgpr4
	v_cmpx_lt_u32_e32 0x3c7fffff, v5
	s_xor_b32 s3, exec_lo, s3
; %bb.3046:
	v_bfe_u32 v4, v3, 20, 1
	s_delay_alu instid0(VALU_DEP_1) | instskip(NEXT) | instid1(VALU_DEP_1)
	v_add3_u32 v4, v3, v4, 0x407ffff
	v_and_b32_e32 v5, 0xff00000, v4
	v_lshrrev_b32_e32 v4, 20, v4
	s_delay_alu instid0(VALU_DEP_2) | instskip(NEXT) | instid1(VALU_DEP_2)
	v_cmp_ne_u32_e32 vcc_lo, 0x7f00000, v5
	v_cndmask_b32_e32 v4, 0x7e, v4, vcc_lo
; %bb.3047:
	s_and_not1_saveexec_b32 s3, s3
; %bb.3048:
	v_add_f32_e64 v4, 0x46800000, |v3|
; %bb.3049:
	s_or_b32 exec_lo, exec_lo, s3
                                        ; implicit-def: $vgpr5
.LBB22_3050:
	s_and_not1_saveexec_b32 s2, s2
; %bb.3051:
	v_mov_b32_e32 v4, 0x7f
	v_cmp_lt_u32_e32 vcc_lo, 0x7f800000, v5
	s_delay_alu instid0(VALU_DEP_2)
	v_cndmask_b32_e32 v4, 0x7e, v4, vcc_lo
; %bb.3052:
	s_or_b32 exec_lo, exec_lo, s2
	v_lshrrev_b32_e32 v3, 24, v3
	s_delay_alu instid0(VALU_DEP_1)
	v_and_or_b32 v3, 0x80, v3, v4
	global_store_b8 v[0:1], v3, off
.LBB22_3053:
	s_mov_b32 s2, 0
.LBB22_3054:
	s_delay_alu instid0(SALU_CYCLE_1)
	s_and_not1_b32 vcc_lo, exec_lo, s2
	s_cbranch_vccnz .LBB22_3064
; %bb.3055:
	v_cvt_f32_f64_e32 v3, v[8:9]
	s_mov_b32 s2, exec_lo
                                        ; implicit-def: $vgpr4
	s_delay_alu instid0(VALU_DEP_1) | instskip(NEXT) | instid1(VALU_DEP_1)
	v_and_b32_e32 v5, 0x7fffffff, v3
	v_cmpx_gt_u32_e32 0x47800000, v5
	s_xor_b32 s2, exec_lo, s2
	s_cbranch_execz .LBB22_3061
; %bb.3056:
	s_mov_b32 s3, exec_lo
                                        ; implicit-def: $vgpr4
	v_cmpx_lt_u32_e32 0x387fffff, v5
	s_xor_b32 s3, exec_lo, s3
; %bb.3057:
	v_bfe_u32 v4, v3, 21, 1
	s_delay_alu instid0(VALU_DEP_1) | instskip(NEXT) | instid1(VALU_DEP_1)
	v_add3_u32 v4, v3, v4, 0x80fffff
	v_lshrrev_b32_e32 v4, 21, v4
; %bb.3058:
	s_and_not1_saveexec_b32 s3, s3
; %bb.3059:
	v_add_f32_e64 v4, 0x43000000, |v3|
; %bb.3060:
	s_or_b32 exec_lo, exec_lo, s3
                                        ; implicit-def: $vgpr5
.LBB22_3061:
	s_and_not1_saveexec_b32 s2, s2
; %bb.3062:
	v_mov_b32_e32 v4, 0x7f
	v_cmp_lt_u32_e32 vcc_lo, 0x7f800000, v5
	s_delay_alu instid0(VALU_DEP_2)
	v_cndmask_b32_e32 v4, 0x7c, v4, vcc_lo
; %bb.3063:
	s_or_b32 exec_lo, exec_lo, s2
	v_lshrrev_b32_e32 v3, 24, v3
	s_delay_alu instid0(VALU_DEP_1)
	v_and_or_b32 v3, 0x80, v3, v4
	global_store_b8 v[0:1], v3, off
.LBB22_3064:
	s_mov_b32 s2, 0
	s_mov_b32 s3, -1
.LBB22_3065:
	s_and_not1_b32 vcc_lo, exec_lo, s2
	s_mov_b32 s2, 0
	s_cbranch_vccnz .LBB22_3072
; %bb.3066:
	v_cmp_lt_i16_e32 vcc_lo, 14, v16
	s_mov_b32 s2, -1
	s_cbranch_vccz .LBB22_3070
; %bb.3067:
	v_cmp_eq_u16_e32 vcc_lo, 15, v16
	s_mov_b32 s0, -1
	s_cbranch_vccz .LBB22_3069
; %bb.3068:
	v_cvt_f32_f64_e32 v3, v[8:9]
	s_mov_b32 s0, 0
	s_mov_b32 s3, -1
	s_delay_alu instid0(VALU_DEP_1) | instskip(SKIP_1) | instid1(VALU_DEP_2)
	v_bfe_u32 v4, v3, 16, 1
	v_cmp_o_f32_e32 vcc_lo, v3, v3
	v_add3_u32 v4, v3, v4, 0x7fff
	s_delay_alu instid0(VALU_DEP_1) | instskip(NEXT) | instid1(VALU_DEP_1)
	v_lshrrev_b32_e32 v4, 16, v4
	v_cndmask_b32_e32 v3, 0x7fc0, v4, vcc_lo
	global_store_b16 v[0:1], v3, off
.LBB22_3069:
	s_mov_b32 s2, 0
.LBB22_3070:
	s_delay_alu instid0(SALU_CYCLE_1)
	s_and_b32 vcc_lo, exec_lo, s2
	s_mov_b32 s2, 0
	s_cbranch_vccz .LBB22_3072
; %bb.3071:
	v_cmp_ne_u16_e64 s0, 11, v16
	s_mov_b32 s2, -1
.LBB22_3072:
	s_delay_alu instid0(VALU_DEP_1)
	s_and_b32 vcc_lo, exec_lo, s0
	s_cbranch_vccnz .LBB22_3217
; %bb.3073:
	s_and_not1_b32 vcc_lo, exec_lo, s2
	s_cbranch_vccnz .LBB22_3075
.LBB22_3074:
	v_cmp_neq_f64_e32 vcc_lo, 0, v[8:9]
	s_mov_b32 s3, -1
	v_cndmask_b32_e64 v3, 0, 1, vcc_lo
	global_store_b8 v[0:1], v3, off
.LBB22_3075:
	s_mov_b32 s0, 0
	s_branch .LBB22_3077
.LBB22_3076:
	s_mov_b32 s0, -1
	s_mov_b32 s3, 0
.LBB22_3077:
	s_and_b32 vcc_lo, exec_lo, s0
	s_cbranch_vccz .LBB22_3116
; %bb.3078:
	v_cmp_gt_i16_e32 vcc_lo, 5, v16
	s_mov_b32 s0, -1
	s_cbranch_vccnz .LBB22_3099
; %bb.3079:
	v_cmp_gt_i16_e32 vcc_lo, 8, v16
	s_cbranch_vccnz .LBB22_3089
; %bb.3080:
	v_cmp_gt_i16_e32 vcc_lo, 9, v16
	s_cbranch_vccnz .LBB22_3086
; %bb.3081:
	v_cmp_lt_i16_e32 vcc_lo, 9, v16
	s_cbranch_vccz .LBB22_3083
; %bb.3082:
	v_mov_b32_e32 v10, 0
	s_mov_b32 s0, 0
	s_delay_alu instid0(VALU_DEP_1)
	v_mov_b32_e32 v11, v10
	global_store_b128 v[0:1], v[8:11], off
.LBB22_3083:
	s_and_not1_b32 vcc_lo, exec_lo, s0
	s_cbranch_vccnz .LBB22_3085
; %bb.3084:
	v_cvt_f32_f64_e32 v3, v[8:9]
	v_mov_b32_e32 v4, 0
	global_store_b64 v[0:1], v[3:4], off
.LBB22_3085:
	s_mov_b32 s0, 0
.LBB22_3086:
	s_delay_alu instid0(SALU_CYCLE_1)
	s_and_not1_b32 vcc_lo, exec_lo, s0
	s_cbranch_vccnz .LBB22_3088
; %bb.3087:
	v_cvt_f32_f64_e32 v3, v[8:9]
	s_delay_alu instid0(VALU_DEP_1) | instskip(NEXT) | instid1(VALU_DEP_1)
	v_cvt_f16_f32_e32 v3, v3
	v_and_b32_e32 v3, 0xffff, v3
	global_store_b32 v[0:1], v3, off
.LBB22_3088:
	s_mov_b32 s0, 0
.LBB22_3089:
	s_delay_alu instid0(SALU_CYCLE_1)
	s_and_not1_b32 vcc_lo, exec_lo, s0
	s_cbranch_vccnz .LBB22_3098
; %bb.3090:
	v_cmp_gt_i16_e32 vcc_lo, 6, v16
	s_mov_b32 s0, -1
	s_cbranch_vccnz .LBB22_3096
; %bb.3091:
	v_cmp_lt_i16_e32 vcc_lo, 6, v16
	s_cbranch_vccz .LBB22_3093
; %bb.3092:
	s_mov_b32 s0, 0
	global_store_b64 v[0:1], v[8:9], off
.LBB22_3093:
	s_and_not1_b32 vcc_lo, exec_lo, s0
	s_cbranch_vccnz .LBB22_3095
; %bb.3094:
	v_cvt_f32_f64_e32 v3, v[8:9]
	global_store_b32 v[0:1], v3, off
.LBB22_3095:
	s_mov_b32 s0, 0
.LBB22_3096:
	s_delay_alu instid0(SALU_CYCLE_1)
	s_and_not1_b32 vcc_lo, exec_lo, s0
	s_cbranch_vccnz .LBB22_3098
; %bb.3097:
	v_cvt_f32_f64_e32 v3, v[8:9]
	s_delay_alu instid0(VALU_DEP_1)
	v_cvt_f16_f32_e32 v3, v3
	global_store_b16 v[0:1], v3, off
.LBB22_3098:
	s_mov_b32 s0, 0
.LBB22_3099:
	s_delay_alu instid0(SALU_CYCLE_1)
	s_and_not1_b32 vcc_lo, exec_lo, s0
	s_cbranch_vccnz .LBB22_3115
; %bb.3100:
	v_cmp_gt_i16_e32 vcc_lo, 2, v16
	s_mov_b32 s0, -1
	s_cbranch_vccnz .LBB22_3110
; %bb.3101:
	v_cmp_gt_i16_e32 vcc_lo, 3, v16
	s_cbranch_vccnz .LBB22_3107
; %bb.3102:
	v_cmp_lt_i16_e32 vcc_lo, 3, v16
	s_cbranch_vccz .LBB22_3104
; %bb.3103:
	v_trunc_f64_e32 v[3:4], v[8:9]
	s_mov_b32 s0, 0
	s_delay_alu instid0(VALU_DEP_1) | instskip(NEXT) | instid1(VALU_DEP_1)
	v_ldexp_f64 v[5:6], v[3:4], 0xffffffe0
	v_floor_f64_e32 v[5:6], v[5:6]
	s_delay_alu instid0(VALU_DEP_1) | instskip(SKIP_1) | instid1(VALU_DEP_2)
	v_fma_f64 v[3:4], 0xc1f00000, v[5:6], v[3:4]
	v_cvt_i32_f64_e32 v5, v[5:6]
	v_cvt_u32_f64_e32 v4, v[3:4]
	global_store_b64 v[0:1], v[4:5], off
.LBB22_3104:
	s_and_not1_b32 vcc_lo, exec_lo, s0
	s_cbranch_vccnz .LBB22_3106
; %bb.3105:
	v_cvt_i32_f64_e32 v3, v[8:9]
	global_store_b32 v[0:1], v3, off
.LBB22_3106:
	s_mov_b32 s0, 0
.LBB22_3107:
	s_delay_alu instid0(SALU_CYCLE_1)
	s_and_not1_b32 vcc_lo, exec_lo, s0
	s_cbranch_vccnz .LBB22_3109
; %bb.3108:
	v_cvt_i32_f64_e32 v3, v[8:9]
	global_store_b16 v[0:1], v3, off
.LBB22_3109:
	s_mov_b32 s0, 0
.LBB22_3110:
	s_delay_alu instid0(SALU_CYCLE_1)
	s_and_not1_b32 vcc_lo, exec_lo, s0
	s_cbranch_vccnz .LBB22_3115
; %bb.3111:
	v_cmp_lt_i16_e32 vcc_lo, 0, v16
	s_mov_b32 s0, -1
	s_cbranch_vccz .LBB22_3113
; %bb.3112:
	v_cvt_i32_f64_e32 v3, v[8:9]
	s_mov_b32 s0, 0
	global_store_b8 v[0:1], v3, off
.LBB22_3113:
	s_and_not1_b32 vcc_lo, exec_lo, s0
	s_cbranch_vccnz .LBB22_3115
; %bb.3114:
	v_trunc_f64_e32 v[3:4], v[8:9]
	s_delay_alu instid0(VALU_DEP_1) | instskip(NEXT) | instid1(VALU_DEP_1)
	v_ldexp_f64 v[5:6], v[3:4], 0xffffffe0
	v_floor_f64_e32 v[5:6], v[5:6]
	s_delay_alu instid0(VALU_DEP_1) | instskip(NEXT) | instid1(VALU_DEP_1)
	v_fma_f64 v[3:4], 0xc1f00000, v[5:6], v[3:4]
	v_cvt_u32_f64_e32 v3, v[3:4]
	global_store_b8 v[0:1], v3, off
.LBB22_3115:
	s_mov_b32 s3, -1
.LBB22_3116:
	s_delay_alu instid0(SALU_CYCLE_1)
	s_and_not1_b32 vcc_lo, exec_lo, s3
	s_cbranch_vccnz .LBB22_3193
; %bb.3117:
	v_add_nc_u32_e32 v0, s1, v2
	v_cmp_gt_i16_e32 vcc_lo, 11, v16
	s_delay_alu instid0(VALU_DEP_2) | instskip(SKIP_1) | instid1(VALU_DEP_1)
	v_ashrrev_i32_e32 v1, 31, v0
	v_add_co_u32 v0, s0, s4, v0
	v_add_co_ci_u32_e64 v1, s0, s5, v1, s0
	s_cbranch_vccnz .LBB22_3194
; %bb.3118:
	v_cmp_lt_i16_e32 vcc_lo, 25, v16
	s_mov_b32 s2, -1
	s_mov_b32 s1, 0
	s_mov_b32 s0, 0
	s_cbranch_vccz .LBB22_3151
; %bb.3119:
	v_cmp_lt_i16_e32 vcc_lo, 28, v16
	s_cbranch_vccz .LBB22_3135
; %bb.3120:
	v_cmp_lt_i16_e32 vcc_lo, 43, v16
	;; [unrolled: 3-line block ×3, first 2 shown]
	s_cbranch_vccz .LBB22_3125
; %bb.3122:
	v_cmp_eq_u16_e32 vcc_lo, 46, v16
	s_mov_b32 s0, -1
	s_cbranch_vccz .LBB22_3124
; %bb.3123:
	v_cvt_f32_f64_e32 v2, v[12:13]
	s_mov_b32 s0, 0
	s_delay_alu instid0(VALU_DEP_1) | instskip(SKIP_1) | instid1(VALU_DEP_2)
	v_bfe_u32 v3, v2, 16, 1
	v_cmp_o_f32_e32 vcc_lo, v2, v2
	v_add3_u32 v3, v2, v3, 0x7fff
	s_delay_alu instid0(VALU_DEP_1) | instskip(NEXT) | instid1(VALU_DEP_1)
	v_lshrrev_b32_e32 v3, 16, v3
	v_cndmask_b32_e32 v2, 0x7fc0, v3, vcc_lo
	global_store_b32 v[0:1], v2, off
.LBB22_3124:
	s_mov_b32 s2, 0
.LBB22_3125:
	s_delay_alu instid0(SALU_CYCLE_1)
	s_and_b32 vcc_lo, exec_lo, s2
	s_cbranch_vccz .LBB22_3130
; %bb.3126:
	v_cmp_eq_u16_e32 vcc_lo, 44, v16
	s_mov_b32 s0, -1
	s_cbranch_vccz .LBB22_3130
; %bb.3127:
	v_cvt_f32_f64_e32 v2, v[12:13]
	v_mov_b32_e32 v3, 0xff
	s_mov_b32 s2, exec_lo
	s_delay_alu instid0(VALU_DEP_2) | instskip(NEXT) | instid1(VALU_DEP_1)
	v_bfe_u32 v4, v2, 23, 8
	v_cmpx_ne_u32_e32 0xff, v4
; %bb.3128:
	v_and_b32_e32 v3, 0x400000, v2
	v_and_or_b32 v4, 0x3fffff, v2, v4
	v_lshrrev_b32_e32 v2, 23, v2
	s_delay_alu instid0(VALU_DEP_3) | instskip(NEXT) | instid1(VALU_DEP_3)
	v_cmp_ne_u32_e32 vcc_lo, 0, v3
	v_cmp_ne_u32_e64 s0, 0, v4
	s_delay_alu instid0(VALU_DEP_1) | instskip(NEXT) | instid1(SALU_CYCLE_1)
	s_and_b32 s0, vcc_lo, s0
	v_cndmask_b32_e64 v3, 0, 1, s0
	s_delay_alu instid0(VALU_DEP_1)
	v_add_nc_u32_e32 v3, v2, v3
; %bb.3129:
	s_or_b32 exec_lo, exec_lo, s2
	s_mov_b32 s0, 0
	global_store_b8 v[0:1], v3, off
.LBB22_3130:
	s_mov_b32 s2, 0
.LBB22_3131:
	s_delay_alu instid0(SALU_CYCLE_1)
	s_and_b32 vcc_lo, exec_lo, s2
	s_cbranch_vccz .LBB22_3134
; %bb.3132:
	v_cmp_eq_u16_e32 vcc_lo, 29, v16
	s_mov_b32 s0, -1
	s_cbranch_vccz .LBB22_3134
; %bb.3133:
	v_trunc_f64_e32 v[2:3], v[12:13]
	s_mov_b32 s0, 0
	s_delay_alu instid0(VALU_DEP_1) | instskip(NEXT) | instid1(VALU_DEP_1)
	v_ldexp_f64 v[4:5], v[2:3], 0xffffffe0
	v_floor_f64_e32 v[4:5], v[4:5]
	s_delay_alu instid0(VALU_DEP_1) | instskip(SKIP_1) | instid1(VALU_DEP_2)
	v_fma_f64 v[2:3], 0xc1f00000, v[4:5], v[2:3]
	v_cvt_u32_f64_e32 v4, v[4:5]
	v_cvt_u32_f64_e32 v3, v[2:3]
	global_store_b64 v[0:1], v[3:4], off
.LBB22_3134:
	s_mov_b32 s2, 0
.LBB22_3135:
	s_delay_alu instid0(SALU_CYCLE_1)
	s_and_b32 vcc_lo, exec_lo, s2
	s_cbranch_vccz .LBB22_3150
; %bb.3136:
	v_cmp_gt_i16_e32 vcc_lo, 27, v16
	s_mov_b32 s2, -1
	s_cbranch_vccnz .LBB22_3142
; %bb.3137:
	v_cmp_lt_i16_e32 vcc_lo, 27, v16
	s_cbranch_vccz .LBB22_3139
; %bb.3138:
	v_cvt_u32_f64_e32 v2, v[12:13]
	s_mov_b32 s2, 0
	global_store_b32 v[0:1], v2, off
.LBB22_3139:
	s_and_not1_b32 vcc_lo, exec_lo, s2
	s_cbranch_vccnz .LBB22_3141
; %bb.3140:
	v_cvt_u32_f64_e32 v2, v[12:13]
	global_store_b16 v[0:1], v2, off
.LBB22_3141:
	s_mov_b32 s2, 0
.LBB22_3142:
	s_delay_alu instid0(SALU_CYCLE_1)
	s_and_not1_b32 vcc_lo, exec_lo, s2
	s_cbranch_vccnz .LBB22_3150
; %bb.3143:
	v_cvt_f32_f64_e32 v2, v[12:13]
	v_mov_b32_e32 v4, 0x80
	s_mov_b32 s2, exec_lo
	s_delay_alu instid0(VALU_DEP_2) | instskip(NEXT) | instid1(VALU_DEP_1)
	v_and_b32_e32 v3, 0x7fffffff, v2
	v_cmpx_gt_u32_e32 0x43800000, v3
	s_cbranch_execz .LBB22_3149
; %bb.3144:
	v_cmp_lt_u32_e32 vcc_lo, 0x3bffffff, v3
	s_mov_b32 s3, 0
                                        ; implicit-def: $vgpr3
	s_and_saveexec_b32 s4, vcc_lo
	s_delay_alu instid0(SALU_CYCLE_1)
	s_xor_b32 s4, exec_lo, s4
	s_cbranch_execz .LBB22_3221
; %bb.3145:
	v_bfe_u32 v3, v2, 20, 1
	s_mov_b32 s3, exec_lo
	s_delay_alu instid0(VALU_DEP_1) | instskip(NEXT) | instid1(VALU_DEP_1)
	v_add3_u32 v3, v2, v3, 0x487ffff
	v_lshrrev_b32_e32 v3, 20, v3
	s_or_saveexec_b32 s4, s4
                                        ; implicit-def: $sgpr5
	s_delay_alu instid0(SALU_CYCLE_1)
	s_xor_b32 exec_lo, exec_lo, s4
	s_cbranch_execnz .LBB22_3222
.LBB22_3146:
	s_or_b32 exec_lo, exec_lo, s4
	v_mov_b32_e32 v4, s5
	s_and_saveexec_b32 s4, s3
.LBB22_3147:
	v_lshrrev_b32_e32 v2, 24, v2
	s_delay_alu instid0(VALU_DEP_1)
	v_and_or_b32 v4, 0x80, v2, v3
.LBB22_3148:
	s_or_b32 exec_lo, exec_lo, s4
.LBB22_3149:
	s_delay_alu instid0(SALU_CYCLE_1)
	s_or_b32 exec_lo, exec_lo, s2
	global_store_b8 v[0:1], v4, off
.LBB22_3150:
	s_mov_b32 s2, 0
.LBB22_3151:
	s_delay_alu instid0(SALU_CYCLE_1)
	s_and_b32 vcc_lo, exec_lo, s2
	s_cbranch_vccz .LBB22_3191
; %bb.3152:
	v_cmp_lt_i16_e32 vcc_lo, 22, v16
	s_mov_b32 s1, -1
	s_cbranch_vccz .LBB22_3184
; %bb.3153:
	v_cmp_gt_i16_e32 vcc_lo, 24, v16
	s_cbranch_vccnz .LBB22_3173
; %bb.3154:
	v_cmp_lt_i16_e32 vcc_lo, 24, v16
	s_cbranch_vccz .LBB22_3162
; %bb.3155:
	v_cvt_f32_f64_e32 v2, v[12:13]
	v_mov_b32_e32 v4, 0x80
	s_mov_b32 s1, exec_lo
	s_delay_alu instid0(VALU_DEP_2) | instskip(NEXT) | instid1(VALU_DEP_1)
	v_and_b32_e32 v3, 0x7fffffff, v2
	v_cmpx_gt_u32_e32 0x47800000, v3
	s_cbranch_execz .LBB22_3161
; %bb.3156:
	v_cmp_lt_u32_e32 vcc_lo, 0x37ffffff, v3
	s_mov_b32 s2, 0
                                        ; implicit-def: $vgpr3
	s_and_saveexec_b32 s3, vcc_lo
	s_delay_alu instid0(SALU_CYCLE_1)
	s_xor_b32 s3, exec_lo, s3
	s_cbranch_execz .LBB22_3227
; %bb.3157:
	v_bfe_u32 v3, v2, 21, 1
	s_mov_b32 s2, exec_lo
	s_delay_alu instid0(VALU_DEP_1) | instskip(NEXT) | instid1(VALU_DEP_1)
	v_add3_u32 v3, v2, v3, 0x88fffff
	v_lshrrev_b32_e32 v3, 21, v3
	s_or_saveexec_b32 s3, s3
                                        ; implicit-def: $sgpr4
	s_delay_alu instid0(SALU_CYCLE_1)
	s_xor_b32 exec_lo, exec_lo, s3
	s_cbranch_execnz .LBB22_3228
.LBB22_3158:
	s_or_b32 exec_lo, exec_lo, s3
	v_mov_b32_e32 v4, s4
	s_and_saveexec_b32 s3, s2
.LBB22_3159:
	v_lshrrev_b32_e32 v2, 24, v2
	s_delay_alu instid0(VALU_DEP_1)
	v_and_or_b32 v4, 0x80, v2, v3
.LBB22_3160:
	s_or_b32 exec_lo, exec_lo, s3
.LBB22_3161:
	s_delay_alu instid0(SALU_CYCLE_1)
	s_or_b32 exec_lo, exec_lo, s1
	s_mov_b32 s1, 0
	global_store_b8 v[0:1], v4, off
.LBB22_3162:
	s_and_b32 vcc_lo, exec_lo, s1
	s_cbranch_vccz .LBB22_3172
; %bb.3163:
	v_cvt_f32_f64_e32 v2, v[12:13]
	s_mov_b32 s1, exec_lo
                                        ; implicit-def: $vgpr3
	s_delay_alu instid0(VALU_DEP_1) | instskip(NEXT) | instid1(VALU_DEP_1)
	v_and_b32_e32 v4, 0x7fffffff, v2
	v_cmpx_gt_u32_e32 0x43f00000, v4
	s_xor_b32 s1, exec_lo, s1
	s_cbranch_execz .LBB22_3169
; %bb.3164:
	s_mov_b32 s2, exec_lo
                                        ; implicit-def: $vgpr3
	v_cmpx_lt_u32_e32 0x3c7fffff, v4
	s_xor_b32 s2, exec_lo, s2
; %bb.3165:
	v_bfe_u32 v3, v2, 20, 1
	s_delay_alu instid0(VALU_DEP_1) | instskip(NEXT) | instid1(VALU_DEP_1)
	v_add3_u32 v3, v2, v3, 0x407ffff
	v_and_b32_e32 v4, 0xff00000, v3
	v_lshrrev_b32_e32 v3, 20, v3
	s_delay_alu instid0(VALU_DEP_2) | instskip(NEXT) | instid1(VALU_DEP_2)
	v_cmp_ne_u32_e32 vcc_lo, 0x7f00000, v4
	v_cndmask_b32_e32 v3, 0x7e, v3, vcc_lo
; %bb.3166:
	s_and_not1_saveexec_b32 s2, s2
; %bb.3167:
	v_add_f32_e64 v3, 0x46800000, |v2|
; %bb.3168:
	s_or_b32 exec_lo, exec_lo, s2
                                        ; implicit-def: $vgpr4
.LBB22_3169:
	s_and_not1_saveexec_b32 s1, s1
; %bb.3170:
	v_mov_b32_e32 v3, 0x7f
	v_cmp_lt_u32_e32 vcc_lo, 0x7f800000, v4
	s_delay_alu instid0(VALU_DEP_2)
	v_cndmask_b32_e32 v3, 0x7e, v3, vcc_lo
; %bb.3171:
	s_or_b32 exec_lo, exec_lo, s1
	v_lshrrev_b32_e32 v2, 24, v2
	s_delay_alu instid0(VALU_DEP_1)
	v_and_or_b32 v2, 0x80, v2, v3
	global_store_b8 v[0:1], v2, off
.LBB22_3172:
	s_mov_b32 s1, 0
.LBB22_3173:
	s_delay_alu instid0(SALU_CYCLE_1)
	s_and_not1_b32 vcc_lo, exec_lo, s1
	s_cbranch_vccnz .LBB22_3183
; %bb.3174:
	v_cvt_f32_f64_e32 v2, v[12:13]
	s_mov_b32 s1, exec_lo
                                        ; implicit-def: $vgpr3
	s_delay_alu instid0(VALU_DEP_1) | instskip(NEXT) | instid1(VALU_DEP_1)
	v_and_b32_e32 v4, 0x7fffffff, v2
	v_cmpx_gt_u32_e32 0x47800000, v4
	s_xor_b32 s1, exec_lo, s1
	s_cbranch_execz .LBB22_3180
; %bb.3175:
	s_mov_b32 s2, exec_lo
                                        ; implicit-def: $vgpr3
	v_cmpx_lt_u32_e32 0x387fffff, v4
	s_xor_b32 s2, exec_lo, s2
; %bb.3176:
	v_bfe_u32 v3, v2, 21, 1
	s_delay_alu instid0(VALU_DEP_1) | instskip(NEXT) | instid1(VALU_DEP_1)
	v_add3_u32 v3, v2, v3, 0x80fffff
	v_lshrrev_b32_e32 v3, 21, v3
; %bb.3177:
	s_and_not1_saveexec_b32 s2, s2
; %bb.3178:
	v_add_f32_e64 v3, 0x43000000, |v2|
; %bb.3179:
	s_or_b32 exec_lo, exec_lo, s2
                                        ; implicit-def: $vgpr4
.LBB22_3180:
	s_and_not1_saveexec_b32 s1, s1
; %bb.3181:
	v_mov_b32_e32 v3, 0x7f
	v_cmp_lt_u32_e32 vcc_lo, 0x7f800000, v4
	s_delay_alu instid0(VALU_DEP_2)
	v_cndmask_b32_e32 v3, 0x7c, v3, vcc_lo
; %bb.3182:
	s_or_b32 exec_lo, exec_lo, s1
	v_lshrrev_b32_e32 v2, 24, v2
	s_delay_alu instid0(VALU_DEP_1)
	v_and_or_b32 v2, 0x80, v2, v3
	global_store_b8 v[0:1], v2, off
.LBB22_3183:
	s_mov_b32 s1, 0
.LBB22_3184:
	s_delay_alu instid0(SALU_CYCLE_1)
	s_and_not1_b32 vcc_lo, exec_lo, s1
	s_mov_b32 s1, 0
	s_cbranch_vccnz .LBB22_3191
; %bb.3185:
	v_cmp_lt_i16_e32 vcc_lo, 14, v16
	s_mov_b32 s1, -1
	s_cbranch_vccz .LBB22_3189
; %bb.3186:
	v_cmp_eq_u16_e32 vcc_lo, 15, v16
	s_mov_b32 s0, -1
	s_cbranch_vccz .LBB22_3188
; %bb.3187:
	v_cvt_f32_f64_e32 v2, v[12:13]
	s_mov_b32 s0, 0
	s_delay_alu instid0(VALU_DEP_1) | instskip(SKIP_1) | instid1(VALU_DEP_2)
	v_bfe_u32 v3, v2, 16, 1
	v_cmp_o_f32_e32 vcc_lo, v2, v2
	v_add3_u32 v3, v2, v3, 0x7fff
	s_delay_alu instid0(VALU_DEP_1) | instskip(NEXT) | instid1(VALU_DEP_1)
	v_lshrrev_b32_e32 v3, 16, v3
	v_cndmask_b32_e32 v2, 0x7fc0, v3, vcc_lo
	global_store_b16 v[0:1], v2, off
.LBB22_3188:
	s_mov_b32 s1, 0
.LBB22_3189:
	s_delay_alu instid0(SALU_CYCLE_1)
	s_and_b32 vcc_lo, exec_lo, s1
	s_mov_b32 s1, 0
	s_cbranch_vccz .LBB22_3191
; %bb.3190:
	v_cmp_ne_u16_e64 s0, 11, v16
	s_mov_b32 s1, -1
.LBB22_3191:
	s_delay_alu instid0(VALU_DEP_1)
	s_and_b32 vcc_lo, exec_lo, s0
	s_cbranch_vccnz .LBB22_3225
.LBB22_3192:
	s_mov_b32 s0, 0
	s_branch .LBB22_2794
.LBB22_3193:
	s_mov_b32 s0, 0
	s_mov_b32 s1, 0
                                        ; implicit-def: $vgpr16
                                        ; implicit-def: $vgpr0_vgpr1
	s_branch .LBB22_2794
.LBB22_3194:
	s_mov_b32 s1, 0
	s_mov_b32 s0, -1
	s_branch .LBB22_2794
.LBB22_3195:
	s_cbranch_execnz .LBB22_3199
; %bb.3196:
	s_or_b32 s11, s11, exec_lo
                                        ; implicit-def: $vgpr10_vgpr11
	s_cbranch_execz .LBB22_2651
	s_branch .LBB22_2652
.LBB22_3197:
	s_or_saveexec_b32 s6, s6
                                        ; implicit-def: $sgpr7
	s_delay_alu instid0(SALU_CYCLE_1)
	s_xor_b32 exec_lo, exec_lo, s6
	s_cbranch_execz .LBB22_2743
.LBB22_3198:
	v_add_f32_e64 v3, 0x46000000, |v2|
	s_and_not1_b32 s3, s3, exec_lo
	s_mov_b32 s7, 0
	s_delay_alu instid0(VALU_DEP_1) | instskip(NEXT) | instid1(VALU_DEP_1)
	v_and_b32_e32 v3, 0xff, v3
	v_cmp_ne_u32_e32 vcc_lo, 0, v3
	s_and_b32 s9, vcc_lo, exec_lo
	s_delay_alu instid0(SALU_CYCLE_1)
	s_or_b32 s3, s3, s9
	s_or_b32 exec_lo, exec_lo, s6
	v_mov_b32_e32 v11, s7
	s_and_saveexec_b32 s6, s3
	s_cbranch_execnz .LBB22_2744
	s_branch .LBB22_2745
.LBB22_3199:
	s_trap 2
	s_sendmsg_rtn_b32 s0, sendmsg(MSG_RTN_GET_DOORBELL)
	s_mov_b32 ttmp2, m0
	s_waitcnt lgkmcnt(0)
	s_and_b32 s0, s0, 0x3ff
	s_delay_alu instid0(SALU_CYCLE_1) | instskip(NEXT) | instid1(SALU_CYCLE_1)
	s_bitset1_b32 s0, 10
	s_mov_b32 m0, s0
	s_sendmsg sendmsg(MSG_INTERRUPT)
	s_mov_b32 m0, ttmp2
.LBB22_3200:                            ; =>This Inner Loop Header: Depth=1
	s_sethalt 5
	s_branch .LBB22_3200
.LBB22_3201:
	s_cbranch_execnz .LBB22_3207
; %bb.3202:
	s_or_b32 s11, s11, exec_lo
	s_cbranch_execz .LBB22_2791
	s_branch .LBB22_2792
.LBB22_3203:
	s_or_saveexec_b32 s3, s3
                                        ; implicit-def: $sgpr6
	s_delay_alu instid0(SALU_CYCLE_1)
	s_xor_b32 exec_lo, exec_lo, s3
	s_cbranch_execz .LBB22_2756
.LBB22_3204:
	v_add_f32_e64 v3, 0x42800000, |v2|
	s_and_not1_b32 s2, s2, exec_lo
	s_mov_b32 s6, 0
	s_delay_alu instid0(VALU_DEP_1) | instskip(NEXT) | instid1(VALU_DEP_1)
	v_and_b32_e32 v3, 0xff, v3
	v_cmp_ne_u32_e32 vcc_lo, 0, v3
	s_and_b32 s7, vcc_lo, exec_lo
	s_delay_alu instid0(SALU_CYCLE_1)
	s_or_b32 s2, s2, s7
	s_or_b32 exec_lo, exec_lo, s3
	v_mov_b32_e32 v11, s6
	s_and_saveexec_b32 s3, s2
	s_cbranch_execnz .LBB22_2757
	s_branch .LBB22_2758
.LBB22_3205:
	s_or_saveexec_b32 s7, s7
                                        ; implicit-def: $sgpr8
	s_delay_alu instid0(SALU_CYCLE_1)
	s_xor_b32 exec_lo, exec_lo, s7
	s_cbranch_execz .LBB22_2907
.LBB22_3206:
	v_add_f32_e64 v6, 0x46000000, |v3|
	s_and_not1_b32 s6, s6, exec_lo
	s_mov_b32 s8, 0
	s_delay_alu instid0(VALU_DEP_1) | instskip(NEXT) | instid1(VALU_DEP_1)
	v_and_b32_e32 v6, 0xff, v6
	v_cmp_ne_u32_e32 vcc_lo, 0, v6
	s_and_b32 s9, vcc_lo, exec_lo
	s_delay_alu instid0(SALU_CYCLE_1)
	s_or_b32 s6, s6, s9
	s_or_b32 exec_lo, exec_lo, s7
	v_mov_b32_e32 v7, s8
	s_and_saveexec_b32 s7, s6
	s_cbranch_execnz .LBB22_2908
	s_branch .LBB22_2909
.LBB22_3207:
	s_trap 2
	s_sendmsg_rtn_b32 s0, sendmsg(MSG_RTN_GET_DOORBELL)
	s_mov_b32 ttmp2, m0
	s_waitcnt lgkmcnt(0)
	s_and_b32 s0, s0, 0x3ff
	s_delay_alu instid0(SALU_CYCLE_1) | instskip(NEXT) | instid1(SALU_CYCLE_1)
	s_bitset1_b32 s0, 10
	s_mov_b32 m0, s0
	s_sendmsg sendmsg(MSG_INTERRUPT)
	s_mov_b32 m0, ttmp2
.LBB22_3208:                            ; =>This Inner Loop Header: Depth=1
	s_sethalt 5
	s_branch .LBB22_3208
.LBB22_3209:
	s_cbranch_execnz .LBB22_3215
; %bb.3210:
	s_or_b32 s11, s11, exec_lo
	s_cbranch_execz .LBB22_2955
	s_branch .LBB22_2956
.LBB22_3211:
	s_or_saveexec_b32 s6, s6
                                        ; implicit-def: $sgpr7
	s_delay_alu instid0(SALU_CYCLE_1)
	s_xor_b32 exec_lo, exec_lo, s6
	s_cbranch_execz .LBB22_2920
.LBB22_3212:
	v_add_f32_e64 v6, 0x42800000, |v3|
	s_and_not1_b32 s3, s3, exec_lo
	s_mov_b32 s7, 0
	s_delay_alu instid0(VALU_DEP_1) | instskip(NEXT) | instid1(VALU_DEP_1)
	v_and_b32_e32 v6, 0xff, v6
	v_cmp_ne_u32_e32 vcc_lo, 0, v6
	s_and_b32 s8, vcc_lo, exec_lo
	s_delay_alu instid0(SALU_CYCLE_1)
	s_or_b32 s3, s3, s8
	s_or_b32 exec_lo, exec_lo, s6
	v_mov_b32_e32 v7, s7
	s_and_saveexec_b32 s6, s3
	s_cbranch_execnz .LBB22_2921
	s_branch .LBB22_2922
.LBB22_3213:
	s_or_saveexec_b32 s7, s7
                                        ; implicit-def: $sgpr8
	s_delay_alu instid0(SALU_CYCLE_1)
	s_xor_b32 exec_lo, exec_lo, s7
	s_cbranch_execz .LBB22_3026
.LBB22_3214:
	v_add_f32_e64 v4, 0x46000000, |v3|
	s_and_not1_b32 s6, s6, exec_lo
	s_mov_b32 s8, 0
	s_delay_alu instid0(VALU_DEP_1) | instskip(NEXT) | instid1(VALU_DEP_1)
	v_and_b32_e32 v4, 0xff, v4
	v_cmp_ne_u32_e32 vcc_lo, 0, v4
	s_and_b32 s9, vcc_lo, exec_lo
	s_delay_alu instid0(SALU_CYCLE_1)
	s_or_b32 s6, s6, s9
	s_or_b32 exec_lo, exec_lo, s7
	v_mov_b32_e32 v5, s8
	s_and_saveexec_b32 s7, s6
	s_cbranch_execnz .LBB22_3027
	s_branch .LBB22_3028
.LBB22_3215:
	s_trap 2
	s_sendmsg_rtn_b32 s0, sendmsg(MSG_RTN_GET_DOORBELL)
	s_mov_b32 ttmp2, m0
	s_waitcnt lgkmcnt(0)
	s_and_b32 s0, s0, 0x3ff
	s_delay_alu instid0(SALU_CYCLE_1) | instskip(NEXT) | instid1(SALU_CYCLE_1)
	s_bitset1_b32 s0, 10
	s_mov_b32 m0, s0
	s_sendmsg sendmsg(MSG_INTERRUPT)
	s_mov_b32 m0, ttmp2
.LBB22_3216:                            ; =>This Inner Loop Header: Depth=1
	s_sethalt 5
	s_branch .LBB22_3216
.LBB22_3217:
	s_cbranch_execnz .LBB22_3223
; %bb.3218:
	s_or_b32 s11, s11, exec_lo
	s_cbranch_execz .LBB22_3074
	s_branch .LBB22_3075
.LBB22_3219:
	s_or_saveexec_b32 s6, s6
                                        ; implicit-def: $sgpr7
	s_delay_alu instid0(SALU_CYCLE_1)
	s_xor_b32 exec_lo, exec_lo, s6
	s_cbranch_execz .LBB22_3039
.LBB22_3220:
	v_add_f32_e64 v4, 0x42800000, |v3|
	s_and_not1_b32 s3, s3, exec_lo
	s_mov_b32 s7, 0
	s_delay_alu instid0(VALU_DEP_1) | instskip(NEXT) | instid1(VALU_DEP_1)
	v_and_b32_e32 v4, 0xff, v4
	v_cmp_ne_u32_e32 vcc_lo, 0, v4
	s_and_b32 s8, vcc_lo, exec_lo
	s_delay_alu instid0(SALU_CYCLE_1)
	s_or_b32 s3, s3, s8
	s_or_b32 exec_lo, exec_lo, s6
	v_mov_b32_e32 v5, s7
	s_and_saveexec_b32 s6, s3
	s_cbranch_execnz .LBB22_3040
	s_branch .LBB22_3041
.LBB22_3221:
	s_or_saveexec_b32 s4, s4
                                        ; implicit-def: $sgpr5
	s_delay_alu instid0(SALU_CYCLE_1)
	s_xor_b32 exec_lo, exec_lo, s4
	s_cbranch_execz .LBB22_3146
.LBB22_3222:
	v_add_f32_e64 v3, 0x46000000, |v2|
	s_and_not1_b32 s3, s3, exec_lo
	s_mov_b32 s5, 0
	s_delay_alu instid0(VALU_DEP_1) | instskip(NEXT) | instid1(VALU_DEP_1)
	v_and_b32_e32 v3, 0xff, v3
	v_cmp_ne_u32_e32 vcc_lo, 0, v3
	s_and_b32 s6, vcc_lo, exec_lo
	s_delay_alu instid0(SALU_CYCLE_1)
	s_or_b32 s3, s3, s6
	s_or_b32 exec_lo, exec_lo, s4
	v_mov_b32_e32 v4, s5
	s_and_saveexec_b32 s4, s3
	s_cbranch_execnz .LBB22_3147
	s_branch .LBB22_3148
.LBB22_3223:
	s_trap 2
	s_sendmsg_rtn_b32 s0, sendmsg(MSG_RTN_GET_DOORBELL)
	s_mov_b32 ttmp2, m0
	s_waitcnt lgkmcnt(0)
	s_and_b32 s0, s0, 0x3ff
	s_delay_alu instid0(SALU_CYCLE_1) | instskip(NEXT) | instid1(SALU_CYCLE_1)
	s_bitset1_b32 s0, 10
	s_mov_b32 m0, s0
	s_sendmsg sendmsg(MSG_INTERRUPT)
	s_mov_b32 m0, ttmp2
.LBB22_3224:                            ; =>This Inner Loop Header: Depth=1
	s_sethalt 5
	s_branch .LBB22_3224
.LBB22_3225:
	s_cbranch_execnz .LBB22_3229
; %bb.3226:
	s_mov_b32 s1, 0
	s_or_b32 s11, s11, exec_lo
	s_branch .LBB22_3192
.LBB22_3227:
	s_or_saveexec_b32 s3, s3
                                        ; implicit-def: $sgpr4
	s_delay_alu instid0(SALU_CYCLE_1)
	s_xor_b32 exec_lo, exec_lo, s3
	s_cbranch_execz .LBB22_3158
.LBB22_3228:
	v_add_f32_e64 v3, 0x42800000, |v2|
	s_and_not1_b32 s2, s2, exec_lo
	s_mov_b32 s4, 0
	s_delay_alu instid0(VALU_DEP_1) | instskip(NEXT) | instid1(VALU_DEP_1)
	v_and_b32_e32 v3, 0xff, v3
	v_cmp_ne_u32_e32 vcc_lo, 0, v3
	s_and_b32 s5, vcc_lo, exec_lo
	s_delay_alu instid0(SALU_CYCLE_1)
	s_or_b32 s2, s2, s5
	s_or_b32 exec_lo, exec_lo, s3
	v_mov_b32_e32 v4, s4
	s_and_saveexec_b32 s3, s2
	s_cbranch_execnz .LBB22_3159
	s_branch .LBB22_3160
.LBB22_3229:
	s_trap 2
	s_sendmsg_rtn_b32 s0, sendmsg(MSG_RTN_GET_DOORBELL)
	s_mov_b32 ttmp2, m0
	s_waitcnt lgkmcnt(0)
	s_and_b32 s0, s0, 0x3ff
	s_delay_alu instid0(SALU_CYCLE_1) | instskip(NEXT) | instid1(SALU_CYCLE_1)
	s_bitset1_b32 s0, 10
	s_mov_b32 m0, s0
	s_sendmsg sendmsg(MSG_INTERRUPT)
	s_mov_b32 m0, ttmp2
.LBB22_3230:                            ; =>This Inner Loop Header: Depth=1
	s_sethalt 5
	s_branch .LBB22_3230
	.section	.rodata,"a",@progbits
	.p2align	6, 0x0
	.amdhsa_kernel _ZN2at6native32elementwise_kernel_manual_unrollILi128ELi4EZNS0_15gpu_kernel_implINS0_13BinaryFunctorIdddZZZNS0_12_GLOBAL__N_132hermite_polynomial_h_kernel_cudaERNS_18TensorIteratorBaseEENKUlvE_clEvENKUlvE_clEvEUlddE_EEEEvS6_RKT_EUlibE_EEviT1_
		.amdhsa_group_segment_fixed_size 0
		.amdhsa_private_segment_fixed_size 0
		.amdhsa_kernarg_size 48
		.amdhsa_user_sgpr_count 15
		.amdhsa_user_sgpr_dispatch_ptr 0
		.amdhsa_user_sgpr_queue_ptr 0
		.amdhsa_user_sgpr_kernarg_segment_ptr 1
		.amdhsa_user_sgpr_dispatch_id 0
		.amdhsa_user_sgpr_private_segment_size 0
		.amdhsa_wavefront_size32 1
		.amdhsa_uses_dynamic_stack 0
		.amdhsa_enable_private_segment 0
		.amdhsa_system_sgpr_workgroup_id_x 1
		.amdhsa_system_sgpr_workgroup_id_y 0
		.amdhsa_system_sgpr_workgroup_id_z 0
		.amdhsa_system_sgpr_workgroup_info 0
		.amdhsa_system_vgpr_workitem_id 0
		.amdhsa_next_free_vgpr 22
		.amdhsa_next_free_sgpr 31
		.amdhsa_reserve_vcc 1
		.amdhsa_float_round_mode_32 0
		.amdhsa_float_round_mode_16_64 0
		.amdhsa_float_denorm_mode_32 3
		.amdhsa_float_denorm_mode_16_64 3
		.amdhsa_dx10_clamp 1
		.amdhsa_ieee_mode 1
		.amdhsa_fp16_overflow 0
		.amdhsa_workgroup_processor_mode 1
		.amdhsa_memory_ordered 1
		.amdhsa_forward_progress 0
		.amdhsa_shared_vgpr_count 0
		.amdhsa_exception_fp_ieee_invalid_op 0
		.amdhsa_exception_fp_denorm_src 0
		.amdhsa_exception_fp_ieee_div_zero 0
		.amdhsa_exception_fp_ieee_overflow 0
		.amdhsa_exception_fp_ieee_underflow 0
		.amdhsa_exception_fp_ieee_inexact 0
		.amdhsa_exception_int_div_zero 0
	.end_amdhsa_kernel
	.section	.text._ZN2at6native32elementwise_kernel_manual_unrollILi128ELi4EZNS0_15gpu_kernel_implINS0_13BinaryFunctorIdddZZZNS0_12_GLOBAL__N_132hermite_polynomial_h_kernel_cudaERNS_18TensorIteratorBaseEENKUlvE_clEvENKUlvE_clEvEUlddE_EEEEvS6_RKT_EUlibE_EEviT1_,"axG",@progbits,_ZN2at6native32elementwise_kernel_manual_unrollILi128ELi4EZNS0_15gpu_kernel_implINS0_13BinaryFunctorIdddZZZNS0_12_GLOBAL__N_132hermite_polynomial_h_kernel_cudaERNS_18TensorIteratorBaseEENKUlvE_clEvENKUlvE_clEvEUlddE_EEEEvS6_RKT_EUlibE_EEviT1_,comdat
.Lfunc_end22:
	.size	_ZN2at6native32elementwise_kernel_manual_unrollILi128ELi4EZNS0_15gpu_kernel_implINS0_13BinaryFunctorIdddZZZNS0_12_GLOBAL__N_132hermite_polynomial_h_kernel_cudaERNS_18TensorIteratorBaseEENKUlvE_clEvENKUlvE_clEvEUlddE_EEEEvS6_RKT_EUlibE_EEviT1_, .Lfunc_end22-_ZN2at6native32elementwise_kernel_manual_unrollILi128ELi4EZNS0_15gpu_kernel_implINS0_13BinaryFunctorIdddZZZNS0_12_GLOBAL__N_132hermite_polynomial_h_kernel_cudaERNS_18TensorIteratorBaseEENKUlvE_clEvENKUlvE_clEvEUlddE_EEEEvS6_RKT_EUlibE_EEviT1_
                                        ; -- End function
	.section	.AMDGPU.csdata,"",@progbits
; Kernel info:
; codeLenInByte = 55388
; NumSgprs: 33
; NumVgprs: 22
; ScratchSize: 0
; MemoryBound: 1
; FloatMode: 240
; IeeeMode: 1
; LDSByteSize: 0 bytes/workgroup (compile time only)
; SGPRBlocks: 4
; VGPRBlocks: 2
; NumSGPRsForWavesPerEU: 33
; NumVGPRsForWavesPerEU: 22
; Occupancy: 16
; WaveLimiterHint : 0
; COMPUTE_PGM_RSRC2:SCRATCH_EN: 0
; COMPUTE_PGM_RSRC2:USER_SGPR: 15
; COMPUTE_PGM_RSRC2:TRAP_HANDLER: 0
; COMPUTE_PGM_RSRC2:TGID_X_EN: 1
; COMPUTE_PGM_RSRC2:TGID_Y_EN: 0
; COMPUTE_PGM_RSRC2:TGID_Z_EN: 0
; COMPUTE_PGM_RSRC2:TIDIG_COMP_CNT: 0
	.section	.text._ZN2at6native32elementwise_kernel_manual_unrollILi128ELi4EZNS0_15gpu_kernel_implINS0_13BinaryFunctorIdddZZZNS0_12_GLOBAL__N_132hermite_polynomial_h_kernel_cudaERNS_18TensorIteratorBaseEENKUlvE_clEvENKUlvE_clEvEUlddE_EEEEvS6_RKT_EUlibE0_EEviT1_,"axG",@progbits,_ZN2at6native32elementwise_kernel_manual_unrollILi128ELi4EZNS0_15gpu_kernel_implINS0_13BinaryFunctorIdddZZZNS0_12_GLOBAL__N_132hermite_polynomial_h_kernel_cudaERNS_18TensorIteratorBaseEENKUlvE_clEvENKUlvE_clEvEUlddE_EEEEvS6_RKT_EUlibE0_EEviT1_,comdat
	.globl	_ZN2at6native32elementwise_kernel_manual_unrollILi128ELi4EZNS0_15gpu_kernel_implINS0_13BinaryFunctorIdddZZZNS0_12_GLOBAL__N_132hermite_polynomial_h_kernel_cudaERNS_18TensorIteratorBaseEENKUlvE_clEvENKUlvE_clEvEUlddE_EEEEvS6_RKT_EUlibE0_EEviT1_ ; -- Begin function _ZN2at6native32elementwise_kernel_manual_unrollILi128ELi4EZNS0_15gpu_kernel_implINS0_13BinaryFunctorIdddZZZNS0_12_GLOBAL__N_132hermite_polynomial_h_kernel_cudaERNS_18TensorIteratorBaseEENKUlvE_clEvENKUlvE_clEvEUlddE_EEEEvS6_RKT_EUlibE0_EEviT1_
	.p2align	8
	.type	_ZN2at6native32elementwise_kernel_manual_unrollILi128ELi4EZNS0_15gpu_kernel_implINS0_13BinaryFunctorIdddZZZNS0_12_GLOBAL__N_132hermite_polynomial_h_kernel_cudaERNS_18TensorIteratorBaseEENKUlvE_clEvENKUlvE_clEvEUlddE_EEEEvS6_RKT_EUlibE0_EEviT1_,@function
_ZN2at6native32elementwise_kernel_manual_unrollILi128ELi4EZNS0_15gpu_kernel_implINS0_13BinaryFunctorIdddZZZNS0_12_GLOBAL__N_132hermite_polynomial_h_kernel_cudaERNS_18TensorIteratorBaseEENKUlvE_clEvENKUlvE_clEvEUlddE_EEEEvS6_RKT_EUlibE0_EEviT1_: ; @_ZN2at6native32elementwise_kernel_manual_unrollILi128ELi4EZNS0_15gpu_kernel_implINS0_13BinaryFunctorIdddZZZNS0_12_GLOBAL__N_132hermite_polynomial_h_kernel_cudaERNS_18TensorIteratorBaseEENKUlvE_clEvENKUlvE_clEvEUlddE_EEEEvS6_RKT_EUlibE0_EEviT1_
; %bb.0:
	s_clause 0x1
	s_load_b32 s24, s[0:1], 0x8
	s_load_b32 s31, s[0:1], 0x0
	v_lshl_or_b32 v11, s15, 9, v0
	s_or_b32 s16, s0, 8
	s_mov_b32 s3, -1
	s_mov_b32 s26, 0
	s_mov_b32 s17, s1
	v_or_b32_e32 v15, 0x180, v11
	s_mov_b32 s8, 0
	s_mov_b32 s2, exec_lo
	s_waitcnt lgkmcnt(0)
	s_add_i32 s25, s24, -1
	s_delay_alu instid0(SALU_CYCLE_1)
	s_cmp_gt_u32 s25, 1
	s_cselect_b32 s27, -1, 0
	v_cmpx_le_i32_e64 s31, v15
	s_xor_b32 s28, exec_lo, s2
	s_cbranch_execz .LBB23_1630
; %bb.1:
	v_mov_b32_e32 v0, 0
	s_cmp_lg_u32 s24, 0
	s_mov_b32 s38, 0
	s_cselect_b32 s33, -1, 0
	s_min_u32 s30, s25, 15
	s_clause 0x1
	global_load_u16 v9, v0, s[16:17] offset:417
	global_load_i8 v10, v0, s[16:17] offset:419
	s_clause 0x5
	s_load_b128 s[12:15], s[16:17], 0x4
	s_load_b64 s[22:23], s[16:17], 0x14
	s_load_b128 s[8:11], s[16:17], 0xc4
	s_load_b64 s[20:21], s[16:17], 0xd4
	s_load_b64 s[18:19], s[16:17], 0x198
	s_load_b128 s[4:7], s[16:17], 0x188
	s_cmp_gt_u32 s24, 1
	s_mov_b32 s36, 0
	s_cselect_b32 s29, -1, 0
	s_mov_b32 s35, 0
	s_mov_b32 s34, 0
	s_mov_b32 s37, exec_lo
	s_waitcnt vmcnt(1)
	v_lshrrev_b32_e32 v12, 8, v9
	v_cmpx_gt_i32_e64 s31, v11
	s_cbranch_execz .LBB23_401
; %bb.2:
	s_and_not1_b32 vcc_lo, exec_lo, s27
	s_cbranch_vccnz .LBB23_8
; %bb.3:
	v_dual_mov_b32 v2, 0 :: v_dual_mov_b32 v1, 0
	v_mov_b32_e32 v0, 0
	s_and_not1_b32 vcc_lo, exec_lo, s33
	s_cbranch_vccnz .LBB23_9
; %bb.4:
	s_add_i32 s2, s30, 1
	v_dual_mov_b32 v0, 0 :: v_dual_mov_b32 v1, 0
	v_dual_mov_b32 v2, 0 :: v_dual_mov_b32 v3, v11
	s_and_b32 s35, s2, 30
	s_add_u32 s2, s16, 0xffffffec
	s_addc_u32 s3, s17, -1
	s_set_inst_prefetch_distance 0x1
	.p2align	6
.LBB23_5:                               ; =>This Inner Loop Header: Depth=1
	s_clause 0x2
	s_load_b128 s[40:43], s[2:3], 0x18
	s_load_b64 s[48:49], s[2:3], 0x28
	s_load_b128 s[44:47], s[2:3], 0xd8
	s_waitcnt lgkmcnt(0)
	v_mul_hi_u32 v4, s41, v3
	s_delay_alu instid0(VALU_DEP_1) | instskip(NEXT) | instid1(VALU_DEP_1)
	v_add_nc_u32_e32 v4, v3, v4
	v_lshrrev_b32_e32 v4, s42, v4
	s_delay_alu instid0(VALU_DEP_1)
	v_mul_hi_u32 v5, s48, v4
	v_mul_lo_u32 v6, v4, s40
	s_load_b64 s[40:41], s[2:3], 0xe8
	s_add_u32 s2, s2, 24
	s_addc_u32 s3, s3, 0
	s_add_i32 s35, s35, -2
	s_delay_alu instid0(SALU_CYCLE_1) | instskip(NEXT) | instid1(VALU_DEP_2)
	s_cmp_lg_u32 s35, 0
	v_add_nc_u32_e32 v5, v4, v5
	s_delay_alu instid0(VALU_DEP_2) | instskip(NEXT) | instid1(VALU_DEP_2)
	v_sub_nc_u32_e32 v6, v3, v6
	v_lshrrev_b32_e32 v3, s49, v5
	s_delay_alu instid0(VALU_DEP_2) | instskip(NEXT) | instid1(VALU_DEP_2)
	v_mul_lo_u32 v7, v6, s44
	v_mul_lo_u32 v5, v3, s43
	s_delay_alu instid0(VALU_DEP_1) | instskip(SKIP_2) | instid1(VALU_DEP_3)
	v_sub_nc_u32_e32 v4, v4, v5
	v_mul_lo_u32 v5, v6, s45
	v_mul_lo_u32 v6, v6, s46
	;; [unrolled: 1-line block ×3, first 2 shown]
	s_waitcnt lgkmcnt(0)
	v_mul_lo_u32 v13, v4, s40
	v_mul_lo_u32 v4, v4, s41
	s_delay_alu instid0(VALU_DEP_3) | instskip(NEXT) | instid1(VALU_DEP_3)
	v_add3_u32 v2, v7, v2, v8
	v_add3_u32 v1, v5, v1, v13
	s_delay_alu instid0(VALU_DEP_3)
	v_add3_u32 v0, v6, v0, v4
	s_cbranch_scc1 .LBB23_5
; %bb.6:
	s_set_inst_prefetch_distance 0x2
	s_bitcmp1_b32 s30, 0
	s_cselect_b32 s35, -1, 0
	s_delay_alu instid0(SALU_CYCLE_1)
	s_and_b32 vcc_lo, exec_lo, s35
	s_cbranch_vccnz .LBB23_9
; %bb.7:
	s_clause 0x3
	s_load_b64 s[40:41], s[2:3], 0x18
	s_load_b32 s35, s[2:3], 0x20
	s_load_b64 s[42:43], s[2:3], 0xd8
	s_load_b32 s2, s[2:3], 0xe0
	s_waitcnt lgkmcnt(0)
	v_mul_hi_u32 v4, s41, v3
	s_delay_alu instid0(VALU_DEP_1) | instskip(NEXT) | instid1(VALU_DEP_1)
	v_add_nc_u32_e32 v4, v3, v4
	v_lshrrev_b32_e32 v4, s35, v4
	s_delay_alu instid0(VALU_DEP_1) | instskip(NEXT) | instid1(VALU_DEP_1)
	v_mul_lo_u32 v4, v4, s40
	v_sub_nc_u32_e32 v7, v3, v4
	s_delay_alu instid0(VALU_DEP_1) | instskip(SKIP_2) | instid1(VALU_DEP_2)
	v_mad_u64_u32 v[3:4], null, v7, s42, v[2:3]
	v_mad_u64_u32 v[4:5], null, v7, s43, v[1:2]
	;; [unrolled: 1-line block ×3, first 2 shown]
	v_dual_mov_b32 v2, v3 :: v_dual_mov_b32 v1, v4
	s_delay_alu instid0(VALU_DEP_2)
	v_mov_b32_e32 v0, v5
	s_branch .LBB23_9
.LBB23_8:
	s_mov_b32 s34, -1
                                        ; implicit-def: $vgpr2
                                        ; implicit-def: $vgpr1
                                        ; implicit-def: $vgpr0
.LBB23_9:
	s_delay_alu instid0(SALU_CYCLE_1)
	s_and_not1_b32 vcc_lo, exec_lo, s34
	s_cbranch_vccnz .LBB23_12
; %bb.10:
	s_waitcnt lgkmcnt(0)
	v_mul_hi_u32 v0, s13, v11
	s_and_not1_b32 vcc_lo, exec_lo, s29
	s_delay_alu instid0(VALU_DEP_1) | instskip(NEXT) | instid1(VALU_DEP_1)
	v_add_nc_u32_e32 v0, v11, v0
	v_lshrrev_b32_e32 v3, s14, v0
	s_delay_alu instid0(VALU_DEP_1) | instskip(NEXT) | instid1(VALU_DEP_1)
	v_mul_lo_u32 v0, v3, s12
	v_sub_nc_u32_e32 v0, v11, v0
	s_delay_alu instid0(VALU_DEP_1)
	v_mul_lo_u32 v2, v0, s8
	v_mul_lo_u32 v1, v0, s9
	v_mul_lo_u32 v0, v0, s10
	s_cbranch_vccnz .LBB23_12
; %bb.11:
	v_mul_hi_u32 v4, s22, v3
	s_delay_alu instid0(VALU_DEP_1) | instskip(NEXT) | instid1(VALU_DEP_1)
	v_add_nc_u32_e32 v4, v3, v4
	v_lshrrev_b32_e32 v4, s23, v4
	s_delay_alu instid0(VALU_DEP_1) | instskip(NEXT) | instid1(VALU_DEP_1)
	v_mul_lo_u32 v4, v4, s15
	v_sub_nc_u32_e32 v7, v3, v4
	s_delay_alu instid0(VALU_DEP_1) | instskip(SKIP_2) | instid1(VALU_DEP_2)
	v_mad_u64_u32 v[3:4], null, v7, s11, v[2:3]
	v_mad_u64_u32 v[4:5], null, v7, s20, v[1:2]
	;; [unrolled: 1-line block ×3, first 2 shown]
	v_dual_mov_b32 v2, v3 :: v_dual_mov_b32 v1, v4
	s_delay_alu instid0(VALU_DEP_2)
	v_mov_b32_e32 v0, v5
.LBB23_12:
	v_and_b32_e32 v7, 0xff, v12
	s_waitcnt lgkmcnt(0)
	s_delay_alu instid0(VALU_DEP_3) | instskip(NEXT) | instid1(VALU_DEP_1)
	v_add_co_u32 v5, s2, s6, v1
	v_add_co_ci_u32_e64 v6, null, s7, 0, s2
	s_delay_alu instid0(VALU_DEP_3)
	v_cmp_gt_i16_e32 vcc_lo, 11, v7
	s_mov_b32 s36, 0
	s_cbranch_vccnz .LBB23_19
; %bb.13:
	v_cmp_lt_i16_e32 vcc_lo, 25, v7
	s_cbranch_vccz .LBB23_28
; %bb.14:
	v_cmp_lt_i16_e32 vcc_lo, 28, v7
	s_cbranch_vccz .LBB23_160
	;; [unrolled: 3-line block ×4, first 2 shown]
; %bb.17:
	v_cmp_eq_u16_e32 vcc_lo, 46, v7
	s_mov_b32 s3, 0
	s_cbranch_vccz .LBB23_166
; %bb.18:
	global_load_b32 v1, v[5:6], off
	s_mov_b32 s2, -1
	s_waitcnt vmcnt(0)
	v_lshlrev_b32_e32 v1, 16, v1
	s_delay_alu instid0(VALU_DEP_1)
	v_cvt_f64_f32_e32 v[3:4], v1
	s_branch .LBB23_168
.LBB23_19:
	s_mov_b32 s2, 0
                                        ; implicit-def: $vgpr3_vgpr4
	s_cbranch_execnz .LBB23_233
.LBB23_20:
	s_and_not1_b32 vcc_lo, exec_lo, s2
	s_cbranch_vccnz .LBB23_280
.LBB23_21:
	s_waitcnt vmcnt(0)
	v_and_b32_e32 v7, 0xff, v10
	v_add_co_u32 v0, s2, s18, v0
	s_delay_alu instid0(VALU_DEP_1) | instskip(NEXT) | instid1(VALU_DEP_3)
	v_add_co_ci_u32_e64 v1, null, s19, 0, s2
	v_cmp_gt_i16_e32 vcc_lo, 11, v7
	s_mov_b32 s35, 0
	s_cbranch_vccnz .LBB23_29
; %bb.22:
	v_cmp_lt_i16_e32 vcc_lo, 25, v7
	s_cbranch_vccz .LBB23_161
; %bb.23:
	v_cmp_lt_i16_e32 vcc_lo, 28, v7
	s_cbranch_vccz .LBB23_163
	;; [unrolled: 3-line block ×4, first 2 shown]
; %bb.26:
	v_cmp_eq_u16_e32 vcc_lo, 46, v7
	s_mov_b32 s3, 0
	s_cbranch_vccz .LBB23_281
; %bb.27:
	global_load_b32 v5, v[0:1], off
	s_mov_b32 s2, -1
	s_waitcnt vmcnt(0)
	v_lshlrev_b32_e32 v5, 16, v5
	s_delay_alu instid0(VALU_DEP_1)
	v_cvt_f64_f32_e32 v[5:6], v5
	s_branch .LBB23_283
.LBB23_28:
	s_mov_b32 s2, 0
                                        ; implicit-def: $vgpr3_vgpr4
	s_cbranch_execnz .LBB23_200
	s_branch .LBB23_232
.LBB23_29:
	s_mov_b32 s2, 0
                                        ; implicit-def: $vgpr5_vgpr6
	s_cbranch_execnz .LBB23_350
.LBB23_30:
	s_and_not1_b32 vcc_lo, exec_lo, s2
	s_cbranch_vccnz .LBB23_398
.LBB23_31:
	s_waitcnt vmcnt(0)
	s_delay_alu instid0(VALU_DEP_1) | instskip(SKIP_2) | instid1(VALU_DEP_2)
	v_trunc_f64_e32 v[0:1], v[5:6]
	v_cmp_class_f64_e64 vcc_lo, v[5:6], 0x1f8
	s_mov_b32 s34, exec_lo
	v_ldexp_f64 v[7:8], v[0:1], 0xffffffe0
	s_delay_alu instid0(VALU_DEP_1) | instskip(NEXT) | instid1(VALU_DEP_1)
	v_floor_f64_e32 v[7:8], v[7:8]
	v_fma_f64 v[0:1], 0xc1f00000, v[7:8], v[0:1]
	v_cvt_i32_f64_e32 v7, v[7:8]
	s_delay_alu instid0(VALU_DEP_2) | instskip(NEXT) | instid1(VALU_DEP_1)
	v_cvt_u32_f64_e32 v0, v[0:1]
	v_dual_cndmask_b32 v6, -1, v7 :: v_dual_cndmask_b32 v5, -1, v0
	v_mov_b32_e32 v0, 0
	v_mov_b32_e32 v1, 0
	s_delay_alu instid0(VALU_DEP_3)
	v_cmpx_lt_i64_e32 -1, v[5:6]
	s_cbranch_execz .LBB23_43
; %bb.32:
	v_mov_b32_e32 v0, 0
	v_mov_b32_e32 v1, 0x3ff00000
	s_mov_b32 s39, exec_lo
	v_cmpx_lt_i64_e32 0, v[5:6]
	s_cbranch_execz .LBB23_42
; %bb.33:
                                        ; implicit-def: $vgpr0_vgpr1
	s_mov_b32 s2, exec_lo
	v_cmpx_ne_u64_e32 1, v[5:6]
	s_xor_b32 s40, exec_lo, s2
	s_cbranch_execz .LBB23_39
; %bb.34:
	v_mov_b32_e32 v0, 0
	v_mov_b32_e32 v1, 0x7ff80000
	s_mov_b32 s41, exec_lo
	v_cmpx_gt_u64_e32 0x201, v[5:6]
	s_cbranch_execz .LBB23_38
; %bb.35:
	v_add_f64 v[3:4], v[3:4], v[3:4]
	v_lshlrev_b64 v[5:6], 1, v[5:6]
	v_mov_b32_e32 v7, 0
	v_mov_b32_e32 v8, 0x3ff00000
	s_mov_b64 s[2:3], 2
	s_mov_b32 s42, 0
	s_delay_alu instid0(VALU_DEP_4)
	v_dual_mov_b32 v0, v3 :: v_dual_mov_b32 v1, v4
.LBB23_36:                              ; =>This Inner Loop Header: Depth=1
	v_cvt_f64_u32_e32 v[13:14], s3
	v_cvt_f64_u32_e32 v[15:16], s2
	s_add_u32 s2, s2, 2
	s_addc_u32 s3, s3, 0
	s_delay_alu instid0(SALU_CYCLE_1) | instskip(SKIP_1) | instid1(VALU_DEP_3)
	v_cmp_ge_u64_e32 vcc_lo, s[2:3], v[5:6]
	s_or_b32 s42, vcc_lo, s42
	v_ldexp_f64 v[13:14], v[13:14], 32
	s_delay_alu instid0(VALU_DEP_1) | instskip(NEXT) | instid1(VALU_DEP_1)
	v_add_f64 v[13:14], v[13:14], v[15:16]
	v_mul_f64 v[7:8], v[7:8], v[13:14]
	v_dual_mov_b32 v14, v1 :: v_dual_mov_b32 v13, v0
	s_delay_alu instid0(VALU_DEP_1)
	v_fma_f64 v[0:1], v[3:4], v[13:14], -v[7:8]
	v_dual_mov_b32 v7, v13 :: v_dual_mov_b32 v8, v14
	s_and_not1_b32 exec_lo, exec_lo, s42
	s_cbranch_execnz .LBB23_36
; %bb.37:
	s_or_b32 exec_lo, exec_lo, s42
.LBB23_38:
	s_delay_alu instid0(SALU_CYCLE_1)
	s_or_b32 exec_lo, exec_lo, s41
                                        ; implicit-def: $vgpr3_vgpr4
.LBB23_39:
	s_and_not1_saveexec_b32 s2, s40
; %bb.40:
	v_add_f64 v[0:1], v[3:4], v[3:4]
; %bb.41:
	s_or_b32 exec_lo, exec_lo, s2
.LBB23_42:
	s_delay_alu instid0(SALU_CYCLE_1)
	s_or_b32 exec_lo, exec_lo, s39
.LBB23_43:
	s_delay_alu instid0(SALU_CYCLE_1) | instskip(SKIP_2) | instid1(VALU_DEP_1)
	s_or_b32 exec_lo, exec_lo, s34
	v_and_b32_e32 v6, 0xff, v9
	v_add_co_u32 v4, s3, s4, v2
	v_add_co_ci_u32_e64 v5, null, s5, 0, s3
	s_delay_alu instid0(VALU_DEP_3)
	v_cmp_gt_i16_e32 vcc_lo, 11, v6
	s_mov_b32 s2, 0
	s_mov_b32 s34, -1
	s_mov_b32 s3, 0
	s_cbranch_vccnz .LBB23_120
; %bb.44:
	v_cmp_lt_i16_e32 vcc_lo, 25, v6
	s_cbranch_vccz .LBB23_77
; %bb.45:
	v_cmp_lt_i16_e32 vcc_lo, 28, v6
	s_cbranch_vccz .LBB23_60
	;; [unrolled: 3-line block ×4, first 2 shown]
; %bb.48:
	v_cmp_eq_u16_e32 vcc_lo, 46, v6
	s_mov_b32 s34, 0
	s_mov_b32 s2, -1
	s_cbranch_vccz .LBB23_50
; %bb.49:
	v_cvt_f32_f64_e32 v2, v[0:1]
	s_mov_b32 s3, -1
	s_mov_b32 s2, 0
	s_delay_alu instid0(VALU_DEP_1) | instskip(SKIP_1) | instid1(VALU_DEP_2)
	v_bfe_u32 v3, v2, 16, 1
	v_cmp_o_f32_e32 vcc_lo, v2, v2
	v_add3_u32 v3, v2, v3, 0x7fff
	s_delay_alu instid0(VALU_DEP_1) | instskip(NEXT) | instid1(VALU_DEP_1)
	v_lshrrev_b32_e32 v3, 16, v3
	v_cndmask_b32_e32 v2, 0x7fc0, v3, vcc_lo
	global_store_b32 v[4:5], v2, off
.LBB23_50:
	s_and_b32 vcc_lo, exec_lo, s34
	s_cbranch_vccz .LBB23_55
; %bb.51:
	v_cmp_eq_u16_e32 vcc_lo, 44, v6
	s_mov_b32 s2, -1
	s_cbranch_vccz .LBB23_55
; %bb.52:
	v_cvt_f32_f64_e32 v2, v[0:1]
	v_mov_b32_e32 v3, 0xff
	s_mov_b32 s3, exec_lo
	s_delay_alu instid0(VALU_DEP_2) | instskip(NEXT) | instid1(VALU_DEP_1)
	v_bfe_u32 v7, v2, 23, 8
	v_cmpx_ne_u32_e32 0xff, v7
; %bb.53:
	v_and_b32_e32 v3, 0x400000, v2
	v_and_or_b32 v7, 0x3fffff, v2, v7
	v_lshrrev_b32_e32 v2, 23, v2
	s_delay_alu instid0(VALU_DEP_3) | instskip(NEXT) | instid1(VALU_DEP_3)
	v_cmp_ne_u32_e32 vcc_lo, 0, v3
	v_cmp_ne_u32_e64 s2, 0, v7
	s_delay_alu instid0(VALU_DEP_1) | instskip(NEXT) | instid1(SALU_CYCLE_1)
	s_and_b32 s2, vcc_lo, s2
	v_cndmask_b32_e64 v3, 0, 1, s2
	s_delay_alu instid0(VALU_DEP_1)
	v_add_nc_u32_e32 v3, v2, v3
; %bb.54:
	s_or_b32 exec_lo, exec_lo, s3
	s_mov_b32 s3, -1
	s_mov_b32 s2, 0
	global_store_b8 v[4:5], v3, off
.LBB23_55:
	s_mov_b32 s34, 0
.LBB23_56:
	s_delay_alu instid0(SALU_CYCLE_1)
	s_and_b32 vcc_lo, exec_lo, s34
	s_cbranch_vccz .LBB23_59
; %bb.57:
	v_cmp_eq_u16_e32 vcc_lo, 29, v6
	s_mov_b32 s2, -1
	s_cbranch_vccz .LBB23_59
; %bb.58:
	v_trunc_f64_e32 v[2:3], v[0:1]
	s_mov_b32 s3, -1
	s_mov_b32 s2, 0
	s_delay_alu instid0(VALU_DEP_1) | instskip(NEXT) | instid1(VALU_DEP_1)
	v_ldexp_f64 v[7:8], v[2:3], 0xffffffe0
	v_floor_f64_e32 v[7:8], v[7:8]
	s_delay_alu instid0(VALU_DEP_1) | instskip(SKIP_1) | instid1(VALU_DEP_2)
	v_fma_f64 v[2:3], 0xc1f00000, v[7:8], v[2:3]
	v_cvt_u32_f64_e32 v8, v[7:8]
	v_cvt_u32_f64_e32 v7, v[2:3]
	global_store_b64 v[4:5], v[7:8], off
.LBB23_59:
	s_mov_b32 s34, 0
.LBB23_60:
	s_delay_alu instid0(SALU_CYCLE_1)
	s_and_b32 vcc_lo, exec_lo, s34
	s_cbranch_vccz .LBB23_76
; %bb.61:
	v_cmp_gt_i16_e32 vcc_lo, 27, v6
	s_mov_b32 s3, -1
	s_cbranch_vccnz .LBB23_67
; %bb.62:
	v_cmp_lt_i16_e32 vcc_lo, 27, v6
	s_cbranch_vccz .LBB23_64
; %bb.63:
	v_cvt_u32_f64_e32 v2, v[0:1]
	s_mov_b32 s3, 0
	global_store_b32 v[4:5], v2, off
.LBB23_64:
	s_and_not1_b32 vcc_lo, exec_lo, s3
	s_cbranch_vccnz .LBB23_66
; %bb.65:
	v_cvt_u32_f64_e32 v2, v[0:1]
	global_store_b16 v[4:5], v2, off
.LBB23_66:
	s_mov_b32 s3, 0
.LBB23_67:
	s_delay_alu instid0(SALU_CYCLE_1)
	s_and_not1_b32 vcc_lo, exec_lo, s3
	s_cbranch_vccnz .LBB23_75
; %bb.68:
	v_cvt_f32_f64_e32 v2, v[0:1]
	v_mov_b32_e32 v7, 0x80
	s_mov_b32 s3, exec_lo
	s_delay_alu instid0(VALU_DEP_2) | instskip(NEXT) | instid1(VALU_DEP_1)
	v_and_b32_e32 v3, 0x7fffffff, v2
	v_cmpx_gt_u32_e32 0x43800000, v3
	s_cbranch_execz .LBB23_74
; %bb.69:
	v_cmp_lt_u32_e32 vcc_lo, 0x3bffffff, v3
	s_mov_b32 s34, 0
                                        ; implicit-def: $vgpr3
	s_and_saveexec_b32 s39, vcc_lo
	s_delay_alu instid0(SALU_CYCLE_1)
	s_xor_b32 s39, exec_lo, s39
	s_cbranch_execz .LBB23_286
; %bb.70:
	v_bfe_u32 v3, v2, 20, 1
	s_mov_b32 s34, exec_lo
	s_delay_alu instid0(VALU_DEP_1) | instskip(NEXT) | instid1(VALU_DEP_1)
	v_add3_u32 v3, v2, v3, 0x487ffff
	v_lshrrev_b32_e32 v3, 20, v3
	s_or_saveexec_b32 s39, s39
                                        ; implicit-def: $sgpr40
	s_delay_alu instid0(SALU_CYCLE_1)
	s_xor_b32 exec_lo, exec_lo, s39
	s_cbranch_execnz .LBB23_287
.LBB23_71:
	s_or_b32 exec_lo, exec_lo, s39
	v_mov_b32_e32 v7, s40
	s_and_saveexec_b32 s39, s34
.LBB23_72:
	v_lshrrev_b32_e32 v2, 24, v2
	s_delay_alu instid0(VALU_DEP_1)
	v_and_or_b32 v7, 0x80, v2, v3
.LBB23_73:
	s_or_b32 exec_lo, exec_lo, s39
.LBB23_74:
	s_delay_alu instid0(SALU_CYCLE_1)
	s_or_b32 exec_lo, exec_lo, s3
	global_store_b8 v[4:5], v7, off
.LBB23_75:
	s_mov_b32 s3, -1
.LBB23_76:
	s_mov_b32 s34, 0
.LBB23_77:
	s_delay_alu instid0(SALU_CYCLE_1)
	s_and_b32 vcc_lo, exec_lo, s34
	s_cbranch_vccz .LBB23_118
; %bb.78:
	v_cmp_lt_i16_e32 vcc_lo, 22, v6
	s_mov_b32 s34, -1
	s_cbranch_vccz .LBB23_110
; %bb.79:
	v_cmp_gt_i16_e32 vcc_lo, 24, v6
	s_mov_b32 s3, -1
	s_cbranch_vccnz .LBB23_99
; %bb.80:
	v_cmp_lt_i16_e32 vcc_lo, 24, v6
	s_cbranch_vccz .LBB23_88
; %bb.81:
	v_cvt_f32_f64_e32 v2, v[0:1]
	v_mov_b32_e32 v7, 0x80
	s_mov_b32 s3, exec_lo
	s_delay_alu instid0(VALU_DEP_2) | instskip(NEXT) | instid1(VALU_DEP_1)
	v_and_b32_e32 v3, 0x7fffffff, v2
	v_cmpx_gt_u32_e32 0x47800000, v3
	s_cbranch_execz .LBB23_87
; %bb.82:
	v_cmp_lt_u32_e32 vcc_lo, 0x37ffffff, v3
	s_mov_b32 s34, 0
                                        ; implicit-def: $vgpr3
	s_and_saveexec_b32 s39, vcc_lo
	s_delay_alu instid0(SALU_CYCLE_1)
	s_xor_b32 s39, exec_lo, s39
	s_cbranch_execz .LBB23_554
; %bb.83:
	v_bfe_u32 v3, v2, 21, 1
	s_mov_b32 s34, exec_lo
	s_delay_alu instid0(VALU_DEP_1) | instskip(NEXT) | instid1(VALU_DEP_1)
	v_add3_u32 v3, v2, v3, 0x88fffff
	v_lshrrev_b32_e32 v3, 21, v3
	s_or_saveexec_b32 s39, s39
                                        ; implicit-def: $sgpr40
	s_delay_alu instid0(SALU_CYCLE_1)
	s_xor_b32 exec_lo, exec_lo, s39
	s_cbranch_execnz .LBB23_555
.LBB23_84:
	s_or_b32 exec_lo, exec_lo, s39
	v_mov_b32_e32 v7, s40
	s_and_saveexec_b32 s39, s34
.LBB23_85:
	v_lshrrev_b32_e32 v2, 24, v2
	s_delay_alu instid0(VALU_DEP_1)
	v_and_or_b32 v7, 0x80, v2, v3
.LBB23_86:
	s_or_b32 exec_lo, exec_lo, s39
.LBB23_87:
	s_delay_alu instid0(SALU_CYCLE_1)
	s_or_b32 exec_lo, exec_lo, s3
	s_mov_b32 s3, 0
	global_store_b8 v[4:5], v7, off
.LBB23_88:
	s_and_b32 vcc_lo, exec_lo, s3
	s_cbranch_vccz .LBB23_98
; %bb.89:
	v_cvt_f32_f64_e32 v2, v[0:1]
	s_mov_b32 s3, exec_lo
                                        ; implicit-def: $vgpr3
	s_delay_alu instid0(VALU_DEP_1) | instskip(NEXT) | instid1(VALU_DEP_1)
	v_and_b32_e32 v7, 0x7fffffff, v2
	v_cmpx_gt_u32_e32 0x43f00000, v7
	s_xor_b32 s3, exec_lo, s3
	s_cbranch_execz .LBB23_95
; %bb.90:
	s_mov_b32 s34, exec_lo
                                        ; implicit-def: $vgpr3
	v_cmpx_lt_u32_e32 0x3c7fffff, v7
	s_xor_b32 s34, exec_lo, s34
; %bb.91:
	v_bfe_u32 v3, v2, 20, 1
	s_delay_alu instid0(VALU_DEP_1) | instskip(NEXT) | instid1(VALU_DEP_1)
	v_add3_u32 v3, v2, v3, 0x407ffff
	v_and_b32_e32 v7, 0xff00000, v3
	v_lshrrev_b32_e32 v3, 20, v3
	s_delay_alu instid0(VALU_DEP_2) | instskip(NEXT) | instid1(VALU_DEP_2)
	v_cmp_ne_u32_e32 vcc_lo, 0x7f00000, v7
	v_cndmask_b32_e32 v3, 0x7e, v3, vcc_lo
; %bb.92:
	s_and_not1_saveexec_b32 s34, s34
; %bb.93:
	v_add_f32_e64 v3, 0x46800000, |v2|
; %bb.94:
	s_or_b32 exec_lo, exec_lo, s34
                                        ; implicit-def: $vgpr7
.LBB23_95:
	s_and_not1_saveexec_b32 s3, s3
; %bb.96:
	v_mov_b32_e32 v3, 0x7f
	v_cmp_lt_u32_e32 vcc_lo, 0x7f800000, v7
	s_delay_alu instid0(VALU_DEP_2)
	v_cndmask_b32_e32 v3, 0x7e, v3, vcc_lo
; %bb.97:
	s_or_b32 exec_lo, exec_lo, s3
	v_lshrrev_b32_e32 v2, 24, v2
	s_delay_alu instid0(VALU_DEP_1)
	v_and_or_b32 v2, 0x80, v2, v3
	global_store_b8 v[4:5], v2, off
.LBB23_98:
	s_mov_b32 s3, 0
.LBB23_99:
	s_delay_alu instid0(SALU_CYCLE_1)
	s_and_not1_b32 vcc_lo, exec_lo, s3
	s_cbranch_vccnz .LBB23_109
; %bb.100:
	v_cvt_f32_f64_e32 v2, v[0:1]
	s_mov_b32 s3, exec_lo
                                        ; implicit-def: $vgpr3
	s_delay_alu instid0(VALU_DEP_1) | instskip(NEXT) | instid1(VALU_DEP_1)
	v_and_b32_e32 v7, 0x7fffffff, v2
	v_cmpx_gt_u32_e32 0x47800000, v7
	s_xor_b32 s3, exec_lo, s3
	s_cbranch_execz .LBB23_106
; %bb.101:
	s_mov_b32 s34, exec_lo
                                        ; implicit-def: $vgpr3
	v_cmpx_lt_u32_e32 0x387fffff, v7
	s_xor_b32 s34, exec_lo, s34
; %bb.102:
	v_bfe_u32 v3, v2, 21, 1
	s_delay_alu instid0(VALU_DEP_1) | instskip(NEXT) | instid1(VALU_DEP_1)
	v_add3_u32 v3, v2, v3, 0x80fffff
	v_lshrrev_b32_e32 v3, 21, v3
; %bb.103:
	s_and_not1_saveexec_b32 s34, s34
; %bb.104:
	v_add_f32_e64 v3, 0x43000000, |v2|
; %bb.105:
	s_or_b32 exec_lo, exec_lo, s34
                                        ; implicit-def: $vgpr7
.LBB23_106:
	s_and_not1_saveexec_b32 s3, s3
; %bb.107:
	v_mov_b32_e32 v3, 0x7f
	v_cmp_lt_u32_e32 vcc_lo, 0x7f800000, v7
	s_delay_alu instid0(VALU_DEP_2)
	v_cndmask_b32_e32 v3, 0x7c, v3, vcc_lo
; %bb.108:
	s_or_b32 exec_lo, exec_lo, s3
	v_lshrrev_b32_e32 v2, 24, v2
	s_delay_alu instid0(VALU_DEP_1)
	v_and_or_b32 v2, 0x80, v2, v3
	global_store_b8 v[4:5], v2, off
.LBB23_109:
	s_mov_b32 s34, 0
	s_mov_b32 s3, -1
.LBB23_110:
	s_and_not1_b32 vcc_lo, exec_lo, s34
	s_cbranch_vccnz .LBB23_118
; %bb.111:
	v_cmp_lt_i16_e32 vcc_lo, 14, v6
	s_mov_b32 s34, -1
	s_cbranch_vccz .LBB23_115
; %bb.112:
	v_cmp_eq_u16_e32 vcc_lo, 15, v6
	s_mov_b32 s2, -1
	s_cbranch_vccz .LBB23_114
; %bb.113:
	v_cvt_f32_f64_e32 v2, v[0:1]
	s_mov_b32 s3, -1
	s_mov_b32 s2, 0
	s_delay_alu instid0(VALU_DEP_1) | instskip(SKIP_1) | instid1(VALU_DEP_2)
	v_bfe_u32 v3, v2, 16, 1
	v_cmp_o_f32_e32 vcc_lo, v2, v2
	v_add3_u32 v3, v2, v3, 0x7fff
	s_delay_alu instid0(VALU_DEP_1) | instskip(NEXT) | instid1(VALU_DEP_1)
	v_lshrrev_b32_e32 v3, 16, v3
	v_cndmask_b32_e32 v2, 0x7fc0, v3, vcc_lo
	global_store_b16 v[4:5], v2, off
.LBB23_114:
	s_mov_b32 s34, 0
.LBB23_115:
	s_delay_alu instid0(SALU_CYCLE_1)
	s_and_b32 vcc_lo, exec_lo, s34
	s_cbranch_vccz .LBB23_118
; %bb.116:
	v_cmp_eq_u16_e32 vcc_lo, 11, v6
	s_mov_b32 s2, -1
	s_cbranch_vccz .LBB23_118
; %bb.117:
	v_cmp_neq_f64_e32 vcc_lo, 0, v[0:1]
	s_mov_b32 s3, -1
	s_mov_b32 s2, 0
	v_cndmask_b32_e64 v2, 0, 1, vcc_lo
	global_store_b8 v[4:5], v2, off
.LBB23_118:
.LBB23_119:
	s_and_not1_b32 vcc_lo, exec_lo, s3
	s_cbranch_vccz .LBB23_159
	s_branch .LBB23_399
.LBB23_120:
	s_and_b32 vcc_lo, exec_lo, s34
	s_cbranch_vccz .LBB23_119
; %bb.121:
	v_cmp_gt_i16_e32 vcc_lo, 5, v6
	s_mov_b32 s3, -1
	s_cbranch_vccnz .LBB23_142
; %bb.122:
	v_cmp_gt_i16_e32 vcc_lo, 8, v6
	s_cbranch_vccnz .LBB23_132
; %bb.123:
	v_cmp_gt_i16_e32 vcc_lo, 9, v6
	s_cbranch_vccnz .LBB23_129
; %bb.124:
	v_cmp_lt_i16_e32 vcc_lo, 9, v6
	s_cbranch_vccz .LBB23_126
; %bb.125:
	v_mov_b32_e32 v2, 0
	s_mov_b32 s3, 0
	s_delay_alu instid0(VALU_DEP_1)
	v_mov_b32_e32 v3, v2
	global_store_b128 v[4:5], v[0:3], off
.LBB23_126:
	s_and_not1_b32 vcc_lo, exec_lo, s3
	s_cbranch_vccnz .LBB23_128
; %bb.127:
	v_cvt_f32_f64_e32 v2, v[0:1]
	v_mov_b32_e32 v3, 0
	global_store_b64 v[4:5], v[2:3], off
.LBB23_128:
	s_mov_b32 s3, 0
.LBB23_129:
	s_delay_alu instid0(SALU_CYCLE_1)
	s_and_not1_b32 vcc_lo, exec_lo, s3
	s_cbranch_vccnz .LBB23_131
; %bb.130:
	v_cvt_f32_f64_e32 v2, v[0:1]
	s_delay_alu instid0(VALU_DEP_1) | instskip(NEXT) | instid1(VALU_DEP_1)
	v_cvt_f16_f32_e32 v2, v2
	v_and_b32_e32 v2, 0xffff, v2
	global_store_b32 v[4:5], v2, off
.LBB23_131:
	s_mov_b32 s3, 0
.LBB23_132:
	s_delay_alu instid0(SALU_CYCLE_1)
	s_and_not1_b32 vcc_lo, exec_lo, s3
	s_cbranch_vccnz .LBB23_141
; %bb.133:
	v_cmp_gt_i16_e32 vcc_lo, 6, v6
	s_mov_b32 s3, -1
	s_cbranch_vccnz .LBB23_139
; %bb.134:
	v_cmp_lt_i16_e32 vcc_lo, 6, v6
	s_cbranch_vccz .LBB23_136
; %bb.135:
	s_mov_b32 s3, 0
	global_store_b64 v[4:5], v[0:1], off
.LBB23_136:
	s_and_not1_b32 vcc_lo, exec_lo, s3
	s_cbranch_vccnz .LBB23_138
; %bb.137:
	v_cvt_f32_f64_e32 v2, v[0:1]
	global_store_b32 v[4:5], v2, off
.LBB23_138:
	s_mov_b32 s3, 0
.LBB23_139:
	s_delay_alu instid0(SALU_CYCLE_1)
	s_and_not1_b32 vcc_lo, exec_lo, s3
	s_cbranch_vccnz .LBB23_141
; %bb.140:
	v_cvt_f32_f64_e32 v2, v[0:1]
	s_delay_alu instid0(VALU_DEP_1)
	v_cvt_f16_f32_e32 v2, v2
	global_store_b16 v[4:5], v2, off
.LBB23_141:
	s_mov_b32 s3, 0
.LBB23_142:
	s_delay_alu instid0(SALU_CYCLE_1)
	s_and_not1_b32 vcc_lo, exec_lo, s3
	s_cbranch_vccnz .LBB23_158
; %bb.143:
	v_cmp_gt_i16_e32 vcc_lo, 2, v6
	s_mov_b32 s3, -1
	s_cbranch_vccnz .LBB23_153
; %bb.144:
	v_cmp_gt_i16_e32 vcc_lo, 3, v6
	s_cbranch_vccnz .LBB23_150
; %bb.145:
	v_cmp_lt_i16_e32 vcc_lo, 3, v6
	s_cbranch_vccz .LBB23_147
; %bb.146:
	v_trunc_f64_e32 v[2:3], v[0:1]
	s_mov_b32 s3, 0
	s_delay_alu instid0(VALU_DEP_1) | instskip(NEXT) | instid1(VALU_DEP_1)
	v_ldexp_f64 v[7:8], v[2:3], 0xffffffe0
	v_floor_f64_e32 v[7:8], v[7:8]
	s_delay_alu instid0(VALU_DEP_1) | instskip(SKIP_1) | instid1(VALU_DEP_2)
	v_fma_f64 v[2:3], 0xc1f00000, v[7:8], v[2:3]
	v_cvt_i32_f64_e32 v8, v[7:8]
	v_cvt_u32_f64_e32 v7, v[2:3]
	global_store_b64 v[4:5], v[7:8], off
.LBB23_147:
	s_and_not1_b32 vcc_lo, exec_lo, s3
	s_cbranch_vccnz .LBB23_149
; %bb.148:
	v_cvt_i32_f64_e32 v2, v[0:1]
	global_store_b32 v[4:5], v2, off
.LBB23_149:
	s_mov_b32 s3, 0
.LBB23_150:
	s_delay_alu instid0(SALU_CYCLE_1)
	s_and_not1_b32 vcc_lo, exec_lo, s3
	s_cbranch_vccnz .LBB23_152
; %bb.151:
	v_cvt_i32_f64_e32 v2, v[0:1]
	global_store_b16 v[4:5], v2, off
.LBB23_152:
	s_mov_b32 s3, 0
.LBB23_153:
	s_delay_alu instid0(SALU_CYCLE_1)
	s_and_not1_b32 vcc_lo, exec_lo, s3
	s_cbranch_vccnz .LBB23_158
; %bb.154:
	v_cmp_lt_i16_e32 vcc_lo, 0, v6
	s_mov_b32 s3, -1
	s_cbranch_vccz .LBB23_156
; %bb.155:
	v_cvt_i32_f64_e32 v2, v[0:1]
	s_mov_b32 s3, 0
	global_store_b8 v[4:5], v2, off
.LBB23_156:
	s_and_not1_b32 vcc_lo, exec_lo, s3
	s_cbranch_vccnz .LBB23_158
; %bb.157:
	v_trunc_f64_e32 v[0:1], v[0:1]
	s_delay_alu instid0(VALU_DEP_1) | instskip(NEXT) | instid1(VALU_DEP_1)
	v_ldexp_f64 v[2:3], v[0:1], 0xffffffe0
	v_floor_f64_e32 v[2:3], v[2:3]
	s_delay_alu instid0(VALU_DEP_1) | instskip(NEXT) | instid1(VALU_DEP_1)
	v_fma_f64 v[0:1], 0xc1f00000, v[2:3], v[0:1]
	v_cvt_u32_f64_e32 v0, v[0:1]
	global_store_b8 v[4:5], v0, off
.LBB23_158:
.LBB23_159:
	v_add_nc_u32_e32 v11, 0x80, v11
	s_mov_b32 s3, -1
	s_branch .LBB23_400
.LBB23_160:
	s_mov_b32 s3, -1
	s_mov_b32 s2, 0
                                        ; implicit-def: $vgpr3_vgpr4
	s_branch .LBB23_179
.LBB23_161:
	s_mov_b32 s3, -1
	s_mov_b32 s2, 0
                                        ; implicit-def: $vgpr5_vgpr6
	s_branch .LBB23_316
.LBB23_162:
	s_mov_b32 s3, -1
	s_mov_b32 s2, 0
                                        ; implicit-def: $vgpr3_vgpr4
	s_branch .LBB23_174
.LBB23_163:
	s_mov_b32 s3, -1
	s_mov_b32 s2, 0
                                        ; implicit-def: $vgpr5_vgpr6
	s_branch .LBB23_295
.LBB23_164:
	s_mov_b32 s3, -1
	s_branch .LBB23_167
.LBB23_165:
	s_mov_b32 s3, -1
	s_mov_b32 s2, 0
                                        ; implicit-def: $vgpr5_vgpr6
	s_branch .LBB23_290
.LBB23_166:
	s_mov_b32 s36, -1
.LBB23_167:
	s_mov_b32 s2, 0
                                        ; implicit-def: $vgpr3_vgpr4
.LBB23_168:
	s_and_b32 vcc_lo, exec_lo, s3
	s_cbranch_vccz .LBB23_173
; %bb.169:
	v_cmp_eq_u16_e32 vcc_lo, 44, v7
	s_cbranch_vccz .LBB23_172
; %bb.170:
	global_load_u8 v1, v[5:6], off
	s_mov_b32 s36, 0
	s_mov_b32 s2, -1
	s_waitcnt vmcnt(0)
	v_cmp_ne_u32_e32 vcc_lo, 0xff, v1
	v_lshlrev_b32_e32 v3, 23, v1
	s_delay_alu instid0(VALU_DEP_1) | instskip(NEXT) | instid1(VALU_DEP_1)
	v_cvt_f64_f32_e32 v[3:4], v3
	v_cndmask_b32_e32 v4, 0x7ff80000, v4, vcc_lo
	s_delay_alu instid0(VALU_DEP_2) | instskip(SKIP_1) | instid1(VALU_DEP_3)
	v_cndmask_b32_e32 v3, 0x20000000, v3, vcc_lo
	v_cmp_ne_u32_e32 vcc_lo, 0, v1
	v_cndmask_b32_e32 v4, 0x38000000, v4, vcc_lo
	s_delay_alu instid0(VALU_DEP_3)
	v_cndmask_b32_e32 v3, 0, v3, vcc_lo
	s_branch .LBB23_173
.LBB23_171:
	s_mov_b32 s3, -1
	s_branch .LBB23_282
.LBB23_172:
	s_mov_b32 s36, -1
                                        ; implicit-def: $vgpr3_vgpr4
.LBB23_173:
	s_mov_b32 s3, 0
.LBB23_174:
	s_delay_alu instid0(SALU_CYCLE_1)
	s_and_b32 vcc_lo, exec_lo, s3
	s_cbranch_vccz .LBB23_178
; %bb.175:
	v_cmp_eq_u16_e32 vcc_lo, 29, v7
	s_cbranch_vccz .LBB23_177
; %bb.176:
	global_load_b64 v[3:4], v[5:6], off
	s_mov_b32 s2, -1
	s_mov_b32 s36, 0
	s_mov_b32 s3, 0
	s_waitcnt vmcnt(0)
	v_cvt_f64_u32_e32 v[13:14], v4
	v_cvt_f64_u32_e32 v[3:4], v3
	s_delay_alu instid0(VALU_DEP_2) | instskip(NEXT) | instid1(VALU_DEP_1)
	v_ldexp_f64 v[13:14], v[13:14], 32
	v_add_f64 v[3:4], v[13:14], v[3:4]
	s_branch .LBB23_179
.LBB23_177:
	s_mov_b32 s36, -1
                                        ; implicit-def: $vgpr3_vgpr4
.LBB23_178:
	s_mov_b32 s3, 0
.LBB23_179:
	s_delay_alu instid0(SALU_CYCLE_1)
	s_and_b32 vcc_lo, exec_lo, s3
	s_cbranch_vccz .LBB23_199
; %bb.180:
	v_cmp_gt_i16_e32 vcc_lo, 27, v7
	s_cbranch_vccnz .LBB23_183
; %bb.181:
	v_cmp_lt_i16_e32 vcc_lo, 27, v7
	s_cbranch_vccz .LBB23_184
; %bb.182:
	global_load_b32 v1, v[5:6], off
	s_mov_b32 s2, 0
	s_waitcnt vmcnt(0)
	v_cvt_f64_u32_e32 v[3:4], v1
	s_branch .LBB23_185
.LBB23_183:
	s_mov_b32 s2, -1
                                        ; implicit-def: $vgpr3_vgpr4
	s_branch .LBB23_188
.LBB23_184:
	s_mov_b32 s2, -1
                                        ; implicit-def: $vgpr3_vgpr4
.LBB23_185:
	s_delay_alu instid0(SALU_CYCLE_1)
	s_and_not1_b32 vcc_lo, exec_lo, s2
	s_cbranch_vccnz .LBB23_187
; %bb.186:
	global_load_u16 v1, v[5:6], off
	s_waitcnt vmcnt(0)
	v_cvt_f64_u32_e32 v[3:4], v1
.LBB23_187:
	s_mov_b32 s2, 0
.LBB23_188:
	s_delay_alu instid0(SALU_CYCLE_1)
	s_and_not1_b32 vcc_lo, exec_lo, s2
	s_cbranch_vccnz .LBB23_198
; %bb.189:
	global_load_u8 v1, v[5:6], off
	s_mov_b32 s34, 0
	s_mov_b32 s35, exec_lo
                                        ; implicit-def: $sgpr2_sgpr3
	s_waitcnt vmcnt(0)
	v_cmpx_lt_i16_e32 0x7f, v1
	s_xor_b32 s35, exec_lo, s35
	s_cbranch_execz .LBB23_193
; %bb.190:
	s_mov_b32 s39, -1
	s_mov_b32 s34, exec_lo
                                        ; implicit-def: $sgpr2_sgpr3
	v_cmpx_eq_u16_e32 0x80, v1
; %bb.191:
	s_mov_b32 s3, 0x7ff80000
	s_brev_b32 s2, 4
	s_xor_b32 s39, exec_lo, -1
; %bb.192:
	s_or_b32 exec_lo, exec_lo, s34
	s_delay_alu instid0(SALU_CYCLE_1)
	s_and_b32 s34, s39, exec_lo
.LBB23_193:
	s_or_saveexec_b32 s35, s35
	v_dual_mov_b32 v4, s3 :: v_dual_mov_b32 v3, s2
	s_xor_b32 exec_lo, exec_lo, s35
; %bb.194:
	v_cmp_ne_u16_e32 vcc_lo, 0, v1
	v_mov_b32_e32 v3, 0
	v_mov_b32_e32 v4, 0
	s_and_not1_b32 s2, s34, exec_lo
	s_and_b32 s3, vcc_lo, exec_lo
	s_delay_alu instid0(SALU_CYCLE_1)
	s_or_b32 s34, s2, s3
; %bb.195:
	s_or_b32 exec_lo, exec_lo, s35
	s_and_saveexec_b32 s2, s34
	s_cbranch_execz .LBB23_197
; %bb.196:
	v_and_b32_e32 v3, 0xffff, v1
	v_lshlrev_b32_e32 v1, 24, v1
	s_delay_alu instid0(VALU_DEP_2) | instskip(NEXT) | instid1(VALU_DEP_2)
	v_and_b32_e32 v4, 7, v3
	v_and_b32_e32 v1, 0x80000000, v1
	s_delay_alu instid0(VALU_DEP_2) | instskip(NEXT) | instid1(VALU_DEP_1)
	v_clz_i32_u32_e32 v8, v4
	v_min_u32_e32 v8, 32, v8
	s_delay_alu instid0(VALU_DEP_1) | instskip(SKIP_1) | instid1(VALU_DEP_2)
	v_subrev_nc_u32_e32 v13, 28, v8
	v_sub_nc_u32_e32 v8, 29, v8
	v_lshlrev_b32_e32 v13, v13, v3
	v_bfe_u32 v3, v3, 3, 4
	s_delay_alu instid0(VALU_DEP_2) | instskip(NEXT) | instid1(VALU_DEP_2)
	v_and_b32_e32 v13, 7, v13
	v_cmp_eq_u32_e32 vcc_lo, 0, v3
	s_delay_alu instid0(VALU_DEP_2) | instskip(NEXT) | instid1(VALU_DEP_1)
	v_dual_cndmask_b32 v3, v3, v8 :: v_dual_cndmask_b32 v4, v4, v13
	v_lshl_add_u32 v3, v3, 23, 0x3b800000
	s_delay_alu instid0(VALU_DEP_2) | instskip(NEXT) | instid1(VALU_DEP_1)
	v_lshlrev_b32_e32 v4, 20, v4
	v_or3_b32 v1, v1, v3, v4
	s_delay_alu instid0(VALU_DEP_1)
	v_cvt_f64_f32_e32 v[3:4], v1
.LBB23_197:
	s_or_b32 exec_lo, exec_lo, s2
.LBB23_198:
	s_mov_b32 s2, -1
.LBB23_199:
	s_branch .LBB23_232
.LBB23_200:
	v_cmp_lt_i16_e32 vcc_lo, 22, v7
	s_cbranch_vccz .LBB23_212
; %bb.201:
	v_cmp_gt_i16_e32 vcc_lo, 24, v7
	s_cbranch_vccnz .LBB23_213
; %bb.202:
	v_cmp_lt_i16_e32 vcc_lo, 24, v7
	s_cbranch_vccz .LBB23_214
; %bb.203:
	global_load_u8 v1, v[5:6], off
	s_mov_b32 s34, 0
	s_mov_b32 s35, exec_lo
                                        ; implicit-def: $sgpr2_sgpr3
	s_waitcnt vmcnt(0)
	v_cmpx_lt_i16_e32 0x7f, v1
	s_xor_b32 s35, exec_lo, s35
	s_cbranch_execz .LBB23_207
; %bb.204:
	s_mov_b32 s39, -1
	s_mov_b32 s34, exec_lo
                                        ; implicit-def: $sgpr2_sgpr3
	v_cmpx_eq_u16_e32 0x80, v1
; %bb.205:
	s_mov_b32 s3, 0x7ff80000
	s_brev_b32 s2, 4
	s_xor_b32 s39, exec_lo, -1
; %bb.206:
	s_or_b32 exec_lo, exec_lo, s34
	s_delay_alu instid0(SALU_CYCLE_1)
	s_and_b32 s34, s39, exec_lo
.LBB23_207:
	s_or_saveexec_b32 s35, s35
	v_dual_mov_b32 v4, s3 :: v_dual_mov_b32 v3, s2
	s_xor_b32 exec_lo, exec_lo, s35
; %bb.208:
	v_cmp_ne_u16_e32 vcc_lo, 0, v1
	v_mov_b32_e32 v3, 0
	v_mov_b32_e32 v4, 0
	s_and_not1_b32 s2, s34, exec_lo
	s_and_b32 s3, vcc_lo, exec_lo
	s_delay_alu instid0(SALU_CYCLE_1)
	s_or_b32 s34, s2, s3
; %bb.209:
	s_or_b32 exec_lo, exec_lo, s35
	s_and_saveexec_b32 s2, s34
	s_cbranch_execz .LBB23_211
; %bb.210:
	v_and_b32_e32 v3, 0xffff, v1
	v_lshlrev_b32_e32 v1, 24, v1
	s_delay_alu instid0(VALU_DEP_2) | instskip(NEXT) | instid1(VALU_DEP_2)
	v_and_b32_e32 v4, 3, v3
	v_and_b32_e32 v1, 0x80000000, v1
	s_delay_alu instid0(VALU_DEP_2) | instskip(NEXT) | instid1(VALU_DEP_1)
	v_clz_i32_u32_e32 v8, v4
	v_min_u32_e32 v8, 32, v8
	s_delay_alu instid0(VALU_DEP_1) | instskip(SKIP_1) | instid1(VALU_DEP_2)
	v_subrev_nc_u32_e32 v13, 29, v8
	v_sub_nc_u32_e32 v8, 30, v8
	v_lshlrev_b32_e32 v13, v13, v3
	v_bfe_u32 v3, v3, 2, 5
	s_delay_alu instid0(VALU_DEP_2) | instskip(NEXT) | instid1(VALU_DEP_2)
	v_and_b32_e32 v13, 3, v13
	v_cmp_eq_u32_e32 vcc_lo, 0, v3
	s_delay_alu instid0(VALU_DEP_2) | instskip(NEXT) | instid1(VALU_DEP_1)
	v_dual_cndmask_b32 v3, v3, v8 :: v_dual_cndmask_b32 v4, v4, v13
	v_lshl_add_u32 v3, v3, 23, 0x37800000
	s_delay_alu instid0(VALU_DEP_2) | instskip(NEXT) | instid1(VALU_DEP_1)
	v_lshlrev_b32_e32 v4, 21, v4
	v_or3_b32 v1, v1, v3, v4
	s_delay_alu instid0(VALU_DEP_1)
	v_cvt_f64_f32_e32 v[3:4], v1
.LBB23_211:
	s_or_b32 exec_lo, exec_lo, s2
	s_mov_b32 s2, 0
	s_branch .LBB23_215
.LBB23_212:
	s_mov_b32 s3, -1
                                        ; implicit-def: $vgpr3_vgpr4
	s_branch .LBB23_221
.LBB23_213:
	s_mov_b32 s2, -1
                                        ; implicit-def: $vgpr3_vgpr4
	s_branch .LBB23_218
.LBB23_214:
	s_mov_b32 s2, -1
                                        ; implicit-def: $vgpr3_vgpr4
.LBB23_215:
	s_delay_alu instid0(SALU_CYCLE_1)
	s_and_b32 vcc_lo, exec_lo, s2
	s_cbranch_vccz .LBB23_217
; %bb.216:
	global_load_u8 v1, v[5:6], off
	s_waitcnt vmcnt(0)
	v_lshlrev_b32_e32 v1, 24, v1
	s_delay_alu instid0(VALU_DEP_1) | instskip(NEXT) | instid1(VALU_DEP_1)
	v_and_b32_e32 v3, 0x7f000000, v1
	v_clz_i32_u32_e32 v4, v3
	v_cmp_ne_u32_e32 vcc_lo, 0, v3
	v_add_nc_u32_e32 v13, 0x1000000, v3
	s_delay_alu instid0(VALU_DEP_3) | instskip(NEXT) | instid1(VALU_DEP_1)
	v_min_u32_e32 v4, 32, v4
	v_sub_nc_u32_e64 v4, v4, 4 clamp
	s_delay_alu instid0(VALU_DEP_1) | instskip(SKIP_1) | instid1(VALU_DEP_2)
	v_lshlrev_b32_e32 v8, v4, v3
	v_lshlrev_b32_e32 v4, 23, v4
	v_lshrrev_b32_e32 v8, 4, v8
	s_delay_alu instid0(VALU_DEP_1) | instskip(SKIP_1) | instid1(VALU_DEP_2)
	v_sub_nc_u32_e32 v4, v8, v4
	v_ashrrev_i32_e32 v8, 8, v13
	v_add_nc_u32_e32 v4, 0x3c000000, v4
	s_delay_alu instid0(VALU_DEP_1) | instskip(NEXT) | instid1(VALU_DEP_1)
	v_and_or_b32 v4, 0x7f800000, v8, v4
	v_cndmask_b32_e32 v3, 0, v4, vcc_lo
	s_delay_alu instid0(VALU_DEP_1) | instskip(NEXT) | instid1(VALU_DEP_1)
	v_and_or_b32 v1, 0x80000000, v1, v3
	v_cvt_f64_f32_e32 v[3:4], v1
.LBB23_217:
	s_mov_b32 s2, 0
.LBB23_218:
	s_delay_alu instid0(SALU_CYCLE_1)
	s_and_not1_b32 vcc_lo, exec_lo, s2
	s_cbranch_vccnz .LBB23_220
; %bb.219:
	global_load_u8 v1, v[5:6], off
	s_waitcnt vmcnt(0)
	v_lshlrev_b32_e32 v3, 25, v1
	v_lshlrev_b16 v1, 8, v1
	s_delay_alu instid0(VALU_DEP_1) | instskip(SKIP_1) | instid1(VALU_DEP_2)
	v_and_or_b32 v8, 0x7f00, v1, 0.5
	v_bfe_i32 v1, v1, 0, 16
	v_add_f32_e32 v8, -0.5, v8
	v_lshrrev_b32_e32 v4, 4, v3
	v_cmp_gt_u32_e32 vcc_lo, 0x8000000, v3
	s_delay_alu instid0(VALU_DEP_2) | instskip(NEXT) | instid1(VALU_DEP_1)
	v_or_b32_e32 v4, 0x70000000, v4
	v_mul_f32_e32 v4, 0x7800000, v4
	s_delay_alu instid0(VALU_DEP_1) | instskip(NEXT) | instid1(VALU_DEP_1)
	v_cndmask_b32_e32 v3, v4, v8, vcc_lo
	v_and_or_b32 v1, 0x80000000, v1, v3
	s_delay_alu instid0(VALU_DEP_1)
	v_cvt_f64_f32_e32 v[3:4], v1
.LBB23_220:
	s_mov_b32 s3, 0
	s_mov_b32 s2, -1
.LBB23_221:
	s_and_not1_b32 vcc_lo, exec_lo, s3
	s_cbranch_vccnz .LBB23_232
; %bb.222:
	v_cmp_lt_i16_e32 vcc_lo, 14, v7
	s_cbranch_vccz .LBB23_225
; %bb.223:
	v_cmp_eq_u16_e32 vcc_lo, 15, v7
	s_cbranch_vccz .LBB23_226
; %bb.224:
	global_load_u16 v1, v[5:6], off
	s_mov_b32 s2, -1
	s_mov_b32 s36, 0
	s_waitcnt vmcnt(0)
	v_lshlrev_b32_e32 v1, 16, v1
	s_delay_alu instid0(VALU_DEP_1)
	v_cvt_f64_f32_e32 v[3:4], v1
	s_branch .LBB23_227
.LBB23_225:
	s_mov_b32 s3, -1
                                        ; implicit-def: $vgpr3_vgpr4
	s_branch .LBB23_228
.LBB23_226:
	s_mov_b32 s36, -1
                                        ; implicit-def: $vgpr3_vgpr4
.LBB23_227:
	s_mov_b32 s3, 0
.LBB23_228:
	s_delay_alu instid0(SALU_CYCLE_1)
	s_and_b32 vcc_lo, exec_lo, s3
	s_cbranch_vccz .LBB23_232
; %bb.229:
	v_cmp_eq_u16_e32 vcc_lo, 11, v7
	s_cbranch_vccz .LBB23_231
; %bb.230:
	global_load_u8 v1, v[5:6], off
	v_mov_b32_e32 v3, 0
	s_mov_b32 s36, 0
	s_mov_b32 s2, -1
	s_waitcnt vmcnt(0)
	v_cmp_ne_u16_e32 vcc_lo, 0, v1
	v_cndmask_b32_e64 v4, 0, 0x3ff00000, vcc_lo
	s_branch .LBB23_232
.LBB23_231:
	s_mov_b32 s36, -1
                                        ; implicit-def: $vgpr3_vgpr4
.LBB23_232:
	s_branch .LBB23_20
.LBB23_233:
	v_cmp_gt_i16_e32 vcc_lo, 5, v7
	s_cbranch_vccnz .LBB23_238
; %bb.234:
	v_cmp_gt_i16_e32 vcc_lo, 8, v7
	s_cbranch_vccnz .LBB23_239
; %bb.235:
	;; [unrolled: 3-line block ×3, first 2 shown]
	v_cmp_lt_i16_e32 vcc_lo, 9, v7
	s_cbranch_vccz .LBB23_241
; %bb.237:
	global_load_b64 v[3:4], v[5:6], off
	s_mov_b32 s2, 0
	s_branch .LBB23_242
.LBB23_238:
                                        ; implicit-def: $vgpr3_vgpr4
	s_branch .LBB23_260
.LBB23_239:
	s_mov_b32 s2, -1
                                        ; implicit-def: $vgpr3_vgpr4
	s_branch .LBB23_248
.LBB23_240:
	s_mov_b32 s2, -1
                                        ; implicit-def: $vgpr3_vgpr4
	s_branch .LBB23_245
.LBB23_241:
	s_mov_b32 s2, -1
                                        ; implicit-def: $vgpr3_vgpr4
.LBB23_242:
	s_delay_alu instid0(SALU_CYCLE_1)
	s_and_not1_b32 vcc_lo, exec_lo, s2
	s_cbranch_vccnz .LBB23_244
; %bb.243:
	global_load_b32 v1, v[5:6], off
	s_waitcnt vmcnt(0)
	v_cvt_f64_f32_e32 v[3:4], v1
.LBB23_244:
	s_mov_b32 s2, 0
.LBB23_245:
	s_delay_alu instid0(SALU_CYCLE_1)
	s_and_not1_b32 vcc_lo, exec_lo, s2
	s_cbranch_vccnz .LBB23_247
; %bb.246:
	global_load_b32 v1, v[5:6], off
	s_waitcnt vmcnt(0)
	v_cvt_f32_f16_e32 v1, v1
	s_delay_alu instid0(VALU_DEP_1)
	v_cvt_f64_f32_e32 v[3:4], v1
.LBB23_247:
	s_mov_b32 s2, 0
.LBB23_248:
	s_delay_alu instid0(SALU_CYCLE_1)
	s_and_not1_b32 vcc_lo, exec_lo, s2
	s_cbranch_vccnz .LBB23_259
; %bb.249:
	v_cmp_gt_i16_e32 vcc_lo, 6, v7
	s_cbranch_vccnz .LBB23_252
; %bb.250:
	v_cmp_lt_i16_e32 vcc_lo, 6, v7
	s_cbranch_vccz .LBB23_253
; %bb.251:
	global_load_b64 v[3:4], v[5:6], off
	s_mov_b32 s2, 0
	s_branch .LBB23_254
.LBB23_252:
	s_mov_b32 s2, -1
                                        ; implicit-def: $vgpr3_vgpr4
	s_branch .LBB23_257
.LBB23_253:
	s_mov_b32 s2, -1
                                        ; implicit-def: $vgpr3_vgpr4
.LBB23_254:
	s_delay_alu instid0(SALU_CYCLE_1)
	s_and_not1_b32 vcc_lo, exec_lo, s2
	s_cbranch_vccnz .LBB23_256
; %bb.255:
	global_load_b32 v1, v[5:6], off
	s_waitcnt vmcnt(0)
	v_cvt_f64_f32_e32 v[3:4], v1
.LBB23_256:
	s_mov_b32 s2, 0
.LBB23_257:
	s_delay_alu instid0(SALU_CYCLE_1)
	s_and_not1_b32 vcc_lo, exec_lo, s2
	s_cbranch_vccnz .LBB23_259
; %bb.258:
	global_load_u16 v1, v[5:6], off
	s_waitcnt vmcnt(0)
	v_cvt_f32_f16_e32 v1, v1
	s_delay_alu instid0(VALU_DEP_1)
	v_cvt_f64_f32_e32 v[3:4], v1
.LBB23_259:
	s_cbranch_execnz .LBB23_279
.LBB23_260:
	v_cmp_gt_i16_e32 vcc_lo, 2, v7
	s_cbranch_vccnz .LBB23_264
; %bb.261:
	v_cmp_gt_i16_e32 vcc_lo, 3, v7
	s_cbranch_vccnz .LBB23_265
; %bb.262:
	v_cmp_lt_i16_e32 vcc_lo, 3, v7
	s_cbranch_vccz .LBB23_266
; %bb.263:
	global_load_b64 v[3:4], v[5:6], off
	s_mov_b32 s2, 0
	s_waitcnt vmcnt(0)
	v_cvt_f64_i32_e32 v[13:14], v4
	v_cvt_f64_u32_e32 v[3:4], v3
	s_delay_alu instid0(VALU_DEP_2) | instskip(NEXT) | instid1(VALU_DEP_1)
	v_ldexp_f64 v[13:14], v[13:14], 32
	v_add_f64 v[3:4], v[13:14], v[3:4]
	s_branch .LBB23_267
.LBB23_264:
	s_mov_b32 s2, -1
                                        ; implicit-def: $vgpr3_vgpr4
	s_branch .LBB23_273
.LBB23_265:
	s_mov_b32 s2, -1
                                        ; implicit-def: $vgpr3_vgpr4
	s_branch .LBB23_270
.LBB23_266:
	s_mov_b32 s2, -1
                                        ; implicit-def: $vgpr3_vgpr4
.LBB23_267:
	s_delay_alu instid0(SALU_CYCLE_1)
	s_and_not1_b32 vcc_lo, exec_lo, s2
	s_cbranch_vccnz .LBB23_269
; %bb.268:
	global_load_b32 v1, v[5:6], off
	s_waitcnt vmcnt(0)
	v_cvt_f64_i32_e32 v[3:4], v1
.LBB23_269:
	s_mov_b32 s2, 0
.LBB23_270:
	s_delay_alu instid0(SALU_CYCLE_1)
	s_and_not1_b32 vcc_lo, exec_lo, s2
	s_cbranch_vccnz .LBB23_272
; %bb.271:
	global_load_i16 v1, v[5:6], off
	s_waitcnt vmcnt(0)
	v_cvt_f64_i32_e32 v[3:4], v1
.LBB23_272:
	s_mov_b32 s2, 0
.LBB23_273:
	s_delay_alu instid0(SALU_CYCLE_1)
	s_and_not1_b32 vcc_lo, exec_lo, s2
	s_cbranch_vccnz .LBB23_279
; %bb.274:
	v_cmp_lt_i16_e32 vcc_lo, 0, v7
	s_mov_b32 s2, 0
	s_cbranch_vccz .LBB23_276
; %bb.275:
	global_load_i8 v1, v[5:6], off
	s_waitcnt vmcnt(0)
	v_cvt_f64_i32_e32 v[3:4], v1
	s_branch .LBB23_277
.LBB23_276:
	s_mov_b32 s2, -1
                                        ; implicit-def: $vgpr3_vgpr4
.LBB23_277:
	s_delay_alu instid0(SALU_CYCLE_1)
	s_and_not1_b32 vcc_lo, exec_lo, s2
	s_cbranch_vccnz .LBB23_279
; %bb.278:
	global_load_u8 v1, v[5:6], off
	s_waitcnt vmcnt(0)
	v_cvt_f64_u32_e32 v[3:4], v1
.LBB23_279:
	s_branch .LBB23_21
.LBB23_280:
	s_mov_b32 s2, 0
	s_mov_b32 s35, 0
	s_branch .LBB23_399
.LBB23_281:
	s_mov_b32 s35, -1
.LBB23_282:
	s_mov_b32 s2, 0
                                        ; implicit-def: $vgpr5_vgpr6
.LBB23_283:
	s_and_b32 vcc_lo, exec_lo, s3
	s_cbranch_vccz .LBB23_289
; %bb.284:
	v_cmp_eq_u16_e32 vcc_lo, 44, v7
	s_cbranch_vccz .LBB23_288
; %bb.285:
	global_load_u8 v8, v[0:1], off
	s_mov_b32 s35, 0
	s_mov_b32 s2, -1
	s_waitcnt vmcnt(0)
	v_cmp_ne_u32_e32 vcc_lo, 0xff, v8
	v_lshlrev_b32_e32 v5, 23, v8
	s_delay_alu instid0(VALU_DEP_1) | instskip(NEXT) | instid1(VALU_DEP_1)
	v_cvt_f64_f32_e32 v[5:6], v5
	v_cndmask_b32_e32 v6, 0x7ff80000, v6, vcc_lo
	s_delay_alu instid0(VALU_DEP_2) | instskip(SKIP_1) | instid1(VALU_DEP_3)
	v_cndmask_b32_e32 v5, 0x20000000, v5, vcc_lo
	v_cmp_ne_u32_e32 vcc_lo, 0, v8
	v_cndmask_b32_e32 v6, 0x38000000, v6, vcc_lo
	s_delay_alu instid0(VALU_DEP_3)
	v_cndmask_b32_e32 v5, 0, v5, vcc_lo
	s_branch .LBB23_289
.LBB23_286:
	s_or_saveexec_b32 s39, s39
                                        ; implicit-def: $sgpr40
	s_delay_alu instid0(SALU_CYCLE_1)
	s_xor_b32 exec_lo, exec_lo, s39
	s_cbranch_execz .LBB23_71
.LBB23_287:
	v_add_f32_e64 v3, 0x46000000, |v2|
	s_and_not1_b32 s34, s34, exec_lo
	s_mov_b32 s40, 0
	s_delay_alu instid0(VALU_DEP_1) | instskip(NEXT) | instid1(VALU_DEP_1)
	v_and_b32_e32 v3, 0xff, v3
	v_cmp_ne_u32_e32 vcc_lo, 0, v3
	s_and_b32 s41, vcc_lo, exec_lo
	s_delay_alu instid0(SALU_CYCLE_1)
	s_or_b32 s34, s34, s41
	s_or_b32 exec_lo, exec_lo, s39
	v_mov_b32_e32 v7, s40
	s_and_saveexec_b32 s39, s34
	s_cbranch_execnz .LBB23_72
	s_branch .LBB23_73
.LBB23_288:
	s_mov_b32 s35, -1
                                        ; implicit-def: $vgpr5_vgpr6
.LBB23_289:
	s_mov_b32 s3, 0
.LBB23_290:
	s_delay_alu instid0(SALU_CYCLE_1)
	s_and_b32 vcc_lo, exec_lo, s3
	s_cbranch_vccz .LBB23_294
; %bb.291:
	v_cmp_eq_u16_e32 vcc_lo, 29, v7
	s_cbranch_vccz .LBB23_293
; %bb.292:
	global_load_b64 v[5:6], v[0:1], off
	s_mov_b32 s2, -1
	s_mov_b32 s35, 0
	s_mov_b32 s3, 0
	s_waitcnt vmcnt(0)
	v_cvt_f64_u32_e32 v[13:14], v6
	v_cvt_f64_u32_e32 v[5:6], v5
	s_delay_alu instid0(VALU_DEP_2) | instskip(NEXT) | instid1(VALU_DEP_1)
	v_ldexp_f64 v[13:14], v[13:14], 32
	v_add_f64 v[5:6], v[13:14], v[5:6]
	s_branch .LBB23_295
.LBB23_293:
	s_mov_b32 s35, -1
                                        ; implicit-def: $vgpr5_vgpr6
.LBB23_294:
	s_mov_b32 s3, 0
.LBB23_295:
	s_delay_alu instid0(SALU_CYCLE_1)
	s_and_b32 vcc_lo, exec_lo, s3
	s_cbranch_vccz .LBB23_315
; %bb.296:
	v_cmp_gt_i16_e32 vcc_lo, 27, v7
	s_cbranch_vccnz .LBB23_299
; %bb.297:
	v_cmp_lt_i16_e32 vcc_lo, 27, v7
	s_cbranch_vccz .LBB23_300
; %bb.298:
	global_load_b32 v5, v[0:1], off
	s_mov_b32 s2, 0
	s_waitcnt vmcnt(0)
	v_cvt_f64_u32_e32 v[5:6], v5
	s_branch .LBB23_301
.LBB23_299:
	s_mov_b32 s2, -1
                                        ; implicit-def: $vgpr5_vgpr6
	s_branch .LBB23_304
.LBB23_300:
	s_mov_b32 s2, -1
                                        ; implicit-def: $vgpr5_vgpr6
.LBB23_301:
	s_delay_alu instid0(SALU_CYCLE_1)
	s_and_not1_b32 vcc_lo, exec_lo, s2
	s_cbranch_vccnz .LBB23_303
; %bb.302:
	global_load_u16 v5, v[0:1], off
	s_waitcnt vmcnt(0)
	v_cvt_f64_u32_e32 v[5:6], v5
.LBB23_303:
	s_mov_b32 s2, 0
.LBB23_304:
	s_delay_alu instid0(SALU_CYCLE_1)
	s_and_not1_b32 vcc_lo, exec_lo, s2
	s_cbranch_vccnz .LBB23_314
; %bb.305:
	global_load_u8 v8, v[0:1], off
	s_mov_b32 s34, 0
	s_mov_b32 s39, exec_lo
                                        ; implicit-def: $sgpr2_sgpr3
	s_waitcnt vmcnt(0)
	v_cmpx_lt_i16_e32 0x7f, v8
	s_xor_b32 s39, exec_lo, s39
	s_cbranch_execz .LBB23_309
; %bb.306:
	s_mov_b32 s40, -1
	s_mov_b32 s34, exec_lo
                                        ; implicit-def: $sgpr2_sgpr3
	v_cmpx_eq_u16_e32 0x80, v8
; %bb.307:
	s_mov_b32 s3, 0x7ff80000
	s_brev_b32 s2, 4
	s_xor_b32 s40, exec_lo, -1
; %bb.308:
	s_or_b32 exec_lo, exec_lo, s34
	s_delay_alu instid0(SALU_CYCLE_1)
	s_and_b32 s34, s40, exec_lo
.LBB23_309:
	s_or_saveexec_b32 s39, s39
	v_dual_mov_b32 v6, s3 :: v_dual_mov_b32 v5, s2
	s_xor_b32 exec_lo, exec_lo, s39
; %bb.310:
	v_cmp_ne_u16_e32 vcc_lo, 0, v8
	v_mov_b32_e32 v5, 0
	v_mov_b32_e32 v6, 0
	s_and_not1_b32 s2, s34, exec_lo
	s_and_b32 s3, vcc_lo, exec_lo
	s_delay_alu instid0(SALU_CYCLE_1)
	s_or_b32 s34, s2, s3
; %bb.311:
	s_or_b32 exec_lo, exec_lo, s39
	s_and_saveexec_b32 s2, s34
	s_cbranch_execz .LBB23_313
; %bb.312:
	v_and_b32_e32 v5, 0xffff, v8
	v_lshlrev_b32_e32 v8, 24, v8
	s_delay_alu instid0(VALU_DEP_2) | instskip(NEXT) | instid1(VALU_DEP_2)
	v_and_b32_e32 v6, 7, v5
	v_and_b32_e32 v8, 0x80000000, v8
	s_delay_alu instid0(VALU_DEP_2) | instskip(NEXT) | instid1(VALU_DEP_1)
	v_clz_i32_u32_e32 v13, v6
	v_min_u32_e32 v13, 32, v13
	s_delay_alu instid0(VALU_DEP_1) | instskip(SKIP_1) | instid1(VALU_DEP_2)
	v_subrev_nc_u32_e32 v14, 28, v13
	v_sub_nc_u32_e32 v13, 29, v13
	v_lshlrev_b32_e32 v14, v14, v5
	v_bfe_u32 v5, v5, 3, 4
	s_delay_alu instid0(VALU_DEP_1) | instskip(NEXT) | instid1(VALU_DEP_3)
	v_cmp_eq_u32_e32 vcc_lo, 0, v5
	v_dual_cndmask_b32 v5, v5, v13 :: v_dual_and_b32 v14, 7, v14
	s_delay_alu instid0(VALU_DEP_1) | instskip(NEXT) | instid1(VALU_DEP_2)
	v_cndmask_b32_e32 v6, v6, v14, vcc_lo
	v_lshl_add_u32 v5, v5, 23, 0x3b800000
	s_delay_alu instid0(VALU_DEP_2) | instskip(NEXT) | instid1(VALU_DEP_1)
	v_lshlrev_b32_e32 v6, 20, v6
	v_or3_b32 v5, v8, v5, v6
	s_delay_alu instid0(VALU_DEP_1)
	v_cvt_f64_f32_e32 v[5:6], v5
.LBB23_313:
	s_or_b32 exec_lo, exec_lo, s2
.LBB23_314:
	s_mov_b32 s2, -1
.LBB23_315:
	s_mov_b32 s3, 0
.LBB23_316:
	s_delay_alu instid0(SALU_CYCLE_1)
	s_and_b32 vcc_lo, exec_lo, s3
	s_cbranch_vccz .LBB23_349
; %bb.317:
	v_cmp_lt_i16_e32 vcc_lo, 22, v7
	s_cbranch_vccz .LBB23_329
; %bb.318:
	v_cmp_gt_i16_e32 vcc_lo, 24, v7
	s_cbranch_vccnz .LBB23_330
; %bb.319:
	v_cmp_lt_i16_e32 vcc_lo, 24, v7
	s_cbranch_vccz .LBB23_331
; %bb.320:
	global_load_u8 v8, v[0:1], off
	s_mov_b32 s34, 0
	s_mov_b32 s39, exec_lo
                                        ; implicit-def: $sgpr2_sgpr3
	s_waitcnt vmcnt(0)
	v_cmpx_lt_i16_e32 0x7f, v8
	s_xor_b32 s39, exec_lo, s39
	s_cbranch_execz .LBB23_324
; %bb.321:
	s_mov_b32 s40, -1
	s_mov_b32 s34, exec_lo
                                        ; implicit-def: $sgpr2_sgpr3
	v_cmpx_eq_u16_e32 0x80, v8
; %bb.322:
	s_mov_b32 s3, 0x7ff80000
	s_brev_b32 s2, 4
	s_xor_b32 s40, exec_lo, -1
; %bb.323:
	s_or_b32 exec_lo, exec_lo, s34
	s_delay_alu instid0(SALU_CYCLE_1)
	s_and_b32 s34, s40, exec_lo
.LBB23_324:
	s_or_saveexec_b32 s39, s39
	v_dual_mov_b32 v6, s3 :: v_dual_mov_b32 v5, s2
	s_xor_b32 exec_lo, exec_lo, s39
; %bb.325:
	v_cmp_ne_u16_e32 vcc_lo, 0, v8
	v_mov_b32_e32 v5, 0
	v_mov_b32_e32 v6, 0
	s_and_not1_b32 s2, s34, exec_lo
	s_and_b32 s3, vcc_lo, exec_lo
	s_delay_alu instid0(SALU_CYCLE_1)
	s_or_b32 s34, s2, s3
; %bb.326:
	s_or_b32 exec_lo, exec_lo, s39
	s_and_saveexec_b32 s2, s34
	s_cbranch_execz .LBB23_328
; %bb.327:
	v_and_b32_e32 v5, 0xffff, v8
	v_lshlrev_b32_e32 v8, 24, v8
	s_delay_alu instid0(VALU_DEP_2) | instskip(NEXT) | instid1(VALU_DEP_2)
	v_and_b32_e32 v6, 3, v5
	v_and_b32_e32 v8, 0x80000000, v8
	s_delay_alu instid0(VALU_DEP_2) | instskip(NEXT) | instid1(VALU_DEP_1)
	v_clz_i32_u32_e32 v13, v6
	v_min_u32_e32 v13, 32, v13
	s_delay_alu instid0(VALU_DEP_1) | instskip(SKIP_1) | instid1(VALU_DEP_2)
	v_subrev_nc_u32_e32 v14, 29, v13
	v_sub_nc_u32_e32 v13, 30, v13
	v_lshlrev_b32_e32 v14, v14, v5
	v_bfe_u32 v5, v5, 2, 5
	s_delay_alu instid0(VALU_DEP_1) | instskip(NEXT) | instid1(VALU_DEP_3)
	v_cmp_eq_u32_e32 vcc_lo, 0, v5
	v_dual_cndmask_b32 v5, v5, v13 :: v_dual_and_b32 v14, 3, v14
	s_delay_alu instid0(VALU_DEP_1) | instskip(NEXT) | instid1(VALU_DEP_2)
	v_cndmask_b32_e32 v6, v6, v14, vcc_lo
	v_lshl_add_u32 v5, v5, 23, 0x37800000
	s_delay_alu instid0(VALU_DEP_2) | instskip(NEXT) | instid1(VALU_DEP_1)
	v_lshlrev_b32_e32 v6, 21, v6
	v_or3_b32 v5, v8, v5, v6
	s_delay_alu instid0(VALU_DEP_1)
	v_cvt_f64_f32_e32 v[5:6], v5
.LBB23_328:
	s_or_b32 exec_lo, exec_lo, s2
	s_mov_b32 s2, 0
	s_branch .LBB23_332
.LBB23_329:
	s_mov_b32 s3, -1
                                        ; implicit-def: $vgpr5_vgpr6
	s_branch .LBB23_338
.LBB23_330:
	s_mov_b32 s2, -1
                                        ; implicit-def: $vgpr5_vgpr6
	s_branch .LBB23_335
.LBB23_331:
	s_mov_b32 s2, -1
                                        ; implicit-def: $vgpr5_vgpr6
.LBB23_332:
	s_delay_alu instid0(SALU_CYCLE_1)
	s_and_b32 vcc_lo, exec_lo, s2
	s_cbranch_vccz .LBB23_334
; %bb.333:
	global_load_u8 v5, v[0:1], off
	s_waitcnt vmcnt(0)
	v_lshlrev_b32_e32 v5, 24, v5
	s_delay_alu instid0(VALU_DEP_1) | instskip(NEXT) | instid1(VALU_DEP_1)
	v_and_b32_e32 v6, 0x7f000000, v5
	v_clz_i32_u32_e32 v8, v6
	v_add_nc_u32_e32 v14, 0x1000000, v6
	v_cmp_ne_u32_e32 vcc_lo, 0, v6
	s_delay_alu instid0(VALU_DEP_3) | instskip(NEXT) | instid1(VALU_DEP_1)
	v_min_u32_e32 v8, 32, v8
	v_sub_nc_u32_e64 v8, v8, 4 clamp
	s_delay_alu instid0(VALU_DEP_1) | instskip(SKIP_1) | instid1(VALU_DEP_2)
	v_lshlrev_b32_e32 v13, v8, v6
	v_lshlrev_b32_e32 v8, 23, v8
	v_lshrrev_b32_e32 v13, 4, v13
	s_delay_alu instid0(VALU_DEP_1) | instskip(SKIP_1) | instid1(VALU_DEP_2)
	v_sub_nc_u32_e32 v8, v13, v8
	v_ashrrev_i32_e32 v13, 8, v14
	v_add_nc_u32_e32 v8, 0x3c000000, v8
	s_delay_alu instid0(VALU_DEP_1) | instskip(NEXT) | instid1(VALU_DEP_1)
	v_and_or_b32 v8, 0x7f800000, v13, v8
	v_cndmask_b32_e32 v6, 0, v8, vcc_lo
	s_delay_alu instid0(VALU_DEP_1) | instskip(NEXT) | instid1(VALU_DEP_1)
	v_and_or_b32 v5, 0x80000000, v5, v6
	v_cvt_f64_f32_e32 v[5:6], v5
.LBB23_334:
	s_mov_b32 s2, 0
.LBB23_335:
	s_delay_alu instid0(SALU_CYCLE_1)
	s_and_not1_b32 vcc_lo, exec_lo, s2
	s_cbranch_vccnz .LBB23_337
; %bb.336:
	global_load_u8 v5, v[0:1], off
	s_waitcnt vmcnt(0)
	v_lshlrev_b32_e32 v6, 25, v5
	v_lshlrev_b16 v5, 8, v5
	s_delay_alu instid0(VALU_DEP_2) | instskip(NEXT) | instid1(VALU_DEP_2)
	v_lshrrev_b32_e32 v8, 4, v6
	v_and_or_b32 v13, 0x7f00, v5, 0.5
	v_cmp_gt_u32_e32 vcc_lo, 0x8000000, v6
	v_bfe_i32 v5, v5, 0, 16
	s_delay_alu instid0(VALU_DEP_4) | instskip(NEXT) | instid1(VALU_DEP_1)
	v_or_b32_e32 v8, 0x70000000, v8
	v_dual_add_f32 v13, -0.5, v13 :: v_dual_mul_f32 v8, 0x7800000, v8
	s_delay_alu instid0(VALU_DEP_1) | instskip(NEXT) | instid1(VALU_DEP_1)
	v_cndmask_b32_e32 v6, v8, v13, vcc_lo
	v_and_or_b32 v5, 0x80000000, v5, v6
	s_delay_alu instid0(VALU_DEP_1)
	v_cvt_f64_f32_e32 v[5:6], v5
.LBB23_337:
	s_mov_b32 s3, 0
	s_mov_b32 s2, -1
.LBB23_338:
	s_and_not1_b32 vcc_lo, exec_lo, s3
	s_cbranch_vccnz .LBB23_349
; %bb.339:
	v_cmp_lt_i16_e32 vcc_lo, 14, v7
	s_cbranch_vccz .LBB23_342
; %bb.340:
	v_cmp_eq_u16_e32 vcc_lo, 15, v7
	s_cbranch_vccz .LBB23_343
; %bb.341:
	global_load_u16 v5, v[0:1], off
	s_mov_b32 s2, -1
	s_mov_b32 s35, 0
	s_waitcnt vmcnt(0)
	v_lshlrev_b32_e32 v5, 16, v5
	s_delay_alu instid0(VALU_DEP_1)
	v_cvt_f64_f32_e32 v[5:6], v5
	s_branch .LBB23_344
.LBB23_342:
	s_mov_b32 s3, -1
                                        ; implicit-def: $vgpr5_vgpr6
	s_branch .LBB23_345
.LBB23_343:
	s_mov_b32 s35, -1
                                        ; implicit-def: $vgpr5_vgpr6
.LBB23_344:
	s_mov_b32 s3, 0
.LBB23_345:
	s_delay_alu instid0(SALU_CYCLE_1)
	s_and_b32 vcc_lo, exec_lo, s3
	s_cbranch_vccz .LBB23_349
; %bb.346:
	v_cmp_eq_u16_e32 vcc_lo, 11, v7
	s_cbranch_vccz .LBB23_348
; %bb.347:
	global_load_u8 v5, v[0:1], off
	s_mov_b32 s35, 0
	s_mov_b32 s2, -1
	s_waitcnt vmcnt(0)
	v_cmp_ne_u16_e32 vcc_lo, 0, v5
	v_mov_b32_e32 v5, 0
	v_cndmask_b32_e64 v6, 0, 0x3ff00000, vcc_lo
	s_branch .LBB23_349
.LBB23_348:
	s_mov_b32 s35, -1
                                        ; implicit-def: $vgpr5_vgpr6
.LBB23_349:
	s_branch .LBB23_30
.LBB23_350:
	v_cmp_gt_i16_e32 vcc_lo, 5, v7
	s_cbranch_vccnz .LBB23_355
; %bb.351:
	v_cmp_gt_i16_e32 vcc_lo, 8, v7
	s_cbranch_vccnz .LBB23_356
; %bb.352:
	;; [unrolled: 3-line block ×3, first 2 shown]
	v_cmp_lt_i16_e32 vcc_lo, 9, v7
	s_cbranch_vccz .LBB23_358
; %bb.354:
	global_load_b64 v[5:6], v[0:1], off
	s_mov_b32 s2, 0
	s_branch .LBB23_359
.LBB23_355:
	s_mov_b32 s2, -1
                                        ; implicit-def: $vgpr5_vgpr6
	s_branch .LBB23_377
.LBB23_356:
	s_mov_b32 s2, -1
                                        ; implicit-def: $vgpr5_vgpr6
	s_branch .LBB23_365
.LBB23_357:
	s_mov_b32 s2, -1
                                        ; implicit-def: $vgpr5_vgpr6
	s_branch .LBB23_362
.LBB23_358:
	s_mov_b32 s2, -1
                                        ; implicit-def: $vgpr5_vgpr6
.LBB23_359:
	s_delay_alu instid0(SALU_CYCLE_1)
	s_and_not1_b32 vcc_lo, exec_lo, s2
	s_cbranch_vccnz .LBB23_361
; %bb.360:
	global_load_b32 v5, v[0:1], off
	s_waitcnt vmcnt(0)
	v_cvt_f64_f32_e32 v[5:6], v5
.LBB23_361:
	s_mov_b32 s2, 0
.LBB23_362:
	s_delay_alu instid0(SALU_CYCLE_1)
	s_and_not1_b32 vcc_lo, exec_lo, s2
	s_cbranch_vccnz .LBB23_364
; %bb.363:
	global_load_b32 v5, v[0:1], off
	s_waitcnt vmcnt(0)
	v_cvt_f32_f16_e32 v5, v5
	s_delay_alu instid0(VALU_DEP_1)
	v_cvt_f64_f32_e32 v[5:6], v5
.LBB23_364:
	s_mov_b32 s2, 0
.LBB23_365:
	s_delay_alu instid0(SALU_CYCLE_1)
	s_and_not1_b32 vcc_lo, exec_lo, s2
	s_cbranch_vccnz .LBB23_376
; %bb.366:
	v_cmp_gt_i16_e32 vcc_lo, 6, v7
	s_cbranch_vccnz .LBB23_369
; %bb.367:
	v_cmp_lt_i16_e32 vcc_lo, 6, v7
	s_cbranch_vccz .LBB23_370
; %bb.368:
	global_load_b64 v[5:6], v[0:1], off
	s_mov_b32 s2, 0
	s_branch .LBB23_371
.LBB23_369:
	s_mov_b32 s2, -1
                                        ; implicit-def: $vgpr5_vgpr6
	s_branch .LBB23_374
.LBB23_370:
	s_mov_b32 s2, -1
                                        ; implicit-def: $vgpr5_vgpr6
.LBB23_371:
	s_delay_alu instid0(SALU_CYCLE_1)
	s_and_not1_b32 vcc_lo, exec_lo, s2
	s_cbranch_vccnz .LBB23_373
; %bb.372:
	global_load_b32 v5, v[0:1], off
	s_waitcnt vmcnt(0)
	v_cvt_f64_f32_e32 v[5:6], v5
.LBB23_373:
	s_mov_b32 s2, 0
.LBB23_374:
	s_delay_alu instid0(SALU_CYCLE_1)
	s_and_not1_b32 vcc_lo, exec_lo, s2
	s_cbranch_vccnz .LBB23_376
; %bb.375:
	global_load_u16 v5, v[0:1], off
	s_waitcnt vmcnt(0)
	v_cvt_f32_f16_e32 v5, v5
	s_delay_alu instid0(VALU_DEP_1)
	v_cvt_f64_f32_e32 v[5:6], v5
.LBB23_376:
	s_mov_b32 s2, 0
.LBB23_377:
	s_delay_alu instid0(SALU_CYCLE_1)
	s_and_not1_b32 vcc_lo, exec_lo, s2
	s_cbranch_vccnz .LBB23_397
; %bb.378:
	v_cmp_gt_i16_e32 vcc_lo, 2, v7
	s_cbranch_vccnz .LBB23_382
; %bb.379:
	v_cmp_gt_i16_e32 vcc_lo, 3, v7
	s_cbranch_vccnz .LBB23_383
; %bb.380:
	v_cmp_lt_i16_e32 vcc_lo, 3, v7
	s_cbranch_vccz .LBB23_384
; %bb.381:
	global_load_b64 v[5:6], v[0:1], off
	s_mov_b32 s2, 0
	s_waitcnt vmcnt(0)
	v_cvt_f64_i32_e32 v[13:14], v6
	v_cvt_f64_u32_e32 v[5:6], v5
	s_delay_alu instid0(VALU_DEP_2) | instskip(NEXT) | instid1(VALU_DEP_1)
	v_ldexp_f64 v[13:14], v[13:14], 32
	v_add_f64 v[5:6], v[13:14], v[5:6]
	s_branch .LBB23_385
.LBB23_382:
	s_mov_b32 s2, -1
                                        ; implicit-def: $vgpr5_vgpr6
	s_branch .LBB23_391
.LBB23_383:
	s_mov_b32 s2, -1
                                        ; implicit-def: $vgpr5_vgpr6
	s_branch .LBB23_388
.LBB23_384:
	s_mov_b32 s2, -1
                                        ; implicit-def: $vgpr5_vgpr6
.LBB23_385:
	s_delay_alu instid0(SALU_CYCLE_1)
	s_and_not1_b32 vcc_lo, exec_lo, s2
	s_cbranch_vccnz .LBB23_387
; %bb.386:
	global_load_b32 v5, v[0:1], off
	s_waitcnt vmcnt(0)
	v_cvt_f64_i32_e32 v[5:6], v5
.LBB23_387:
	s_mov_b32 s2, 0
.LBB23_388:
	s_delay_alu instid0(SALU_CYCLE_1)
	s_and_not1_b32 vcc_lo, exec_lo, s2
	s_cbranch_vccnz .LBB23_390
; %bb.389:
	global_load_i16 v5, v[0:1], off
	s_waitcnt vmcnt(0)
	v_cvt_f64_i32_e32 v[5:6], v5
.LBB23_390:
	s_mov_b32 s2, 0
.LBB23_391:
	s_delay_alu instid0(SALU_CYCLE_1)
	s_and_not1_b32 vcc_lo, exec_lo, s2
	s_cbranch_vccnz .LBB23_397
; %bb.392:
	v_cmp_lt_i16_e32 vcc_lo, 0, v7
	s_mov_b32 s2, 0
	s_cbranch_vccz .LBB23_394
; %bb.393:
	global_load_i8 v5, v[0:1], off
	s_waitcnt vmcnt(0)
	v_cvt_f64_i32_e32 v[5:6], v5
	s_branch .LBB23_395
.LBB23_394:
	s_mov_b32 s2, -1
                                        ; implicit-def: $vgpr5_vgpr6
.LBB23_395:
	s_delay_alu instid0(SALU_CYCLE_1)
	s_and_not1_b32 vcc_lo, exec_lo, s2
	s_cbranch_vccnz .LBB23_397
; %bb.396:
	global_load_u8 v0, v[0:1], off
	s_waitcnt vmcnt(0)
	v_cvt_f64_u32_e32 v[5:6], v0
.LBB23_397:
	s_branch .LBB23_31
.LBB23_398:
	s_mov_b32 s2, 0
.LBB23_399:
	s_mov_b32 s3, 0
                                        ; implicit-def: $vgpr11
.LBB23_400:
	s_and_b32 s34, s2, exec_lo
	s_and_b32 s35, s35, exec_lo
	;; [unrolled: 1-line block ×3, first 2 shown]
	s_or_not1_b32 s3, s3, exec_lo
.LBB23_401:
	s_or_b32 exec_lo, exec_lo, s37
	s_mov_b32 s39, 0
	s_mov_b32 s2, 0
                                        ; implicit-def: $vgpr7
                                        ; implicit-def: $vgpr5_vgpr6
                                        ; implicit-def: $vgpr2
                                        ; implicit-def: $vgpr0
                                        ; implicit-def: $vgpr3_vgpr4
	s_and_saveexec_b32 s37, s3
	s_cbranch_execz .LBB23_1317
; %bb.402:
	s_mov_b32 s43, -1
	s_mov_b32 s38, s36
	s_mov_b32 s40, s35
	;; [unrolled: 1-line block ×3, first 2 shown]
	s_mov_b32 s41, exec_lo
	v_cmpx_gt_i32_e64 s31, v11
	s_cbranch_execz .LBB23_735
; %bb.403:
	s_and_not1_b32 vcc_lo, exec_lo, s27
	s_cbranch_vccnz .LBB23_409
; %bb.404:
	v_dual_mov_b32 v2, 0 :: v_dual_mov_b32 v1, 0
	v_mov_b32_e32 v0, 0
	s_and_not1_b32 vcc_lo, exec_lo, s33
	s_mov_b32 s38, 0
	s_cbranch_vccnz .LBB23_410
; %bb.405:
	s_add_i32 s2, s30, 1
	v_dual_mov_b32 v0, 0 :: v_dual_mov_b32 v1, 0
	s_waitcnt vmcnt(0)
	v_dual_mov_b32 v2, 0 :: v_dual_mov_b32 v3, v11
	s_and_b32 s39, s2, 30
	s_add_u32 s2, s16, 0xffffffec
	s_addc_u32 s3, s17, -1
	s_set_inst_prefetch_distance 0x1
	.p2align	6
.LBB23_406:                             ; =>This Inner Loop Header: Depth=1
	s_clause 0x2
	s_load_b128 s[44:47], s[2:3], 0x18
	s_load_b64 s[42:43], s[2:3], 0x28
	s_load_b128 s[48:51], s[2:3], 0xd8
	s_waitcnt lgkmcnt(0)
	v_mul_hi_u32 v4, s45, v3
	s_delay_alu instid0(VALU_DEP_1) | instskip(NEXT) | instid1(VALU_DEP_1)
	v_add_nc_u32_e32 v4, v3, v4
	v_lshrrev_b32_e32 v4, s46, v4
	s_delay_alu instid0(VALU_DEP_1)
	v_mul_hi_u32 v5, s42, v4
	v_mul_lo_u32 v6, v4, s44
	s_load_b64 s[44:45], s[2:3], 0xe8
	s_add_u32 s2, s2, 24
	s_addc_u32 s3, s3, 0
	s_add_i32 s39, s39, -2
	s_delay_alu instid0(SALU_CYCLE_1) | instskip(NEXT) | instid1(VALU_DEP_2)
	s_cmp_eq_u32 s39, 0
	v_add_nc_u32_e32 v5, v4, v5
	s_delay_alu instid0(VALU_DEP_2) | instskip(NEXT) | instid1(VALU_DEP_2)
	v_sub_nc_u32_e32 v6, v3, v6
	v_lshrrev_b32_e32 v3, s43, v5
	s_delay_alu instid0(VALU_DEP_2) | instskip(NEXT) | instid1(VALU_DEP_2)
	v_mul_lo_u32 v7, v6, s48
	v_mul_lo_u32 v5, v3, s47
	s_delay_alu instid0(VALU_DEP_1) | instskip(SKIP_2) | instid1(VALU_DEP_3)
	v_sub_nc_u32_e32 v4, v4, v5
	v_mul_lo_u32 v5, v6, s49
	v_mul_lo_u32 v6, v6, s50
	;; [unrolled: 1-line block ×3, first 2 shown]
	s_waitcnt lgkmcnt(0)
	v_mul_lo_u32 v13, v4, s44
	v_mul_lo_u32 v4, v4, s45
	s_delay_alu instid0(VALU_DEP_3) | instskip(NEXT) | instid1(VALU_DEP_3)
	v_add3_u32 v2, v7, v2, v8
	v_add3_u32 v1, v5, v1, v13
	s_delay_alu instid0(VALU_DEP_3)
	v_add3_u32 v0, v6, v0, v4
	s_cbranch_scc0 .LBB23_406
; %bb.407:
	s_set_inst_prefetch_distance 0x2
	s_bitcmp1_b32 s30, 0
	s_cselect_b32 s39, -1, 0
	s_delay_alu instid0(SALU_CYCLE_1)
	s_and_b32 vcc_lo, exec_lo, s39
	s_cbranch_vccnz .LBB23_410
; %bb.408:
	s_clause 0x3
	s_load_b64 s[42:43], s[2:3], 0x18
	s_load_b32 s39, s[2:3], 0x20
	s_load_b64 s[44:45], s[2:3], 0xd8
	s_load_b32 s2, s[2:3], 0xe0
	s_waitcnt lgkmcnt(0)
	v_mul_hi_u32 v4, s43, v3
	s_delay_alu instid0(VALU_DEP_1) | instskip(NEXT) | instid1(VALU_DEP_1)
	v_add_nc_u32_e32 v4, v3, v4
	v_lshrrev_b32_e32 v4, s39, v4
	s_delay_alu instid0(VALU_DEP_1) | instskip(NEXT) | instid1(VALU_DEP_1)
	v_mul_lo_u32 v4, v4, s42
	v_sub_nc_u32_e32 v7, v3, v4
	s_delay_alu instid0(VALU_DEP_1) | instskip(SKIP_2) | instid1(VALU_DEP_2)
	v_mad_u64_u32 v[3:4], null, v7, s44, v[2:3]
	v_mad_u64_u32 v[4:5], null, v7, s45, v[1:2]
	;; [unrolled: 1-line block ×3, first 2 shown]
	v_dual_mov_b32 v2, v3 :: v_dual_mov_b32 v1, v4
	s_delay_alu instid0(VALU_DEP_2)
	v_mov_b32_e32 v0, v5
	s_branch .LBB23_410
.LBB23_409:
	s_mov_b32 s38, -1
                                        ; implicit-def: $vgpr2
                                        ; implicit-def: $vgpr1
                                        ; implicit-def: $vgpr0
.LBB23_410:
	s_delay_alu instid0(SALU_CYCLE_1)
	s_and_not1_b32 vcc_lo, exec_lo, s38
	s_cbranch_vccnz .LBB23_413
; %bb.411:
	s_waitcnt lgkmcnt(0)
	v_mul_hi_u32 v0, s13, v11
	s_and_not1_b32 vcc_lo, exec_lo, s29
	s_delay_alu instid0(VALU_DEP_1) | instskip(SKIP_1) | instid1(VALU_DEP_1)
	v_add_nc_u32_e32 v0, v11, v0
	s_waitcnt vmcnt(0)
	v_lshrrev_b32_e32 v3, s14, v0
	s_delay_alu instid0(VALU_DEP_1) | instskip(NEXT) | instid1(VALU_DEP_1)
	v_mul_lo_u32 v0, v3, s12
	v_sub_nc_u32_e32 v0, v11, v0
	s_delay_alu instid0(VALU_DEP_1)
	v_mul_lo_u32 v2, v0, s8
	v_mul_lo_u32 v1, v0, s9
	v_mul_lo_u32 v0, v0, s10
	s_cbranch_vccnz .LBB23_413
; %bb.412:
	v_mul_hi_u32 v4, s22, v3
	s_delay_alu instid0(VALU_DEP_1) | instskip(NEXT) | instid1(VALU_DEP_1)
	v_add_nc_u32_e32 v4, v3, v4
	v_lshrrev_b32_e32 v4, s23, v4
	s_delay_alu instid0(VALU_DEP_1) | instskip(NEXT) | instid1(VALU_DEP_1)
	v_mul_lo_u32 v4, v4, s15
	v_sub_nc_u32_e32 v7, v3, v4
	s_delay_alu instid0(VALU_DEP_1) | instskip(SKIP_2) | instid1(VALU_DEP_2)
	v_mad_u64_u32 v[3:4], null, v7, s11, v[2:3]
	v_mad_u64_u32 v[4:5], null, v7, s20, v[1:2]
	;; [unrolled: 1-line block ×3, first 2 shown]
	v_dual_mov_b32 v2, v3 :: v_dual_mov_b32 v1, v4
	s_delay_alu instid0(VALU_DEP_2)
	v_mov_b32_e32 v0, v5
.LBB23_413:
	v_and_b32_e32 v7, 0xff, v12
	s_waitcnt vmcnt(0) lgkmcnt(0)
	s_delay_alu instid0(VALU_DEP_3) | instskip(NEXT) | instid1(VALU_DEP_1)
	v_add_co_u32 v5, s2, s6, v1
	v_add_co_ci_u32_e64 v6, null, s7, 0, s2
	s_delay_alu instid0(VALU_DEP_3)
	v_cmp_gt_i16_e32 vcc_lo, 11, v7
	s_mov_b32 s2, 0
	s_cbranch_vccnz .LBB23_420
; %bb.414:
	v_cmp_lt_i16_e32 vcc_lo, 25, v7
	s_cbranch_vccz .LBB23_429
; %bb.415:
	v_cmp_lt_i16_e32 vcc_lo, 28, v7
	s_cbranch_vccz .LBB23_431
	;; [unrolled: 3-line block ×4, first 2 shown]
; %bb.418:
	v_cmp_eq_u16_e32 vcc_lo, 46, v7
	s_mov_b32 s3, 0
	s_cbranch_vccz .LBB23_437
; %bb.419:
	global_load_b32 v1, v[5:6], off
	s_mov_b32 s2, -1
	s_mov_b32 s38, 0
	s_waitcnt vmcnt(0)
	v_lshlrev_b32_e32 v1, 16, v1
	s_delay_alu instid0(VALU_DEP_1)
	v_cvt_f64_f32_e32 v[3:4], v1
	s_branch .LBB23_439
.LBB23_420:
	s_mov_b32 s38, s36
                                        ; implicit-def: $vgpr3_vgpr4
	s_cbranch_execnz .LBB23_505
.LBB23_421:
	s_and_not1_b32 vcc_lo, exec_lo, s2
	s_cbranch_vccnz .LBB23_553
.LBB23_422:
	v_and_b32_e32 v7, 0xff, v10
	v_add_co_u32 v0, s2, s18, v0
	s_delay_alu instid0(VALU_DEP_1) | instskip(NEXT) | instid1(VALU_DEP_3)
	v_add_co_ci_u32_e64 v1, null, s19, 0, s2
	v_cmp_gt_i16_e32 vcc_lo, 11, v7
	s_mov_b32 s2, 0
	s_cbranch_vccnz .LBB23_430
; %bb.423:
	v_cmp_lt_i16_e32 vcc_lo, 25, v7
	s_cbranch_vccz .LBB23_432
; %bb.424:
	v_cmp_lt_i16_e32 vcc_lo, 28, v7
	s_cbranch_vccz .LBB23_434
; %bb.425:
	v_cmp_lt_i16_e32 vcc_lo, 43, v7
	s_cbranch_vccz .LBB23_436
; %bb.426:
	v_cmp_lt_i16_e32 vcc_lo, 45, v7
	s_cbranch_vccz .LBB23_442
; %bb.427:
	v_cmp_eq_u16_e32 vcc_lo, 46, v7
	s_mov_b32 s3, 0
	s_cbranch_vccz .LBB23_556
; %bb.428:
	global_load_b32 v5, v[0:1], off
	s_mov_b32 s2, -1
	s_mov_b32 s40, 0
	s_waitcnt vmcnt(0)
	v_lshlrev_b32_e32 v5, 16, v5
	s_delay_alu instid0(VALU_DEP_1)
	v_cvt_f64_f32_e32 v[5:6], v5
	s_branch .LBB23_558
.LBB23_429:
	s_mov_b32 s3, -1
	s_mov_b32 s38, s36
                                        ; implicit-def: $vgpr3_vgpr4
	s_branch .LBB23_471
.LBB23_430:
	s_mov_b32 s3, -1
	s_mov_b32 s40, s35
                                        ; implicit-def: $vgpr5_vgpr6
	s_branch .LBB23_623
.LBB23_431:
	s_mov_b32 s3, -1
	s_mov_b32 s38, s36
                                        ; implicit-def: $vgpr3_vgpr4
	s_branch .LBB23_450
.LBB23_432:
	s_mov_b32 s3, -1
	s_mov_b32 s40, s35
                                        ; implicit-def: $vgpr5_vgpr6
	s_branch .LBB23_589
.LBB23_433:
	s_mov_b32 s3, -1
	s_mov_b32 s38, s36
                                        ; implicit-def: $vgpr3_vgpr4
	s_branch .LBB23_445
.LBB23_434:
	s_mov_b32 s3, -1
	s_mov_b32 s40, s35
                                        ; implicit-def: $vgpr5_vgpr6
	s_branch .LBB23_568
.LBB23_435:
	s_mov_b32 s3, -1
	s_mov_b32 s38, s36
	s_branch .LBB23_438
.LBB23_436:
	s_mov_b32 s3, -1
	s_mov_b32 s40, s35
                                        ; implicit-def: $vgpr5_vgpr6
	s_branch .LBB23_563
.LBB23_437:
	s_mov_b32 s38, -1
.LBB23_438:
                                        ; implicit-def: $vgpr3_vgpr4
.LBB23_439:
	s_and_b32 vcc_lo, exec_lo, s3
	s_cbranch_vccz .LBB23_444
; %bb.440:
	v_cmp_eq_u16_e32 vcc_lo, 44, v7
	s_cbranch_vccz .LBB23_443
; %bb.441:
	global_load_u8 v1, v[5:6], off
	s_mov_b32 s38, 0
	s_mov_b32 s2, -1
	s_waitcnt vmcnt(0)
	v_cmp_ne_u32_e32 vcc_lo, 0xff, v1
	v_lshlrev_b32_e32 v3, 23, v1
	s_delay_alu instid0(VALU_DEP_1) | instskip(NEXT) | instid1(VALU_DEP_1)
	v_cvt_f64_f32_e32 v[3:4], v3
	v_cndmask_b32_e32 v4, 0x7ff80000, v4, vcc_lo
	s_delay_alu instid0(VALU_DEP_2) | instskip(SKIP_1) | instid1(VALU_DEP_3)
	v_cndmask_b32_e32 v3, 0x20000000, v3, vcc_lo
	v_cmp_ne_u32_e32 vcc_lo, 0, v1
	v_cndmask_b32_e32 v4, 0x38000000, v4, vcc_lo
	s_delay_alu instid0(VALU_DEP_3)
	v_cndmask_b32_e32 v3, 0, v3, vcc_lo
	s_branch .LBB23_444
.LBB23_442:
	s_mov_b32 s3, -1
	s_mov_b32 s40, s35
	s_branch .LBB23_557
.LBB23_443:
	s_mov_b32 s38, -1
                                        ; implicit-def: $vgpr3_vgpr4
.LBB23_444:
	s_mov_b32 s3, 0
.LBB23_445:
	s_delay_alu instid0(SALU_CYCLE_1)
	s_and_b32 vcc_lo, exec_lo, s3
	s_cbranch_vccz .LBB23_449
; %bb.446:
	v_cmp_eq_u16_e32 vcc_lo, 29, v7
	s_cbranch_vccz .LBB23_448
; %bb.447:
	global_load_b64 v[3:4], v[5:6], off
	s_mov_b32 s2, -1
	s_mov_b32 s38, 0
	s_mov_b32 s3, 0
	s_waitcnt vmcnt(0)
	v_cvt_f64_u32_e32 v[13:14], v4
	v_cvt_f64_u32_e32 v[3:4], v3
	s_delay_alu instid0(VALU_DEP_2) | instskip(NEXT) | instid1(VALU_DEP_1)
	v_ldexp_f64 v[13:14], v[13:14], 32
	v_add_f64 v[3:4], v[13:14], v[3:4]
	s_branch .LBB23_450
.LBB23_448:
	s_mov_b32 s38, -1
                                        ; implicit-def: $vgpr3_vgpr4
.LBB23_449:
	s_mov_b32 s3, 0
.LBB23_450:
	s_delay_alu instid0(SALU_CYCLE_1)
	s_and_b32 vcc_lo, exec_lo, s3
	s_cbranch_vccz .LBB23_470
; %bb.451:
	v_cmp_gt_i16_e32 vcc_lo, 27, v7
	s_cbranch_vccnz .LBB23_454
; %bb.452:
	v_cmp_lt_i16_e32 vcc_lo, 27, v7
	s_cbranch_vccz .LBB23_455
; %bb.453:
	global_load_b32 v1, v[5:6], off
	s_mov_b32 s2, 0
	s_waitcnt vmcnt(0)
	v_cvt_f64_u32_e32 v[3:4], v1
	s_branch .LBB23_456
.LBB23_454:
	s_mov_b32 s2, -1
                                        ; implicit-def: $vgpr3_vgpr4
	s_branch .LBB23_459
.LBB23_455:
	s_mov_b32 s2, -1
                                        ; implicit-def: $vgpr3_vgpr4
.LBB23_456:
	s_delay_alu instid0(SALU_CYCLE_1)
	s_and_not1_b32 vcc_lo, exec_lo, s2
	s_cbranch_vccnz .LBB23_458
; %bb.457:
	global_load_u16 v1, v[5:6], off
	s_waitcnt vmcnt(0)
	v_cvt_f64_u32_e32 v[3:4], v1
.LBB23_458:
	s_mov_b32 s2, 0
.LBB23_459:
	s_delay_alu instid0(SALU_CYCLE_1)
	s_and_not1_b32 vcc_lo, exec_lo, s2
	s_cbranch_vccnz .LBB23_469
; %bb.460:
	global_load_u8 v1, v[5:6], off
	s_mov_b32 s39, 0
	s_mov_b32 s40, exec_lo
                                        ; implicit-def: $sgpr2_sgpr3
	s_waitcnt vmcnt(0)
	v_cmpx_lt_i16_e32 0x7f, v1
	s_xor_b32 s40, exec_lo, s40
	s_cbranch_execz .LBB23_464
; %bb.461:
	s_mov_b32 s42, -1
	s_mov_b32 s39, exec_lo
                                        ; implicit-def: $sgpr2_sgpr3
	v_cmpx_eq_u16_e32 0x80, v1
; %bb.462:
	s_mov_b32 s3, 0x7ff80000
	s_brev_b32 s2, 4
	s_xor_b32 s42, exec_lo, -1
; %bb.463:
	s_or_b32 exec_lo, exec_lo, s39
	s_delay_alu instid0(SALU_CYCLE_1)
	s_and_b32 s39, s42, exec_lo
.LBB23_464:
	s_or_saveexec_b32 s40, s40
	v_dual_mov_b32 v4, s3 :: v_dual_mov_b32 v3, s2
	s_xor_b32 exec_lo, exec_lo, s40
; %bb.465:
	v_cmp_ne_u16_e32 vcc_lo, 0, v1
	v_mov_b32_e32 v3, 0
	v_mov_b32_e32 v4, 0
	s_and_not1_b32 s2, s39, exec_lo
	s_and_b32 s3, vcc_lo, exec_lo
	s_delay_alu instid0(SALU_CYCLE_1)
	s_or_b32 s39, s2, s3
; %bb.466:
	s_or_b32 exec_lo, exec_lo, s40
	s_and_saveexec_b32 s2, s39
	s_cbranch_execz .LBB23_468
; %bb.467:
	v_and_b32_e32 v3, 0xffff, v1
	v_lshlrev_b32_e32 v1, 24, v1
	s_delay_alu instid0(VALU_DEP_2) | instskip(NEXT) | instid1(VALU_DEP_2)
	v_and_b32_e32 v4, 7, v3
	v_and_b32_e32 v1, 0x80000000, v1
	s_delay_alu instid0(VALU_DEP_2) | instskip(NEXT) | instid1(VALU_DEP_1)
	v_clz_i32_u32_e32 v8, v4
	v_min_u32_e32 v8, 32, v8
	s_delay_alu instid0(VALU_DEP_1) | instskip(SKIP_1) | instid1(VALU_DEP_2)
	v_subrev_nc_u32_e32 v13, 28, v8
	v_sub_nc_u32_e32 v8, 29, v8
	v_lshlrev_b32_e32 v13, v13, v3
	v_bfe_u32 v3, v3, 3, 4
	s_delay_alu instid0(VALU_DEP_2) | instskip(NEXT) | instid1(VALU_DEP_2)
	v_and_b32_e32 v13, 7, v13
	v_cmp_eq_u32_e32 vcc_lo, 0, v3
	s_delay_alu instid0(VALU_DEP_2) | instskip(NEXT) | instid1(VALU_DEP_1)
	v_dual_cndmask_b32 v3, v3, v8 :: v_dual_cndmask_b32 v4, v4, v13
	v_lshl_add_u32 v3, v3, 23, 0x3b800000
	s_delay_alu instid0(VALU_DEP_2) | instskip(NEXT) | instid1(VALU_DEP_1)
	v_lshlrev_b32_e32 v4, 20, v4
	v_or3_b32 v1, v1, v3, v4
	s_delay_alu instid0(VALU_DEP_1)
	v_cvt_f64_f32_e32 v[3:4], v1
.LBB23_468:
	s_or_b32 exec_lo, exec_lo, s2
.LBB23_469:
	s_mov_b32 s2, -1
.LBB23_470:
	s_mov_b32 s3, 0
.LBB23_471:
	s_delay_alu instid0(SALU_CYCLE_1)
	s_and_b32 vcc_lo, exec_lo, s3
	s_cbranch_vccz .LBB23_504
; %bb.472:
	v_cmp_lt_i16_e32 vcc_lo, 22, v7
	s_cbranch_vccz .LBB23_484
; %bb.473:
	v_cmp_gt_i16_e32 vcc_lo, 24, v7
	s_cbranch_vccnz .LBB23_485
; %bb.474:
	v_cmp_lt_i16_e32 vcc_lo, 24, v7
	s_cbranch_vccz .LBB23_486
; %bb.475:
	global_load_u8 v1, v[5:6], off
	s_mov_b32 s39, 0
	s_mov_b32 s40, exec_lo
                                        ; implicit-def: $sgpr2_sgpr3
	s_waitcnt vmcnt(0)
	v_cmpx_lt_i16_e32 0x7f, v1
	s_xor_b32 s40, exec_lo, s40
	s_cbranch_execz .LBB23_479
; %bb.476:
	s_mov_b32 s42, -1
	s_mov_b32 s39, exec_lo
                                        ; implicit-def: $sgpr2_sgpr3
	v_cmpx_eq_u16_e32 0x80, v1
; %bb.477:
	s_mov_b32 s3, 0x7ff80000
	s_brev_b32 s2, 4
	s_xor_b32 s42, exec_lo, -1
; %bb.478:
	s_or_b32 exec_lo, exec_lo, s39
	s_delay_alu instid0(SALU_CYCLE_1)
	s_and_b32 s39, s42, exec_lo
.LBB23_479:
	s_or_saveexec_b32 s40, s40
	v_dual_mov_b32 v4, s3 :: v_dual_mov_b32 v3, s2
	s_xor_b32 exec_lo, exec_lo, s40
; %bb.480:
	v_cmp_ne_u16_e32 vcc_lo, 0, v1
	v_mov_b32_e32 v3, 0
	v_mov_b32_e32 v4, 0
	s_and_not1_b32 s2, s39, exec_lo
	s_and_b32 s3, vcc_lo, exec_lo
	s_delay_alu instid0(SALU_CYCLE_1)
	s_or_b32 s39, s2, s3
; %bb.481:
	s_or_b32 exec_lo, exec_lo, s40
	s_and_saveexec_b32 s2, s39
	s_cbranch_execz .LBB23_483
; %bb.482:
	v_and_b32_e32 v3, 0xffff, v1
	v_lshlrev_b32_e32 v1, 24, v1
	s_delay_alu instid0(VALU_DEP_2) | instskip(NEXT) | instid1(VALU_DEP_2)
	v_and_b32_e32 v4, 3, v3
	v_and_b32_e32 v1, 0x80000000, v1
	s_delay_alu instid0(VALU_DEP_2) | instskip(NEXT) | instid1(VALU_DEP_1)
	v_clz_i32_u32_e32 v8, v4
	v_min_u32_e32 v8, 32, v8
	s_delay_alu instid0(VALU_DEP_1) | instskip(SKIP_1) | instid1(VALU_DEP_2)
	v_subrev_nc_u32_e32 v13, 29, v8
	v_sub_nc_u32_e32 v8, 30, v8
	v_lshlrev_b32_e32 v13, v13, v3
	v_bfe_u32 v3, v3, 2, 5
	s_delay_alu instid0(VALU_DEP_2) | instskip(NEXT) | instid1(VALU_DEP_2)
	v_and_b32_e32 v13, 3, v13
	v_cmp_eq_u32_e32 vcc_lo, 0, v3
	s_delay_alu instid0(VALU_DEP_2) | instskip(NEXT) | instid1(VALU_DEP_1)
	v_dual_cndmask_b32 v3, v3, v8 :: v_dual_cndmask_b32 v4, v4, v13
	v_lshl_add_u32 v3, v3, 23, 0x37800000
	s_delay_alu instid0(VALU_DEP_2) | instskip(NEXT) | instid1(VALU_DEP_1)
	v_lshlrev_b32_e32 v4, 21, v4
	v_or3_b32 v1, v1, v3, v4
	s_delay_alu instid0(VALU_DEP_1)
	v_cvt_f64_f32_e32 v[3:4], v1
.LBB23_483:
	s_or_b32 exec_lo, exec_lo, s2
	s_mov_b32 s2, 0
	s_branch .LBB23_487
.LBB23_484:
	s_mov_b32 s3, -1
                                        ; implicit-def: $vgpr3_vgpr4
	s_branch .LBB23_493
.LBB23_485:
	s_mov_b32 s2, -1
                                        ; implicit-def: $vgpr3_vgpr4
	s_branch .LBB23_490
.LBB23_486:
	s_mov_b32 s2, -1
                                        ; implicit-def: $vgpr3_vgpr4
.LBB23_487:
	s_delay_alu instid0(SALU_CYCLE_1)
	s_and_b32 vcc_lo, exec_lo, s2
	s_cbranch_vccz .LBB23_489
; %bb.488:
	global_load_u8 v1, v[5:6], off
	s_waitcnt vmcnt(0)
	v_lshlrev_b32_e32 v1, 24, v1
	s_delay_alu instid0(VALU_DEP_1) | instskip(NEXT) | instid1(VALU_DEP_1)
	v_and_b32_e32 v3, 0x7f000000, v1
	v_clz_i32_u32_e32 v4, v3
	v_cmp_ne_u32_e32 vcc_lo, 0, v3
	v_add_nc_u32_e32 v13, 0x1000000, v3
	s_delay_alu instid0(VALU_DEP_3) | instskip(NEXT) | instid1(VALU_DEP_1)
	v_min_u32_e32 v4, 32, v4
	v_sub_nc_u32_e64 v4, v4, 4 clamp
	s_delay_alu instid0(VALU_DEP_1) | instskip(SKIP_1) | instid1(VALU_DEP_2)
	v_lshlrev_b32_e32 v8, v4, v3
	v_lshlrev_b32_e32 v4, 23, v4
	v_lshrrev_b32_e32 v8, 4, v8
	s_delay_alu instid0(VALU_DEP_1) | instskip(SKIP_1) | instid1(VALU_DEP_2)
	v_sub_nc_u32_e32 v4, v8, v4
	v_ashrrev_i32_e32 v8, 8, v13
	v_add_nc_u32_e32 v4, 0x3c000000, v4
	s_delay_alu instid0(VALU_DEP_1) | instskip(NEXT) | instid1(VALU_DEP_1)
	v_and_or_b32 v4, 0x7f800000, v8, v4
	v_cndmask_b32_e32 v3, 0, v4, vcc_lo
	s_delay_alu instid0(VALU_DEP_1) | instskip(NEXT) | instid1(VALU_DEP_1)
	v_and_or_b32 v1, 0x80000000, v1, v3
	v_cvt_f64_f32_e32 v[3:4], v1
.LBB23_489:
	s_mov_b32 s2, 0
.LBB23_490:
	s_delay_alu instid0(SALU_CYCLE_1)
	s_and_not1_b32 vcc_lo, exec_lo, s2
	s_cbranch_vccnz .LBB23_492
; %bb.491:
	global_load_u8 v1, v[5:6], off
	s_waitcnt vmcnt(0)
	v_lshlrev_b32_e32 v3, 25, v1
	v_lshlrev_b16 v1, 8, v1
	s_delay_alu instid0(VALU_DEP_1) | instskip(SKIP_1) | instid1(VALU_DEP_2)
	v_and_or_b32 v8, 0x7f00, v1, 0.5
	v_bfe_i32 v1, v1, 0, 16
	v_add_f32_e32 v8, -0.5, v8
	v_lshrrev_b32_e32 v4, 4, v3
	v_cmp_gt_u32_e32 vcc_lo, 0x8000000, v3
	s_delay_alu instid0(VALU_DEP_2) | instskip(NEXT) | instid1(VALU_DEP_1)
	v_or_b32_e32 v4, 0x70000000, v4
	v_mul_f32_e32 v4, 0x7800000, v4
	s_delay_alu instid0(VALU_DEP_1) | instskip(NEXT) | instid1(VALU_DEP_1)
	v_cndmask_b32_e32 v3, v4, v8, vcc_lo
	v_and_or_b32 v1, 0x80000000, v1, v3
	s_delay_alu instid0(VALU_DEP_1)
	v_cvt_f64_f32_e32 v[3:4], v1
.LBB23_492:
	s_mov_b32 s3, 0
	s_mov_b32 s2, -1
.LBB23_493:
	s_and_not1_b32 vcc_lo, exec_lo, s3
	s_cbranch_vccnz .LBB23_504
; %bb.494:
	v_cmp_lt_i16_e32 vcc_lo, 14, v7
	s_cbranch_vccz .LBB23_497
; %bb.495:
	v_cmp_eq_u16_e32 vcc_lo, 15, v7
	s_cbranch_vccz .LBB23_498
; %bb.496:
	global_load_u16 v1, v[5:6], off
	s_mov_b32 s2, -1
	s_mov_b32 s38, 0
	s_waitcnt vmcnt(0)
	v_lshlrev_b32_e32 v1, 16, v1
	s_delay_alu instid0(VALU_DEP_1)
	v_cvt_f64_f32_e32 v[3:4], v1
	s_branch .LBB23_499
.LBB23_497:
	s_mov_b32 s3, -1
                                        ; implicit-def: $vgpr3_vgpr4
	s_branch .LBB23_500
.LBB23_498:
	s_mov_b32 s38, -1
                                        ; implicit-def: $vgpr3_vgpr4
.LBB23_499:
	s_mov_b32 s3, 0
.LBB23_500:
	s_delay_alu instid0(SALU_CYCLE_1)
	s_and_b32 vcc_lo, exec_lo, s3
	s_cbranch_vccz .LBB23_504
; %bb.501:
	v_cmp_eq_u16_e32 vcc_lo, 11, v7
	s_cbranch_vccz .LBB23_503
; %bb.502:
	global_load_u8 v1, v[5:6], off
	v_mov_b32_e32 v3, 0
	s_mov_b32 s38, 0
	s_mov_b32 s2, -1
	s_waitcnt vmcnt(0)
	v_cmp_ne_u16_e32 vcc_lo, 0, v1
	v_cndmask_b32_e64 v4, 0, 0x3ff00000, vcc_lo
	s_branch .LBB23_504
.LBB23_503:
	s_mov_b32 s38, -1
                                        ; implicit-def: $vgpr3_vgpr4
.LBB23_504:
	s_branch .LBB23_421
.LBB23_505:
	v_cmp_gt_i16_e32 vcc_lo, 5, v7
	s_cbranch_vccnz .LBB23_510
; %bb.506:
	v_cmp_gt_i16_e32 vcc_lo, 8, v7
	s_cbranch_vccnz .LBB23_511
; %bb.507:
	;; [unrolled: 3-line block ×3, first 2 shown]
	v_cmp_lt_i16_e32 vcc_lo, 9, v7
	s_cbranch_vccz .LBB23_513
; %bb.509:
	global_load_b64 v[3:4], v[5:6], off
	s_mov_b32 s2, 0
	s_branch .LBB23_514
.LBB23_510:
	s_mov_b32 s2, -1
                                        ; implicit-def: $vgpr3_vgpr4
	s_branch .LBB23_532
.LBB23_511:
	s_mov_b32 s2, -1
                                        ; implicit-def: $vgpr3_vgpr4
	s_branch .LBB23_520
.LBB23_512:
	s_mov_b32 s2, -1
                                        ; implicit-def: $vgpr3_vgpr4
	s_branch .LBB23_517
.LBB23_513:
	s_mov_b32 s2, -1
                                        ; implicit-def: $vgpr3_vgpr4
.LBB23_514:
	s_delay_alu instid0(SALU_CYCLE_1)
	s_and_not1_b32 vcc_lo, exec_lo, s2
	s_cbranch_vccnz .LBB23_516
; %bb.515:
	global_load_b32 v1, v[5:6], off
	s_waitcnt vmcnt(0)
	v_cvt_f64_f32_e32 v[3:4], v1
.LBB23_516:
	s_mov_b32 s2, 0
.LBB23_517:
	s_delay_alu instid0(SALU_CYCLE_1)
	s_and_not1_b32 vcc_lo, exec_lo, s2
	s_cbranch_vccnz .LBB23_519
; %bb.518:
	global_load_b32 v1, v[5:6], off
	s_waitcnt vmcnt(0)
	v_cvt_f32_f16_e32 v1, v1
	s_delay_alu instid0(VALU_DEP_1)
	v_cvt_f64_f32_e32 v[3:4], v1
.LBB23_519:
	s_mov_b32 s2, 0
.LBB23_520:
	s_delay_alu instid0(SALU_CYCLE_1)
	s_and_not1_b32 vcc_lo, exec_lo, s2
	s_cbranch_vccnz .LBB23_531
; %bb.521:
	v_cmp_gt_i16_e32 vcc_lo, 6, v7
	s_cbranch_vccnz .LBB23_524
; %bb.522:
	v_cmp_lt_i16_e32 vcc_lo, 6, v7
	s_cbranch_vccz .LBB23_525
; %bb.523:
	global_load_b64 v[3:4], v[5:6], off
	s_mov_b32 s2, 0
	s_branch .LBB23_526
.LBB23_524:
	s_mov_b32 s2, -1
                                        ; implicit-def: $vgpr3_vgpr4
	s_branch .LBB23_529
.LBB23_525:
	s_mov_b32 s2, -1
                                        ; implicit-def: $vgpr3_vgpr4
.LBB23_526:
	s_delay_alu instid0(SALU_CYCLE_1)
	s_and_not1_b32 vcc_lo, exec_lo, s2
	s_cbranch_vccnz .LBB23_528
; %bb.527:
	global_load_b32 v1, v[5:6], off
	s_waitcnt vmcnt(0)
	v_cvt_f64_f32_e32 v[3:4], v1
.LBB23_528:
	s_mov_b32 s2, 0
.LBB23_529:
	s_delay_alu instid0(SALU_CYCLE_1)
	s_and_not1_b32 vcc_lo, exec_lo, s2
	s_cbranch_vccnz .LBB23_531
; %bb.530:
	global_load_u16 v1, v[5:6], off
	s_waitcnt vmcnt(0)
	v_cvt_f32_f16_e32 v1, v1
	s_delay_alu instid0(VALU_DEP_1)
	v_cvt_f64_f32_e32 v[3:4], v1
.LBB23_531:
	s_mov_b32 s2, 0
.LBB23_532:
	s_delay_alu instid0(SALU_CYCLE_1)
	s_and_not1_b32 vcc_lo, exec_lo, s2
	s_cbranch_vccnz .LBB23_552
; %bb.533:
	v_cmp_gt_i16_e32 vcc_lo, 2, v7
	s_cbranch_vccnz .LBB23_537
; %bb.534:
	v_cmp_gt_i16_e32 vcc_lo, 3, v7
	s_cbranch_vccnz .LBB23_538
; %bb.535:
	v_cmp_lt_i16_e32 vcc_lo, 3, v7
	s_cbranch_vccz .LBB23_539
; %bb.536:
	global_load_b64 v[3:4], v[5:6], off
	s_mov_b32 s2, 0
	s_waitcnt vmcnt(0)
	v_cvt_f64_i32_e32 v[13:14], v4
	v_cvt_f64_u32_e32 v[3:4], v3
	s_delay_alu instid0(VALU_DEP_2) | instskip(NEXT) | instid1(VALU_DEP_1)
	v_ldexp_f64 v[13:14], v[13:14], 32
	v_add_f64 v[3:4], v[13:14], v[3:4]
	s_branch .LBB23_540
.LBB23_537:
	s_mov_b32 s2, -1
                                        ; implicit-def: $vgpr3_vgpr4
	s_branch .LBB23_546
.LBB23_538:
	s_mov_b32 s2, -1
                                        ; implicit-def: $vgpr3_vgpr4
	s_branch .LBB23_543
.LBB23_539:
	s_mov_b32 s2, -1
                                        ; implicit-def: $vgpr3_vgpr4
.LBB23_540:
	s_delay_alu instid0(SALU_CYCLE_1)
	s_and_not1_b32 vcc_lo, exec_lo, s2
	s_cbranch_vccnz .LBB23_542
; %bb.541:
	global_load_b32 v1, v[5:6], off
	s_waitcnt vmcnt(0)
	v_cvt_f64_i32_e32 v[3:4], v1
.LBB23_542:
	s_mov_b32 s2, 0
.LBB23_543:
	s_delay_alu instid0(SALU_CYCLE_1)
	s_and_not1_b32 vcc_lo, exec_lo, s2
	s_cbranch_vccnz .LBB23_545
; %bb.544:
	global_load_i16 v1, v[5:6], off
	s_waitcnt vmcnt(0)
	v_cvt_f64_i32_e32 v[3:4], v1
.LBB23_545:
	s_mov_b32 s2, 0
.LBB23_546:
	s_delay_alu instid0(SALU_CYCLE_1)
	s_and_not1_b32 vcc_lo, exec_lo, s2
	s_cbranch_vccnz .LBB23_552
; %bb.547:
	v_cmp_lt_i16_e32 vcc_lo, 0, v7
	s_mov_b32 s2, 0
	s_cbranch_vccz .LBB23_549
; %bb.548:
	global_load_i8 v1, v[5:6], off
	s_waitcnt vmcnt(0)
	v_cvt_f64_i32_e32 v[3:4], v1
	s_branch .LBB23_550
.LBB23_549:
	s_mov_b32 s2, -1
                                        ; implicit-def: $vgpr3_vgpr4
.LBB23_550:
	s_delay_alu instid0(SALU_CYCLE_1)
	s_and_not1_b32 vcc_lo, exec_lo, s2
	s_cbranch_vccnz .LBB23_552
; %bb.551:
	global_load_u8 v1, v[5:6], off
	s_waitcnt vmcnt(0)
	v_cvt_f64_u32_e32 v[3:4], v1
.LBB23_552:
	s_branch .LBB23_422
.LBB23_553:
	s_mov_b32 s3, 0
	s_mov_b32 s2, s34
	s_mov_b32 s40, s35
	s_branch .LBB23_733
.LBB23_554:
	s_or_saveexec_b32 s39, s39
                                        ; implicit-def: $sgpr40
	s_delay_alu instid0(SALU_CYCLE_1)
	s_xor_b32 exec_lo, exec_lo, s39
	s_cbranch_execz .LBB23_84
.LBB23_555:
	v_add_f32_e64 v3, 0x42800000, |v2|
	s_and_not1_b32 s34, s34, exec_lo
	s_mov_b32 s40, 0
	s_delay_alu instid0(VALU_DEP_1) | instskip(NEXT) | instid1(VALU_DEP_1)
	v_and_b32_e32 v3, 0xff, v3
	v_cmp_ne_u32_e32 vcc_lo, 0, v3
	s_and_b32 s41, vcc_lo, exec_lo
	s_delay_alu instid0(SALU_CYCLE_1)
	s_or_b32 s34, s34, s41
	s_or_b32 exec_lo, exec_lo, s39
	v_mov_b32_e32 v7, s40
	s_and_saveexec_b32 s39, s34
	s_cbranch_execnz .LBB23_85
	s_branch .LBB23_86
.LBB23_556:
	s_mov_b32 s40, -1
.LBB23_557:
                                        ; implicit-def: $vgpr5_vgpr6
.LBB23_558:
	s_and_b32 vcc_lo, exec_lo, s3
	s_cbranch_vccz .LBB23_562
; %bb.559:
	v_cmp_eq_u16_e32 vcc_lo, 44, v7
	s_cbranch_vccz .LBB23_561
; %bb.560:
	global_load_u8 v8, v[0:1], off
	s_mov_b32 s40, 0
	s_mov_b32 s2, -1
	s_waitcnt vmcnt(0)
	v_cmp_ne_u32_e32 vcc_lo, 0xff, v8
	v_lshlrev_b32_e32 v5, 23, v8
	s_delay_alu instid0(VALU_DEP_1) | instskip(NEXT) | instid1(VALU_DEP_1)
	v_cvt_f64_f32_e32 v[5:6], v5
	v_cndmask_b32_e32 v6, 0x7ff80000, v6, vcc_lo
	s_delay_alu instid0(VALU_DEP_2) | instskip(SKIP_1) | instid1(VALU_DEP_3)
	v_cndmask_b32_e32 v5, 0x20000000, v5, vcc_lo
	v_cmp_ne_u32_e32 vcc_lo, 0, v8
	v_cndmask_b32_e32 v6, 0x38000000, v6, vcc_lo
	s_delay_alu instid0(VALU_DEP_3)
	v_cndmask_b32_e32 v5, 0, v5, vcc_lo
	s_branch .LBB23_562
.LBB23_561:
	s_mov_b32 s40, -1
                                        ; implicit-def: $vgpr5_vgpr6
.LBB23_562:
	s_mov_b32 s3, 0
.LBB23_563:
	s_delay_alu instid0(SALU_CYCLE_1)
	s_and_b32 vcc_lo, exec_lo, s3
	s_cbranch_vccz .LBB23_567
; %bb.564:
	v_cmp_eq_u16_e32 vcc_lo, 29, v7
	s_cbranch_vccz .LBB23_566
; %bb.565:
	global_load_b64 v[5:6], v[0:1], off
	s_mov_b32 s2, -1
	s_mov_b32 s40, 0
	s_mov_b32 s3, 0
	s_waitcnt vmcnt(0)
	v_cvt_f64_u32_e32 v[13:14], v6
	v_cvt_f64_u32_e32 v[5:6], v5
	s_delay_alu instid0(VALU_DEP_2) | instskip(NEXT) | instid1(VALU_DEP_1)
	v_ldexp_f64 v[13:14], v[13:14], 32
	v_add_f64 v[5:6], v[13:14], v[5:6]
	s_branch .LBB23_568
.LBB23_566:
	s_mov_b32 s40, -1
                                        ; implicit-def: $vgpr5_vgpr6
.LBB23_567:
	s_mov_b32 s3, 0
.LBB23_568:
	s_delay_alu instid0(SALU_CYCLE_1)
	s_and_b32 vcc_lo, exec_lo, s3
	s_cbranch_vccz .LBB23_588
; %bb.569:
	v_cmp_gt_i16_e32 vcc_lo, 27, v7
	s_cbranch_vccnz .LBB23_572
; %bb.570:
	v_cmp_lt_i16_e32 vcc_lo, 27, v7
	s_cbranch_vccz .LBB23_573
; %bb.571:
	global_load_b32 v5, v[0:1], off
	s_mov_b32 s2, 0
	s_waitcnt vmcnt(0)
	v_cvt_f64_u32_e32 v[5:6], v5
	s_branch .LBB23_574
.LBB23_572:
	s_mov_b32 s2, -1
                                        ; implicit-def: $vgpr5_vgpr6
	s_branch .LBB23_577
.LBB23_573:
	s_mov_b32 s2, -1
                                        ; implicit-def: $vgpr5_vgpr6
.LBB23_574:
	s_delay_alu instid0(SALU_CYCLE_1)
	s_and_not1_b32 vcc_lo, exec_lo, s2
	s_cbranch_vccnz .LBB23_576
; %bb.575:
	global_load_u16 v5, v[0:1], off
	s_waitcnt vmcnt(0)
	v_cvt_f64_u32_e32 v[5:6], v5
.LBB23_576:
	s_mov_b32 s2, 0
.LBB23_577:
	s_delay_alu instid0(SALU_CYCLE_1)
	s_and_not1_b32 vcc_lo, exec_lo, s2
	s_cbranch_vccnz .LBB23_587
; %bb.578:
	global_load_u8 v8, v[0:1], off
	s_mov_b32 s39, 0
	s_mov_b32 s42, exec_lo
                                        ; implicit-def: $sgpr2_sgpr3
	s_waitcnt vmcnt(0)
	v_cmpx_lt_i16_e32 0x7f, v8
	s_xor_b32 s42, exec_lo, s42
	s_cbranch_execz .LBB23_582
; %bb.579:
	s_mov_b32 s43, -1
	s_mov_b32 s39, exec_lo
                                        ; implicit-def: $sgpr2_sgpr3
	v_cmpx_eq_u16_e32 0x80, v8
; %bb.580:
	s_mov_b32 s3, 0x7ff80000
	s_brev_b32 s2, 4
	s_xor_b32 s43, exec_lo, -1
; %bb.581:
	s_or_b32 exec_lo, exec_lo, s39
	s_delay_alu instid0(SALU_CYCLE_1)
	s_and_b32 s39, s43, exec_lo
.LBB23_582:
	s_or_saveexec_b32 s42, s42
	v_dual_mov_b32 v6, s3 :: v_dual_mov_b32 v5, s2
	s_xor_b32 exec_lo, exec_lo, s42
; %bb.583:
	v_cmp_ne_u16_e32 vcc_lo, 0, v8
	v_mov_b32_e32 v5, 0
	v_mov_b32_e32 v6, 0
	s_and_not1_b32 s2, s39, exec_lo
	s_and_b32 s3, vcc_lo, exec_lo
	s_delay_alu instid0(SALU_CYCLE_1)
	s_or_b32 s39, s2, s3
; %bb.584:
	s_or_b32 exec_lo, exec_lo, s42
	s_and_saveexec_b32 s2, s39
	s_cbranch_execz .LBB23_586
; %bb.585:
	v_and_b32_e32 v5, 0xffff, v8
	v_lshlrev_b32_e32 v8, 24, v8
	s_delay_alu instid0(VALU_DEP_2) | instskip(NEXT) | instid1(VALU_DEP_2)
	v_and_b32_e32 v6, 7, v5
	v_and_b32_e32 v8, 0x80000000, v8
	s_delay_alu instid0(VALU_DEP_2) | instskip(NEXT) | instid1(VALU_DEP_1)
	v_clz_i32_u32_e32 v13, v6
	v_min_u32_e32 v13, 32, v13
	s_delay_alu instid0(VALU_DEP_1) | instskip(SKIP_1) | instid1(VALU_DEP_2)
	v_subrev_nc_u32_e32 v14, 28, v13
	v_sub_nc_u32_e32 v13, 29, v13
	v_lshlrev_b32_e32 v14, v14, v5
	v_bfe_u32 v5, v5, 3, 4
	s_delay_alu instid0(VALU_DEP_1) | instskip(NEXT) | instid1(VALU_DEP_3)
	v_cmp_eq_u32_e32 vcc_lo, 0, v5
	v_dual_cndmask_b32 v5, v5, v13 :: v_dual_and_b32 v14, 7, v14
	s_delay_alu instid0(VALU_DEP_1) | instskip(NEXT) | instid1(VALU_DEP_2)
	v_cndmask_b32_e32 v6, v6, v14, vcc_lo
	v_lshl_add_u32 v5, v5, 23, 0x3b800000
	s_delay_alu instid0(VALU_DEP_2) | instskip(NEXT) | instid1(VALU_DEP_1)
	v_lshlrev_b32_e32 v6, 20, v6
	v_or3_b32 v5, v8, v5, v6
	s_delay_alu instid0(VALU_DEP_1)
	v_cvt_f64_f32_e32 v[5:6], v5
.LBB23_586:
	s_or_b32 exec_lo, exec_lo, s2
.LBB23_587:
	s_mov_b32 s2, -1
.LBB23_588:
	s_mov_b32 s3, 0
.LBB23_589:
	s_delay_alu instid0(SALU_CYCLE_1)
	s_and_b32 vcc_lo, exec_lo, s3
	s_cbranch_vccz .LBB23_622
; %bb.590:
	v_cmp_lt_i16_e32 vcc_lo, 22, v7
	s_cbranch_vccz .LBB23_602
; %bb.591:
	v_cmp_gt_i16_e32 vcc_lo, 24, v7
	s_cbranch_vccnz .LBB23_603
; %bb.592:
	v_cmp_lt_i16_e32 vcc_lo, 24, v7
	s_cbranch_vccz .LBB23_604
; %bb.593:
	global_load_u8 v8, v[0:1], off
	s_mov_b32 s39, 0
	s_mov_b32 s42, exec_lo
                                        ; implicit-def: $sgpr2_sgpr3
	s_waitcnt vmcnt(0)
	v_cmpx_lt_i16_e32 0x7f, v8
	s_xor_b32 s42, exec_lo, s42
	s_cbranch_execz .LBB23_597
; %bb.594:
	s_mov_b32 s43, -1
	s_mov_b32 s39, exec_lo
                                        ; implicit-def: $sgpr2_sgpr3
	v_cmpx_eq_u16_e32 0x80, v8
; %bb.595:
	s_mov_b32 s3, 0x7ff80000
	s_brev_b32 s2, 4
	s_xor_b32 s43, exec_lo, -1
; %bb.596:
	s_or_b32 exec_lo, exec_lo, s39
	s_delay_alu instid0(SALU_CYCLE_1)
	s_and_b32 s39, s43, exec_lo
.LBB23_597:
	s_or_saveexec_b32 s42, s42
	v_dual_mov_b32 v6, s3 :: v_dual_mov_b32 v5, s2
	s_xor_b32 exec_lo, exec_lo, s42
; %bb.598:
	v_cmp_ne_u16_e32 vcc_lo, 0, v8
	v_mov_b32_e32 v5, 0
	v_mov_b32_e32 v6, 0
	s_and_not1_b32 s2, s39, exec_lo
	s_and_b32 s3, vcc_lo, exec_lo
	s_delay_alu instid0(SALU_CYCLE_1)
	s_or_b32 s39, s2, s3
; %bb.599:
	s_or_b32 exec_lo, exec_lo, s42
	s_and_saveexec_b32 s2, s39
	s_cbranch_execz .LBB23_601
; %bb.600:
	v_and_b32_e32 v5, 0xffff, v8
	v_lshlrev_b32_e32 v8, 24, v8
	s_delay_alu instid0(VALU_DEP_2) | instskip(NEXT) | instid1(VALU_DEP_2)
	v_and_b32_e32 v6, 3, v5
	v_and_b32_e32 v8, 0x80000000, v8
	s_delay_alu instid0(VALU_DEP_2) | instskip(NEXT) | instid1(VALU_DEP_1)
	v_clz_i32_u32_e32 v13, v6
	v_min_u32_e32 v13, 32, v13
	s_delay_alu instid0(VALU_DEP_1) | instskip(SKIP_1) | instid1(VALU_DEP_2)
	v_subrev_nc_u32_e32 v14, 29, v13
	v_sub_nc_u32_e32 v13, 30, v13
	v_lshlrev_b32_e32 v14, v14, v5
	v_bfe_u32 v5, v5, 2, 5
	s_delay_alu instid0(VALU_DEP_1) | instskip(NEXT) | instid1(VALU_DEP_3)
	v_cmp_eq_u32_e32 vcc_lo, 0, v5
	v_dual_cndmask_b32 v5, v5, v13 :: v_dual_and_b32 v14, 3, v14
	s_delay_alu instid0(VALU_DEP_1) | instskip(NEXT) | instid1(VALU_DEP_2)
	v_cndmask_b32_e32 v6, v6, v14, vcc_lo
	v_lshl_add_u32 v5, v5, 23, 0x37800000
	s_delay_alu instid0(VALU_DEP_2) | instskip(NEXT) | instid1(VALU_DEP_1)
	v_lshlrev_b32_e32 v6, 21, v6
	v_or3_b32 v5, v8, v5, v6
	s_delay_alu instid0(VALU_DEP_1)
	v_cvt_f64_f32_e32 v[5:6], v5
.LBB23_601:
	s_or_b32 exec_lo, exec_lo, s2
	s_mov_b32 s2, 0
	s_branch .LBB23_605
.LBB23_602:
	s_mov_b32 s3, -1
                                        ; implicit-def: $vgpr5_vgpr6
	s_branch .LBB23_611
.LBB23_603:
	s_mov_b32 s2, -1
                                        ; implicit-def: $vgpr5_vgpr6
	s_branch .LBB23_608
.LBB23_604:
	s_mov_b32 s2, -1
                                        ; implicit-def: $vgpr5_vgpr6
.LBB23_605:
	s_delay_alu instid0(SALU_CYCLE_1)
	s_and_b32 vcc_lo, exec_lo, s2
	s_cbranch_vccz .LBB23_607
; %bb.606:
	global_load_u8 v5, v[0:1], off
	s_waitcnt vmcnt(0)
	v_lshlrev_b32_e32 v5, 24, v5
	s_delay_alu instid0(VALU_DEP_1) | instskip(NEXT) | instid1(VALU_DEP_1)
	v_and_b32_e32 v6, 0x7f000000, v5
	v_clz_i32_u32_e32 v8, v6
	v_add_nc_u32_e32 v14, 0x1000000, v6
	v_cmp_ne_u32_e32 vcc_lo, 0, v6
	s_delay_alu instid0(VALU_DEP_3) | instskip(NEXT) | instid1(VALU_DEP_1)
	v_min_u32_e32 v8, 32, v8
	v_sub_nc_u32_e64 v8, v8, 4 clamp
	s_delay_alu instid0(VALU_DEP_1) | instskip(SKIP_1) | instid1(VALU_DEP_2)
	v_lshlrev_b32_e32 v13, v8, v6
	v_lshlrev_b32_e32 v8, 23, v8
	v_lshrrev_b32_e32 v13, 4, v13
	s_delay_alu instid0(VALU_DEP_1) | instskip(SKIP_1) | instid1(VALU_DEP_2)
	v_sub_nc_u32_e32 v8, v13, v8
	v_ashrrev_i32_e32 v13, 8, v14
	v_add_nc_u32_e32 v8, 0x3c000000, v8
	s_delay_alu instid0(VALU_DEP_1) | instskip(NEXT) | instid1(VALU_DEP_1)
	v_and_or_b32 v8, 0x7f800000, v13, v8
	v_cndmask_b32_e32 v6, 0, v8, vcc_lo
	s_delay_alu instid0(VALU_DEP_1) | instskip(NEXT) | instid1(VALU_DEP_1)
	v_and_or_b32 v5, 0x80000000, v5, v6
	v_cvt_f64_f32_e32 v[5:6], v5
.LBB23_607:
	s_mov_b32 s2, 0
.LBB23_608:
	s_delay_alu instid0(SALU_CYCLE_1)
	s_and_not1_b32 vcc_lo, exec_lo, s2
	s_cbranch_vccnz .LBB23_610
; %bb.609:
	global_load_u8 v5, v[0:1], off
	s_waitcnt vmcnt(0)
	v_lshlrev_b32_e32 v6, 25, v5
	v_lshlrev_b16 v5, 8, v5
	s_delay_alu instid0(VALU_DEP_2) | instskip(NEXT) | instid1(VALU_DEP_2)
	v_lshrrev_b32_e32 v8, 4, v6
	v_and_or_b32 v13, 0x7f00, v5, 0.5
	v_cmp_gt_u32_e32 vcc_lo, 0x8000000, v6
	v_bfe_i32 v5, v5, 0, 16
	s_delay_alu instid0(VALU_DEP_4) | instskip(NEXT) | instid1(VALU_DEP_1)
	v_or_b32_e32 v8, 0x70000000, v8
	v_dual_add_f32 v13, -0.5, v13 :: v_dual_mul_f32 v8, 0x7800000, v8
	s_delay_alu instid0(VALU_DEP_1) | instskip(NEXT) | instid1(VALU_DEP_1)
	v_cndmask_b32_e32 v6, v8, v13, vcc_lo
	v_and_or_b32 v5, 0x80000000, v5, v6
	s_delay_alu instid0(VALU_DEP_1)
	v_cvt_f64_f32_e32 v[5:6], v5
.LBB23_610:
	s_mov_b32 s3, 0
	s_mov_b32 s2, -1
.LBB23_611:
	s_and_not1_b32 vcc_lo, exec_lo, s3
	s_cbranch_vccnz .LBB23_622
; %bb.612:
	v_cmp_lt_i16_e32 vcc_lo, 14, v7
	s_cbranch_vccz .LBB23_615
; %bb.613:
	v_cmp_eq_u16_e32 vcc_lo, 15, v7
	s_cbranch_vccz .LBB23_616
; %bb.614:
	global_load_u16 v5, v[0:1], off
	s_mov_b32 s2, -1
	s_mov_b32 s40, 0
	s_waitcnt vmcnt(0)
	v_lshlrev_b32_e32 v5, 16, v5
	s_delay_alu instid0(VALU_DEP_1)
	v_cvt_f64_f32_e32 v[5:6], v5
	s_branch .LBB23_617
.LBB23_615:
	s_mov_b32 s3, -1
                                        ; implicit-def: $vgpr5_vgpr6
	s_branch .LBB23_618
.LBB23_616:
	s_mov_b32 s40, -1
                                        ; implicit-def: $vgpr5_vgpr6
.LBB23_617:
	s_mov_b32 s3, 0
.LBB23_618:
	s_delay_alu instid0(SALU_CYCLE_1)
	s_and_b32 vcc_lo, exec_lo, s3
	s_cbranch_vccz .LBB23_622
; %bb.619:
	v_cmp_eq_u16_e32 vcc_lo, 11, v7
	s_cbranch_vccz .LBB23_621
; %bb.620:
	global_load_u8 v5, v[0:1], off
	s_mov_b32 s40, 0
	s_mov_b32 s2, -1
	s_waitcnt vmcnt(0)
	v_cmp_ne_u16_e32 vcc_lo, 0, v5
	v_mov_b32_e32 v5, 0
	v_cndmask_b32_e64 v6, 0, 0x3ff00000, vcc_lo
	s_branch .LBB23_622
.LBB23_621:
	s_mov_b32 s40, -1
                                        ; implicit-def: $vgpr5_vgpr6
.LBB23_622:
	s_mov_b32 s3, 0
.LBB23_623:
	s_delay_alu instid0(SALU_CYCLE_1)
	s_and_b32 vcc_lo, exec_lo, s3
	s_cbranch_vccz .LBB23_672
; %bb.624:
	v_cmp_gt_i16_e32 vcc_lo, 5, v7
	s_cbranch_vccnz .LBB23_629
; %bb.625:
	v_cmp_gt_i16_e32 vcc_lo, 8, v7
	s_cbranch_vccnz .LBB23_630
	;; [unrolled: 3-line block ×3, first 2 shown]
; %bb.627:
	v_cmp_lt_i16_e32 vcc_lo, 9, v7
	s_cbranch_vccz .LBB23_632
; %bb.628:
	global_load_b64 v[5:6], v[0:1], off
	s_mov_b32 s2, 0
	s_branch .LBB23_633
.LBB23_629:
	s_mov_b32 s2, -1
                                        ; implicit-def: $vgpr5_vgpr6
	s_branch .LBB23_651
.LBB23_630:
	s_mov_b32 s2, -1
                                        ; implicit-def: $vgpr5_vgpr6
	s_branch .LBB23_639
.LBB23_631:
	s_mov_b32 s2, -1
                                        ; implicit-def: $vgpr5_vgpr6
	s_branch .LBB23_636
.LBB23_632:
	s_mov_b32 s2, -1
                                        ; implicit-def: $vgpr5_vgpr6
.LBB23_633:
	s_delay_alu instid0(SALU_CYCLE_1)
	s_and_not1_b32 vcc_lo, exec_lo, s2
	s_cbranch_vccnz .LBB23_635
; %bb.634:
	global_load_b32 v5, v[0:1], off
	s_waitcnt vmcnt(0)
	v_cvt_f64_f32_e32 v[5:6], v5
.LBB23_635:
	s_mov_b32 s2, 0
.LBB23_636:
	s_delay_alu instid0(SALU_CYCLE_1)
	s_and_not1_b32 vcc_lo, exec_lo, s2
	s_cbranch_vccnz .LBB23_638
; %bb.637:
	global_load_b32 v5, v[0:1], off
	s_waitcnt vmcnt(0)
	v_cvt_f32_f16_e32 v5, v5
	s_delay_alu instid0(VALU_DEP_1)
	v_cvt_f64_f32_e32 v[5:6], v5
.LBB23_638:
	s_mov_b32 s2, 0
.LBB23_639:
	s_delay_alu instid0(SALU_CYCLE_1)
	s_and_not1_b32 vcc_lo, exec_lo, s2
	s_cbranch_vccnz .LBB23_650
; %bb.640:
	v_cmp_gt_i16_e32 vcc_lo, 6, v7
	s_cbranch_vccnz .LBB23_643
; %bb.641:
	v_cmp_lt_i16_e32 vcc_lo, 6, v7
	s_cbranch_vccz .LBB23_644
; %bb.642:
	global_load_b64 v[5:6], v[0:1], off
	s_mov_b32 s2, 0
	s_branch .LBB23_645
.LBB23_643:
	s_mov_b32 s2, -1
                                        ; implicit-def: $vgpr5_vgpr6
	s_branch .LBB23_648
.LBB23_644:
	s_mov_b32 s2, -1
                                        ; implicit-def: $vgpr5_vgpr6
.LBB23_645:
	s_delay_alu instid0(SALU_CYCLE_1)
	s_and_not1_b32 vcc_lo, exec_lo, s2
	s_cbranch_vccnz .LBB23_647
; %bb.646:
	global_load_b32 v5, v[0:1], off
	s_waitcnt vmcnt(0)
	v_cvt_f64_f32_e32 v[5:6], v5
.LBB23_647:
	s_mov_b32 s2, 0
.LBB23_648:
	s_delay_alu instid0(SALU_CYCLE_1)
	s_and_not1_b32 vcc_lo, exec_lo, s2
	s_cbranch_vccnz .LBB23_650
; %bb.649:
	global_load_u16 v5, v[0:1], off
	s_waitcnt vmcnt(0)
	v_cvt_f32_f16_e32 v5, v5
	s_delay_alu instid0(VALU_DEP_1)
	v_cvt_f64_f32_e32 v[5:6], v5
.LBB23_650:
	s_mov_b32 s2, 0
.LBB23_651:
	s_delay_alu instid0(SALU_CYCLE_1)
	s_and_not1_b32 vcc_lo, exec_lo, s2
	s_cbranch_vccnz .LBB23_671
; %bb.652:
	v_cmp_gt_i16_e32 vcc_lo, 2, v7
	s_cbranch_vccnz .LBB23_656
; %bb.653:
	v_cmp_gt_i16_e32 vcc_lo, 3, v7
	s_cbranch_vccnz .LBB23_657
; %bb.654:
	v_cmp_lt_i16_e32 vcc_lo, 3, v7
	s_cbranch_vccz .LBB23_658
; %bb.655:
	global_load_b64 v[5:6], v[0:1], off
	s_mov_b32 s2, 0
	s_waitcnt vmcnt(0)
	v_cvt_f64_i32_e32 v[13:14], v6
	v_cvt_f64_u32_e32 v[5:6], v5
	s_delay_alu instid0(VALU_DEP_2) | instskip(NEXT) | instid1(VALU_DEP_1)
	v_ldexp_f64 v[13:14], v[13:14], 32
	v_add_f64 v[5:6], v[13:14], v[5:6]
	s_branch .LBB23_659
.LBB23_656:
	s_mov_b32 s2, -1
                                        ; implicit-def: $vgpr5_vgpr6
	s_branch .LBB23_665
.LBB23_657:
	s_mov_b32 s2, -1
                                        ; implicit-def: $vgpr5_vgpr6
	s_branch .LBB23_662
.LBB23_658:
	s_mov_b32 s2, -1
                                        ; implicit-def: $vgpr5_vgpr6
.LBB23_659:
	s_delay_alu instid0(SALU_CYCLE_1)
	s_and_not1_b32 vcc_lo, exec_lo, s2
	s_cbranch_vccnz .LBB23_661
; %bb.660:
	global_load_b32 v5, v[0:1], off
	s_waitcnt vmcnt(0)
	v_cvt_f64_i32_e32 v[5:6], v5
.LBB23_661:
	s_mov_b32 s2, 0
.LBB23_662:
	s_delay_alu instid0(SALU_CYCLE_1)
	s_and_not1_b32 vcc_lo, exec_lo, s2
	s_cbranch_vccnz .LBB23_664
; %bb.663:
	global_load_i16 v5, v[0:1], off
	s_waitcnt vmcnt(0)
	v_cvt_f64_i32_e32 v[5:6], v5
.LBB23_664:
	s_mov_b32 s2, 0
.LBB23_665:
	s_delay_alu instid0(SALU_CYCLE_1)
	s_and_not1_b32 vcc_lo, exec_lo, s2
	s_cbranch_vccnz .LBB23_671
; %bb.666:
	v_cmp_lt_i16_e32 vcc_lo, 0, v7
	s_mov_b32 s2, 0
	s_cbranch_vccz .LBB23_668
; %bb.667:
	global_load_i8 v5, v[0:1], off
	s_waitcnt vmcnt(0)
	v_cvt_f64_i32_e32 v[5:6], v5
	s_branch .LBB23_669
.LBB23_668:
	s_mov_b32 s2, -1
                                        ; implicit-def: $vgpr5_vgpr6
.LBB23_669:
	s_delay_alu instid0(SALU_CYCLE_1)
	s_and_not1_b32 vcc_lo, exec_lo, s2
	s_cbranch_vccnz .LBB23_671
; %bb.670:
	global_load_u8 v0, v[0:1], off
	s_waitcnt vmcnt(0)
	v_cvt_f64_u32_e32 v[5:6], v0
.LBB23_671:
	s_mov_b32 s2, -1
.LBB23_672:
	s_delay_alu instid0(SALU_CYCLE_1)
	s_and_not1_b32 vcc_lo, exec_lo, s2
	s_cbranch_vccnz .LBB23_692
; %bb.673:
	s_waitcnt vmcnt(0)
	s_delay_alu instid0(VALU_DEP_1) | instskip(SKIP_2) | instid1(VALU_DEP_2)
	v_trunc_f64_e32 v[0:1], v[5:6]
	v_cmp_class_f64_e64 vcc_lo, v[5:6], 0x1f8
	s_mov_b32 s39, exec_lo
	v_ldexp_f64 v[7:8], v[0:1], 0xffffffe0
	s_delay_alu instid0(VALU_DEP_1) | instskip(NEXT) | instid1(VALU_DEP_1)
	v_floor_f64_e32 v[7:8], v[7:8]
	v_fma_f64 v[0:1], 0xc1f00000, v[7:8], v[0:1]
	v_cvt_i32_f64_e32 v7, v[7:8]
	s_delay_alu instid0(VALU_DEP_2) | instskip(NEXT) | instid1(VALU_DEP_1)
	v_cvt_u32_f64_e32 v0, v[0:1]
	v_dual_cndmask_b32 v6, -1, v7 :: v_dual_cndmask_b32 v5, -1, v0
	v_mov_b32_e32 v0, 0
	v_mov_b32_e32 v1, 0
	s_delay_alu instid0(VALU_DEP_3)
	v_cmpx_lt_i64_e32 -1, v[5:6]
	s_cbranch_execz .LBB23_685
; %bb.674:
	v_mov_b32_e32 v0, 0
	v_mov_b32_e32 v1, 0x3ff00000
	s_mov_b32 s42, exec_lo
	v_cmpx_lt_i64_e32 0, v[5:6]
	s_cbranch_execz .LBB23_684
; %bb.675:
                                        ; implicit-def: $vgpr0_vgpr1
	s_mov_b32 s2, exec_lo
	v_cmpx_ne_u64_e32 1, v[5:6]
	s_xor_b32 s43, exec_lo, s2
	s_cbranch_execz .LBB23_681
; %bb.676:
	v_mov_b32_e32 v0, 0
	v_mov_b32_e32 v1, 0x7ff80000
	s_mov_b32 s44, exec_lo
	v_cmpx_gt_u64_e32 0x201, v[5:6]
	s_cbranch_execz .LBB23_680
; %bb.677:
	v_add_f64 v[3:4], v[3:4], v[3:4]
	v_lshlrev_b64 v[5:6], 1, v[5:6]
	v_mov_b32_e32 v7, 0
	v_mov_b32_e32 v8, 0x3ff00000
	s_mov_b64 s[2:3], 2
	s_mov_b32 s45, 0
	s_delay_alu instid0(VALU_DEP_4)
	v_dual_mov_b32 v0, v3 :: v_dual_mov_b32 v1, v4
.LBB23_678:                             ; =>This Inner Loop Header: Depth=1
	v_cvt_f64_u32_e32 v[13:14], s3
	v_cvt_f64_u32_e32 v[15:16], s2
	s_add_u32 s2, s2, 2
	s_addc_u32 s3, s3, 0
	s_delay_alu instid0(SALU_CYCLE_1) | instskip(SKIP_1) | instid1(VALU_DEP_3)
	v_cmp_ge_u64_e32 vcc_lo, s[2:3], v[5:6]
	s_or_b32 s45, vcc_lo, s45
	v_ldexp_f64 v[13:14], v[13:14], 32
	s_delay_alu instid0(VALU_DEP_1) | instskip(NEXT) | instid1(VALU_DEP_1)
	v_add_f64 v[13:14], v[13:14], v[15:16]
	v_mul_f64 v[7:8], v[7:8], v[13:14]
	v_dual_mov_b32 v14, v1 :: v_dual_mov_b32 v13, v0
	s_delay_alu instid0(VALU_DEP_1)
	v_fma_f64 v[0:1], v[3:4], v[13:14], -v[7:8]
	v_dual_mov_b32 v7, v13 :: v_dual_mov_b32 v8, v14
	s_and_not1_b32 exec_lo, exec_lo, s45
	s_cbranch_execnz .LBB23_678
; %bb.679:
	s_or_b32 exec_lo, exec_lo, s45
.LBB23_680:
	s_delay_alu instid0(SALU_CYCLE_1)
	s_or_b32 exec_lo, exec_lo, s44
                                        ; implicit-def: $vgpr3_vgpr4
.LBB23_681:
	s_and_not1_saveexec_b32 s2, s43
; %bb.682:
	v_add_f64 v[0:1], v[3:4], v[3:4]
; %bb.683:
	s_or_b32 exec_lo, exec_lo, s2
.LBB23_684:
	s_delay_alu instid0(SALU_CYCLE_1)
	s_or_b32 exec_lo, exec_lo, s42
.LBB23_685:
	s_delay_alu instid0(SALU_CYCLE_1) | instskip(SKIP_2) | instid1(VALU_DEP_1)
	s_or_b32 exec_lo, exec_lo, s39
	v_and_b32_e32 v6, 0xff, v9
	v_add_co_u32 v4, s2, s4, v2
	v_add_co_ci_u32_e64 v5, null, s5, 0, s2
	s_delay_alu instid0(VALU_DEP_3)
	v_cmp_gt_i16_e32 vcc_lo, 11, v6
	s_mov_b32 s3, 0
	s_mov_b32 s39, -1
	s_mov_b32 s2, s34
	s_cbranch_vccnz .LBB23_693
; %bb.686:
	v_cmp_lt_i16_e32 vcc_lo, 25, v6
	s_cbranch_vccz .LBB23_756
; %bb.687:
	v_cmp_lt_i16_e32 vcc_lo, 28, v6
	s_cbranch_vccz .LBB23_758
	;; [unrolled: 3-line block ×4, first 2 shown]
; %bb.690:
	v_cmp_eq_u16_e32 vcc_lo, 46, v6
	s_mov_b32 s39, 0
	s_mov_b32 s2, -1
	s_cbranch_vccz .LBB23_763
; %bb.691:
	v_cvt_f32_f64_e32 v2, v[0:1]
	s_mov_b32 s3, -1
	s_mov_b32 s2, 0
	s_delay_alu instid0(VALU_DEP_1) | instskip(SKIP_1) | instid1(VALU_DEP_2)
	v_bfe_u32 v3, v2, 16, 1
	v_cmp_o_f32_e32 vcc_lo, v2, v2
	v_add3_u32 v3, v2, v3, 0x7fff
	s_delay_alu instid0(VALU_DEP_1) | instskip(NEXT) | instid1(VALU_DEP_1)
	v_lshrrev_b32_e32 v3, 16, v3
	v_cndmask_b32_e32 v2, 0x7fc0, v3, vcc_lo
	global_store_b32 v[4:5], v2, off
	s_branch .LBB23_763
.LBB23_692:
	s_mov_b32 s3, 0
	s_mov_b32 s2, s34
	s_branch .LBB23_733
.LBB23_693:
	s_and_b32 vcc_lo, exec_lo, s39
	s_cbranch_vccz .LBB23_832
; %bb.694:
	v_cmp_gt_i16_e32 vcc_lo, 5, v6
	s_mov_b32 s3, -1
	s_cbranch_vccnz .LBB23_715
; %bb.695:
	v_cmp_gt_i16_e32 vcc_lo, 8, v6
	s_cbranch_vccnz .LBB23_705
; %bb.696:
	v_cmp_gt_i16_e32 vcc_lo, 9, v6
	s_cbranch_vccnz .LBB23_702
; %bb.697:
	v_cmp_lt_i16_e32 vcc_lo, 9, v6
	s_cbranch_vccz .LBB23_699
; %bb.698:
	v_mov_b32_e32 v2, 0
	s_mov_b32 s3, 0
	s_delay_alu instid0(VALU_DEP_1)
	v_mov_b32_e32 v3, v2
	global_store_b128 v[4:5], v[0:3], off
.LBB23_699:
	s_and_not1_b32 vcc_lo, exec_lo, s3
	s_cbranch_vccnz .LBB23_701
; %bb.700:
	v_cvt_f32_f64_e32 v2, v[0:1]
	v_mov_b32_e32 v3, 0
	global_store_b64 v[4:5], v[2:3], off
.LBB23_701:
	s_mov_b32 s3, 0
.LBB23_702:
	s_delay_alu instid0(SALU_CYCLE_1)
	s_and_not1_b32 vcc_lo, exec_lo, s3
	s_cbranch_vccnz .LBB23_704
; %bb.703:
	v_cvt_f32_f64_e32 v2, v[0:1]
	s_delay_alu instid0(VALU_DEP_1) | instskip(NEXT) | instid1(VALU_DEP_1)
	v_cvt_f16_f32_e32 v2, v2
	v_and_b32_e32 v2, 0xffff, v2
	global_store_b32 v[4:5], v2, off
.LBB23_704:
	s_mov_b32 s3, 0
.LBB23_705:
	s_delay_alu instid0(SALU_CYCLE_1)
	s_and_not1_b32 vcc_lo, exec_lo, s3
	s_cbranch_vccnz .LBB23_714
; %bb.706:
	v_cmp_gt_i16_e32 vcc_lo, 6, v6
	s_mov_b32 s3, -1
	s_cbranch_vccnz .LBB23_712
; %bb.707:
	v_cmp_lt_i16_e32 vcc_lo, 6, v6
	s_cbranch_vccz .LBB23_709
; %bb.708:
	s_mov_b32 s3, 0
	global_store_b64 v[4:5], v[0:1], off
.LBB23_709:
	s_and_not1_b32 vcc_lo, exec_lo, s3
	s_cbranch_vccnz .LBB23_711
; %bb.710:
	v_cvt_f32_f64_e32 v2, v[0:1]
	global_store_b32 v[4:5], v2, off
.LBB23_711:
	s_mov_b32 s3, 0
.LBB23_712:
	s_delay_alu instid0(SALU_CYCLE_1)
	s_and_not1_b32 vcc_lo, exec_lo, s3
	s_cbranch_vccnz .LBB23_714
; %bb.713:
	v_cvt_f32_f64_e32 v2, v[0:1]
	s_delay_alu instid0(VALU_DEP_1)
	v_cvt_f16_f32_e32 v2, v2
	global_store_b16 v[4:5], v2, off
.LBB23_714:
	s_mov_b32 s3, 0
.LBB23_715:
	s_delay_alu instid0(SALU_CYCLE_1)
	s_and_not1_b32 vcc_lo, exec_lo, s3
	s_cbranch_vccnz .LBB23_731
; %bb.716:
	v_cmp_gt_i16_e32 vcc_lo, 2, v6
	s_mov_b32 s3, -1
	s_cbranch_vccnz .LBB23_726
; %bb.717:
	v_cmp_gt_i16_e32 vcc_lo, 3, v6
	s_cbranch_vccnz .LBB23_723
; %bb.718:
	v_cmp_lt_i16_e32 vcc_lo, 3, v6
	s_cbranch_vccz .LBB23_720
; %bb.719:
	v_trunc_f64_e32 v[2:3], v[0:1]
	s_mov_b32 s3, 0
	s_delay_alu instid0(VALU_DEP_1) | instskip(NEXT) | instid1(VALU_DEP_1)
	v_ldexp_f64 v[7:8], v[2:3], 0xffffffe0
	v_floor_f64_e32 v[7:8], v[7:8]
	s_delay_alu instid0(VALU_DEP_1) | instskip(SKIP_1) | instid1(VALU_DEP_2)
	v_fma_f64 v[2:3], 0xc1f00000, v[7:8], v[2:3]
	v_cvt_i32_f64_e32 v8, v[7:8]
	v_cvt_u32_f64_e32 v7, v[2:3]
	global_store_b64 v[4:5], v[7:8], off
.LBB23_720:
	s_and_not1_b32 vcc_lo, exec_lo, s3
	s_cbranch_vccnz .LBB23_722
; %bb.721:
	v_cvt_i32_f64_e32 v2, v[0:1]
	global_store_b32 v[4:5], v2, off
.LBB23_722:
	s_mov_b32 s3, 0
.LBB23_723:
	s_delay_alu instid0(SALU_CYCLE_1)
	s_and_not1_b32 vcc_lo, exec_lo, s3
	s_cbranch_vccnz .LBB23_725
; %bb.724:
	v_cvt_i32_f64_e32 v2, v[0:1]
	global_store_b16 v[4:5], v2, off
.LBB23_725:
	s_mov_b32 s3, 0
.LBB23_726:
	s_delay_alu instid0(SALU_CYCLE_1)
	s_and_not1_b32 vcc_lo, exec_lo, s3
	s_cbranch_vccnz .LBB23_731
; %bb.727:
	v_cmp_lt_i16_e32 vcc_lo, 0, v6
	s_mov_b32 s3, -1
	s_cbranch_vccz .LBB23_729
; %bb.728:
	v_cvt_i32_f64_e32 v2, v[0:1]
	s_mov_b32 s3, 0
	global_store_b8 v[4:5], v2, off
.LBB23_729:
	s_and_not1_b32 vcc_lo, exec_lo, s3
	s_cbranch_vccnz .LBB23_731
; %bb.730:
	v_trunc_f64_e32 v[0:1], v[0:1]
	s_delay_alu instid0(VALU_DEP_1) | instskip(NEXT) | instid1(VALU_DEP_1)
	v_ldexp_f64 v[2:3], v[0:1], 0xffffffe0
	v_floor_f64_e32 v[2:3], v[2:3]
	s_delay_alu instid0(VALU_DEP_1) | instskip(NEXT) | instid1(VALU_DEP_1)
	v_fma_f64 v[0:1], 0xc1f00000, v[2:3], v[0:1]
	v_cvt_u32_f64_e32 v0, v[0:1]
	global_store_b8 v[4:5], v0, off
.LBB23_731:
	s_branch .LBB23_833
.LBB23_732:
	s_mov_b32 s3, 0
.LBB23_733:
                                        ; implicit-def: $vgpr11
.LBB23_734:
	s_and_not1_b32 s39, s34, exec_lo
	s_and_b32 s2, s2, exec_lo
	s_and_b32 s40, s40, exec_lo
	s_or_b32 s39, s39, s2
	s_and_not1_b32 s2, s35, exec_lo
	s_and_not1_b32 s42, s36, exec_lo
	s_and_b32 s38, s38, exec_lo
	s_or_b32 s40, s2, s40
	s_or_b32 s38, s42, s38
	s_or_not1_b32 s43, s3, exec_lo
.LBB23_735:
	s_or_b32 exec_lo, exec_lo, s41
	s_mov_b32 s3, 0
	s_mov_b32 s42, 0
	;; [unrolled: 1-line block ×3, first 2 shown]
                                        ; implicit-def: $vgpr7
                                        ; implicit-def: $vgpr5_vgpr6
                                        ; implicit-def: $vgpr2
                                        ; implicit-def: $vgpr0
                                        ; implicit-def: $vgpr3_vgpr4
	s_and_saveexec_b32 s41, s43
	s_cbranch_execz .LBB23_1316
; %bb.736:
	s_mov_b32 s47, -1
	s_mov_b32 s43, s38
	s_mov_b32 s44, s40
	;; [unrolled: 1-line block ×3, first 2 shown]
	s_mov_b32 s42, exec_lo
	v_cmpx_gt_i32_e64 s31, v11
	s_cbranch_execz .LBB23_1147
; %bb.737:
	s_and_not1_b32 vcc_lo, exec_lo, s27
	s_cbranch_vccnz .LBB23_743
; %bb.738:
	v_dual_mov_b32 v2, 0 :: v_dual_mov_b32 v1, 0
	v_mov_b32_e32 v0, 0
	s_and_not1_b32 vcc_lo, exec_lo, s33
	s_mov_b32 s43, 0
	s_cbranch_vccnz .LBB23_744
; %bb.739:
	s_add_i32 s2, s30, 1
	v_dual_mov_b32 v0, 0 :: v_dual_mov_b32 v1, 0
	s_waitcnt vmcnt(0)
	v_dual_mov_b32 v2, 0 :: v_dual_mov_b32 v3, v11
	s_and_b32 s44, s2, 30
	s_add_u32 s2, s16, 0xffffffec
	s_addc_u32 s3, s17, -1
	s_set_inst_prefetch_distance 0x1
	.p2align	6
.LBB23_740:                             ; =>This Inner Loop Header: Depth=1
	s_clause 0x2
	s_load_b128 s[48:51], s[2:3], 0x18
	s_load_b64 s[46:47], s[2:3], 0x28
	s_load_b128 s[52:55], s[2:3], 0xd8
	s_waitcnt lgkmcnt(0)
	v_mul_hi_u32 v4, s49, v3
	s_delay_alu instid0(VALU_DEP_1) | instskip(NEXT) | instid1(VALU_DEP_1)
	v_add_nc_u32_e32 v4, v3, v4
	v_lshrrev_b32_e32 v4, s50, v4
	s_delay_alu instid0(VALU_DEP_1)
	v_mul_hi_u32 v5, s46, v4
	v_mul_lo_u32 v6, v4, s48
	s_load_b64 s[48:49], s[2:3], 0xe8
	s_add_u32 s2, s2, 24
	s_addc_u32 s3, s3, 0
	s_add_i32 s44, s44, -2
	s_delay_alu instid0(SALU_CYCLE_1) | instskip(NEXT) | instid1(VALU_DEP_2)
	s_cmp_eq_u32 s44, 0
	v_add_nc_u32_e32 v5, v4, v5
	s_delay_alu instid0(VALU_DEP_2) | instskip(NEXT) | instid1(VALU_DEP_2)
	v_sub_nc_u32_e32 v6, v3, v6
	v_lshrrev_b32_e32 v3, s47, v5
	s_delay_alu instid0(VALU_DEP_2) | instskip(NEXT) | instid1(VALU_DEP_2)
	v_mul_lo_u32 v7, v6, s52
	v_mul_lo_u32 v5, v3, s51
	s_delay_alu instid0(VALU_DEP_1) | instskip(SKIP_2) | instid1(VALU_DEP_3)
	v_sub_nc_u32_e32 v4, v4, v5
	v_mul_lo_u32 v5, v6, s53
	v_mul_lo_u32 v6, v6, s54
	;; [unrolled: 1-line block ×3, first 2 shown]
	s_waitcnt lgkmcnt(0)
	v_mul_lo_u32 v13, v4, s48
	v_mul_lo_u32 v4, v4, s49
	s_delay_alu instid0(VALU_DEP_3) | instskip(NEXT) | instid1(VALU_DEP_3)
	v_add3_u32 v2, v7, v2, v8
	v_add3_u32 v1, v5, v1, v13
	s_delay_alu instid0(VALU_DEP_3)
	v_add3_u32 v0, v6, v0, v4
	s_cbranch_scc0 .LBB23_740
; %bb.741:
	s_set_inst_prefetch_distance 0x2
	s_bitcmp1_b32 s30, 0
	s_cselect_b32 s44, -1, 0
	s_delay_alu instid0(SALU_CYCLE_1)
	s_and_b32 vcc_lo, exec_lo, s44
	s_cbranch_vccnz .LBB23_744
; %bb.742:
	s_clause 0x3
	s_load_b64 s[44:45], s[2:3], 0x18
	s_load_b32 s48, s[2:3], 0x20
	s_load_b64 s[46:47], s[2:3], 0xd8
	s_load_b32 s2, s[2:3], 0xe0
	s_waitcnt lgkmcnt(0)
	v_mul_hi_u32 v4, s45, v3
	s_delay_alu instid0(VALU_DEP_1) | instskip(NEXT) | instid1(VALU_DEP_1)
	v_add_nc_u32_e32 v4, v3, v4
	v_lshrrev_b32_e32 v4, s48, v4
	s_delay_alu instid0(VALU_DEP_1) | instskip(NEXT) | instid1(VALU_DEP_1)
	v_mul_lo_u32 v4, v4, s44
	v_sub_nc_u32_e32 v7, v3, v4
	s_delay_alu instid0(VALU_DEP_1) | instskip(SKIP_2) | instid1(VALU_DEP_2)
	v_mad_u64_u32 v[3:4], null, v7, s46, v[2:3]
	v_mad_u64_u32 v[4:5], null, v7, s47, v[1:2]
	;; [unrolled: 1-line block ×3, first 2 shown]
	v_dual_mov_b32 v2, v3 :: v_dual_mov_b32 v1, v4
	s_delay_alu instid0(VALU_DEP_2)
	v_mov_b32_e32 v0, v5
	s_branch .LBB23_744
.LBB23_743:
	s_mov_b32 s43, -1
                                        ; implicit-def: $vgpr2
                                        ; implicit-def: $vgpr1
                                        ; implicit-def: $vgpr0
.LBB23_744:
	s_delay_alu instid0(SALU_CYCLE_1)
	s_and_not1_b32 vcc_lo, exec_lo, s43
	s_cbranch_vccnz .LBB23_747
; %bb.745:
	s_waitcnt lgkmcnt(0)
	v_mul_hi_u32 v0, s13, v11
	s_and_not1_b32 vcc_lo, exec_lo, s29
	s_delay_alu instid0(VALU_DEP_1) | instskip(SKIP_1) | instid1(VALU_DEP_1)
	v_add_nc_u32_e32 v0, v11, v0
	s_waitcnt vmcnt(0)
	v_lshrrev_b32_e32 v3, s14, v0
	s_delay_alu instid0(VALU_DEP_1) | instskip(NEXT) | instid1(VALU_DEP_1)
	v_mul_lo_u32 v0, v3, s12
	v_sub_nc_u32_e32 v0, v11, v0
	s_delay_alu instid0(VALU_DEP_1)
	v_mul_lo_u32 v2, v0, s8
	v_mul_lo_u32 v1, v0, s9
	v_mul_lo_u32 v0, v0, s10
	s_cbranch_vccnz .LBB23_747
; %bb.746:
	v_mul_hi_u32 v4, s22, v3
	s_delay_alu instid0(VALU_DEP_1) | instskip(NEXT) | instid1(VALU_DEP_1)
	v_add_nc_u32_e32 v4, v3, v4
	v_lshrrev_b32_e32 v4, s23, v4
	s_delay_alu instid0(VALU_DEP_1) | instskip(NEXT) | instid1(VALU_DEP_1)
	v_mul_lo_u32 v4, v4, s15
	v_sub_nc_u32_e32 v7, v3, v4
	s_delay_alu instid0(VALU_DEP_1) | instskip(SKIP_2) | instid1(VALU_DEP_2)
	v_mad_u64_u32 v[3:4], null, v7, s11, v[2:3]
	v_mad_u64_u32 v[4:5], null, v7, s20, v[1:2]
	;; [unrolled: 1-line block ×3, first 2 shown]
	v_dual_mov_b32 v2, v3 :: v_dual_mov_b32 v1, v4
	s_delay_alu instid0(VALU_DEP_2)
	v_mov_b32_e32 v0, v5
.LBB23_747:
	v_and_b32_e32 v7, 0xff, v12
	s_waitcnt vmcnt(0) lgkmcnt(0)
	s_delay_alu instid0(VALU_DEP_3) | instskip(NEXT) | instid1(VALU_DEP_1)
	v_add_co_u32 v5, s2, s6, v1
	v_add_co_ci_u32_e64 v6, null, s7, 0, s2
	s_delay_alu instid0(VALU_DEP_3)
	v_cmp_gt_i16_e32 vcc_lo, 11, v7
	s_mov_b32 s2, 0
	s_cbranch_vccnz .LBB23_754
; %bb.748:
	v_cmp_lt_i16_e32 vcc_lo, 25, v7
	s_cbranch_vccz .LBB23_755
; %bb.749:
	v_cmp_lt_i16_e32 vcc_lo, 28, v7
	s_cbranch_vccz .LBB23_757
	;; [unrolled: 3-line block ×4, first 2 shown]
; %bb.752:
	v_cmp_eq_u16_e32 vcc_lo, 46, v7
	s_mov_b32 s3, 0
	s_cbranch_vccz .LBB23_834
; %bb.753:
	global_load_b32 v1, v[5:6], off
	s_mov_b32 s2, -1
	s_mov_b32 s43, 0
	s_waitcnt vmcnt(0)
	v_lshlrev_b32_e32 v1, 16, v1
	s_delay_alu instid0(VALU_DEP_1)
	v_cvt_f64_f32_e32 v[3:4], v1
	s_branch .LBB23_836
.LBB23_754:
	s_mov_b32 s3, -1
	s_mov_b32 s43, s38
                                        ; implicit-def: $vgpr3_vgpr4
	s_branch .LBB23_903
.LBB23_755:
	s_mov_b32 s3, -1
	s_mov_b32 s43, s38
                                        ; implicit-def: $vgpr3_vgpr4
	s_branch .LBB23_869
.LBB23_756:
	s_mov_b32 s2, s34
	s_branch .LBB23_790
.LBB23_757:
	s_mov_b32 s3, -1
	s_mov_b32 s43, s38
                                        ; implicit-def: $vgpr3_vgpr4
	s_branch .LBB23_848
.LBB23_758:
	s_mov_b32 s2, s34
	s_branch .LBB23_773
.LBB23_759:
	s_mov_b32 s3, -1
	s_mov_b32 s43, s38
                                        ; implicit-def: $vgpr3_vgpr4
	s_branch .LBB23_843
.LBB23_760:
	s_mov_b32 s2, s34
	s_branch .LBB23_769
.LBB23_761:
	s_mov_b32 s3, -1
	s_mov_b32 s43, s38
	s_branch .LBB23_835
.LBB23_762:
	s_mov_b32 s2, s34
.LBB23_763:
	s_and_b32 vcc_lo, exec_lo, s39
	s_cbranch_vccz .LBB23_768
; %bb.764:
	v_cmp_eq_u16_e32 vcc_lo, 44, v6
	s_mov_b32 s2, -1
	s_cbranch_vccz .LBB23_768
; %bb.765:
	v_cvt_f32_f64_e32 v2, v[0:1]
	v_mov_b32_e32 v3, 0xff
	s_mov_b32 s3, exec_lo
	s_delay_alu instid0(VALU_DEP_2) | instskip(NEXT) | instid1(VALU_DEP_1)
	v_bfe_u32 v7, v2, 23, 8
	v_cmpx_ne_u32_e32 0xff, v7
; %bb.766:
	v_and_b32_e32 v3, 0x400000, v2
	v_and_or_b32 v7, 0x3fffff, v2, v7
	v_lshrrev_b32_e32 v2, 23, v2
	s_delay_alu instid0(VALU_DEP_3) | instskip(NEXT) | instid1(VALU_DEP_3)
	v_cmp_ne_u32_e32 vcc_lo, 0, v3
	v_cmp_ne_u32_e64 s2, 0, v7
	s_delay_alu instid0(VALU_DEP_1) | instskip(NEXT) | instid1(SALU_CYCLE_1)
	s_and_b32 s2, vcc_lo, s2
	v_cndmask_b32_e64 v3, 0, 1, s2
	s_delay_alu instid0(VALU_DEP_1)
	v_add_nc_u32_e32 v3, v2, v3
; %bb.767:
	s_or_b32 exec_lo, exec_lo, s3
	s_mov_b32 s3, -1
	s_mov_b32 s2, 0
	global_store_b8 v[4:5], v3, off
.LBB23_768:
	s_mov_b32 s39, 0
.LBB23_769:
	s_delay_alu instid0(SALU_CYCLE_1)
	s_and_b32 vcc_lo, exec_lo, s39
	s_cbranch_vccz .LBB23_772
; %bb.770:
	v_cmp_eq_u16_e32 vcc_lo, 29, v6
	s_mov_b32 s2, -1
	s_cbranch_vccz .LBB23_772
; %bb.771:
	v_trunc_f64_e32 v[2:3], v[0:1]
	s_mov_b32 s3, -1
	s_mov_b32 s2, 0
	s_mov_b32 s39, 0
	s_delay_alu instid0(VALU_DEP_1) | instskip(NEXT) | instid1(VALU_DEP_1)
	v_ldexp_f64 v[7:8], v[2:3], 0xffffffe0
	v_floor_f64_e32 v[7:8], v[7:8]
	s_delay_alu instid0(VALU_DEP_1) | instskip(SKIP_1) | instid1(VALU_DEP_2)
	v_fma_f64 v[2:3], 0xc1f00000, v[7:8], v[2:3]
	v_cvt_u32_f64_e32 v8, v[7:8]
	v_cvt_u32_f64_e32 v7, v[2:3]
	global_store_b64 v[4:5], v[7:8], off
	s_branch .LBB23_773
.LBB23_772:
	s_mov_b32 s39, 0
.LBB23_773:
	s_delay_alu instid0(SALU_CYCLE_1)
	s_and_b32 vcc_lo, exec_lo, s39
	s_cbranch_vccz .LBB23_789
; %bb.774:
	v_cmp_gt_i16_e32 vcc_lo, 27, v6
	s_mov_b32 s3, -1
	s_cbranch_vccnz .LBB23_780
; %bb.775:
	v_cmp_lt_i16_e32 vcc_lo, 27, v6
	s_cbranch_vccz .LBB23_777
; %bb.776:
	v_cvt_u32_f64_e32 v2, v[0:1]
	s_mov_b32 s3, 0
	global_store_b32 v[4:5], v2, off
.LBB23_777:
	s_and_not1_b32 vcc_lo, exec_lo, s3
	s_cbranch_vccnz .LBB23_779
; %bb.778:
	v_cvt_u32_f64_e32 v2, v[0:1]
	global_store_b16 v[4:5], v2, off
.LBB23_779:
	s_mov_b32 s3, 0
.LBB23_780:
	s_delay_alu instid0(SALU_CYCLE_1)
	s_and_not1_b32 vcc_lo, exec_lo, s3
	s_cbranch_vccnz .LBB23_788
; %bb.781:
	v_cvt_f32_f64_e32 v2, v[0:1]
	v_mov_b32_e32 v7, 0x80
	s_mov_b32 s3, exec_lo
	s_delay_alu instid0(VALU_DEP_2) | instskip(NEXT) | instid1(VALU_DEP_1)
	v_and_b32_e32 v3, 0x7fffffff, v2
	v_cmpx_gt_u32_e32 0x43800000, v3
	s_cbranch_execz .LBB23_787
; %bb.782:
	v_cmp_lt_u32_e32 vcc_lo, 0x3bffffff, v3
	s_mov_b32 s39, 0
                                        ; implicit-def: $vgpr3
	s_and_saveexec_b32 s42, vcc_lo
	s_delay_alu instid0(SALU_CYCLE_1)
	s_xor_b32 s42, exec_lo, s42
	s_cbranch_execz .LBB23_839
; %bb.783:
	v_bfe_u32 v3, v2, 20, 1
	s_mov_b32 s39, exec_lo
	s_delay_alu instid0(VALU_DEP_1) | instskip(NEXT) | instid1(VALU_DEP_1)
	v_add3_u32 v3, v2, v3, 0x487ffff
	v_lshrrev_b32_e32 v3, 20, v3
	s_or_saveexec_b32 s42, s42
                                        ; implicit-def: $sgpr43
	s_delay_alu instid0(SALU_CYCLE_1)
	s_xor_b32 exec_lo, exec_lo, s42
	s_cbranch_execnz .LBB23_840
.LBB23_784:
	s_or_b32 exec_lo, exec_lo, s42
	v_mov_b32_e32 v7, s43
	s_and_saveexec_b32 s42, s39
.LBB23_785:
	v_lshrrev_b32_e32 v2, 24, v2
	s_delay_alu instid0(VALU_DEP_1)
	v_and_or_b32 v7, 0x80, v2, v3
.LBB23_786:
	s_or_b32 exec_lo, exec_lo, s42
.LBB23_787:
	s_delay_alu instid0(SALU_CYCLE_1)
	s_or_b32 exec_lo, exec_lo, s3
	global_store_b8 v[4:5], v7, off
.LBB23_788:
	s_mov_b32 s3, -1
.LBB23_789:
	s_mov_b32 s39, 0
.LBB23_790:
	s_delay_alu instid0(SALU_CYCLE_1)
	s_and_b32 vcc_lo, exec_lo, s39
	s_cbranch_vccz .LBB23_831
; %bb.791:
	v_cmp_lt_i16_e32 vcc_lo, 22, v6
	s_mov_b32 s39, -1
	s_cbranch_vccz .LBB23_823
; %bb.792:
	v_cmp_gt_i16_e32 vcc_lo, 24, v6
	s_mov_b32 s3, -1
	s_cbranch_vccnz .LBB23_812
; %bb.793:
	v_cmp_lt_i16_e32 vcc_lo, 24, v6
	s_cbranch_vccz .LBB23_801
; %bb.794:
	v_cvt_f32_f64_e32 v2, v[0:1]
	v_mov_b32_e32 v7, 0x80
	s_mov_b32 s3, exec_lo
	s_delay_alu instid0(VALU_DEP_2) | instskip(NEXT) | instid1(VALU_DEP_1)
	v_and_b32_e32 v3, 0x7fffffff, v2
	v_cmpx_gt_u32_e32 0x47800000, v3
	s_cbranch_execz .LBB23_800
; %bb.795:
	v_cmp_lt_u32_e32 vcc_lo, 0x37ffffff, v3
	s_mov_b32 s39, 0
                                        ; implicit-def: $vgpr3
	s_and_saveexec_b32 s42, vcc_lo
	s_delay_alu instid0(SALU_CYCLE_1)
	s_xor_b32 s42, exec_lo, s42
	s_cbranch_execz .LBB23_966
; %bb.796:
	v_bfe_u32 v3, v2, 21, 1
	s_mov_b32 s39, exec_lo
	s_delay_alu instid0(VALU_DEP_1) | instskip(NEXT) | instid1(VALU_DEP_1)
	v_add3_u32 v3, v2, v3, 0x88fffff
	v_lshrrev_b32_e32 v3, 21, v3
	s_or_saveexec_b32 s42, s42
                                        ; implicit-def: $sgpr43
	s_delay_alu instid0(SALU_CYCLE_1)
	s_xor_b32 exec_lo, exec_lo, s42
	s_cbranch_execnz .LBB23_967
.LBB23_797:
	s_or_b32 exec_lo, exec_lo, s42
	v_mov_b32_e32 v7, s43
	s_and_saveexec_b32 s42, s39
.LBB23_798:
	v_lshrrev_b32_e32 v2, 24, v2
	s_delay_alu instid0(VALU_DEP_1)
	v_and_or_b32 v7, 0x80, v2, v3
.LBB23_799:
	s_or_b32 exec_lo, exec_lo, s42
.LBB23_800:
	s_delay_alu instid0(SALU_CYCLE_1)
	s_or_b32 exec_lo, exec_lo, s3
	s_mov_b32 s3, 0
	global_store_b8 v[4:5], v7, off
.LBB23_801:
	s_and_b32 vcc_lo, exec_lo, s3
	s_cbranch_vccz .LBB23_811
; %bb.802:
	v_cvt_f32_f64_e32 v2, v[0:1]
	s_mov_b32 s3, exec_lo
                                        ; implicit-def: $vgpr3
	s_delay_alu instid0(VALU_DEP_1) | instskip(NEXT) | instid1(VALU_DEP_1)
	v_and_b32_e32 v7, 0x7fffffff, v2
	v_cmpx_gt_u32_e32 0x43f00000, v7
	s_xor_b32 s3, exec_lo, s3
	s_cbranch_execz .LBB23_808
; %bb.803:
	s_mov_b32 s39, exec_lo
                                        ; implicit-def: $vgpr3
	v_cmpx_lt_u32_e32 0x3c7fffff, v7
	s_xor_b32 s39, exec_lo, s39
; %bb.804:
	v_bfe_u32 v3, v2, 20, 1
	s_delay_alu instid0(VALU_DEP_1) | instskip(NEXT) | instid1(VALU_DEP_1)
	v_add3_u32 v3, v2, v3, 0x407ffff
	v_and_b32_e32 v7, 0xff00000, v3
	v_lshrrev_b32_e32 v3, 20, v3
	s_delay_alu instid0(VALU_DEP_2) | instskip(NEXT) | instid1(VALU_DEP_2)
	v_cmp_ne_u32_e32 vcc_lo, 0x7f00000, v7
	v_cndmask_b32_e32 v3, 0x7e, v3, vcc_lo
; %bb.805:
	s_and_not1_saveexec_b32 s39, s39
; %bb.806:
	v_add_f32_e64 v3, 0x46800000, |v2|
; %bb.807:
	s_or_b32 exec_lo, exec_lo, s39
                                        ; implicit-def: $vgpr7
.LBB23_808:
	s_and_not1_saveexec_b32 s3, s3
; %bb.809:
	v_mov_b32_e32 v3, 0x7f
	v_cmp_lt_u32_e32 vcc_lo, 0x7f800000, v7
	s_delay_alu instid0(VALU_DEP_2)
	v_cndmask_b32_e32 v3, 0x7e, v3, vcc_lo
; %bb.810:
	s_or_b32 exec_lo, exec_lo, s3
	v_lshrrev_b32_e32 v2, 24, v2
	s_delay_alu instid0(VALU_DEP_1)
	v_and_or_b32 v2, 0x80, v2, v3
	global_store_b8 v[4:5], v2, off
.LBB23_811:
	s_mov_b32 s3, 0
.LBB23_812:
	s_delay_alu instid0(SALU_CYCLE_1)
	s_and_not1_b32 vcc_lo, exec_lo, s3
	s_cbranch_vccnz .LBB23_822
; %bb.813:
	v_cvt_f32_f64_e32 v2, v[0:1]
	s_mov_b32 s3, exec_lo
                                        ; implicit-def: $vgpr3
	s_delay_alu instid0(VALU_DEP_1) | instskip(NEXT) | instid1(VALU_DEP_1)
	v_and_b32_e32 v7, 0x7fffffff, v2
	v_cmpx_gt_u32_e32 0x47800000, v7
	s_xor_b32 s3, exec_lo, s3
	s_cbranch_execz .LBB23_819
; %bb.814:
	s_mov_b32 s39, exec_lo
                                        ; implicit-def: $vgpr3
	v_cmpx_lt_u32_e32 0x387fffff, v7
	s_xor_b32 s39, exec_lo, s39
; %bb.815:
	v_bfe_u32 v3, v2, 21, 1
	s_delay_alu instid0(VALU_DEP_1) | instskip(NEXT) | instid1(VALU_DEP_1)
	v_add3_u32 v3, v2, v3, 0x80fffff
	v_lshrrev_b32_e32 v3, 21, v3
; %bb.816:
	s_and_not1_saveexec_b32 s39, s39
; %bb.817:
	v_add_f32_e64 v3, 0x43000000, |v2|
; %bb.818:
	s_or_b32 exec_lo, exec_lo, s39
                                        ; implicit-def: $vgpr7
.LBB23_819:
	s_and_not1_saveexec_b32 s3, s3
; %bb.820:
	v_mov_b32_e32 v3, 0x7f
	v_cmp_lt_u32_e32 vcc_lo, 0x7f800000, v7
	s_delay_alu instid0(VALU_DEP_2)
	v_cndmask_b32_e32 v3, 0x7c, v3, vcc_lo
; %bb.821:
	s_or_b32 exec_lo, exec_lo, s3
	v_lshrrev_b32_e32 v2, 24, v2
	s_delay_alu instid0(VALU_DEP_1)
	v_and_or_b32 v2, 0x80, v2, v3
	global_store_b8 v[4:5], v2, off
.LBB23_822:
	s_mov_b32 s39, 0
	s_mov_b32 s3, -1
.LBB23_823:
	s_and_not1_b32 vcc_lo, exec_lo, s39
	s_cbranch_vccnz .LBB23_831
; %bb.824:
	v_cmp_lt_i16_e32 vcc_lo, 14, v6
	s_mov_b32 s39, -1
	s_cbranch_vccz .LBB23_828
; %bb.825:
	v_cmp_eq_u16_e32 vcc_lo, 15, v6
	s_mov_b32 s2, -1
	s_cbranch_vccz .LBB23_827
; %bb.826:
	v_cvt_f32_f64_e32 v2, v[0:1]
	s_mov_b32 s3, -1
	s_mov_b32 s2, 0
	s_delay_alu instid0(VALU_DEP_1) | instskip(SKIP_1) | instid1(VALU_DEP_2)
	v_bfe_u32 v3, v2, 16, 1
	v_cmp_o_f32_e32 vcc_lo, v2, v2
	v_add3_u32 v3, v2, v3, 0x7fff
	s_delay_alu instid0(VALU_DEP_1) | instskip(NEXT) | instid1(VALU_DEP_1)
	v_lshrrev_b32_e32 v3, 16, v3
	v_cndmask_b32_e32 v2, 0x7fc0, v3, vcc_lo
	global_store_b16 v[4:5], v2, off
.LBB23_827:
	s_mov_b32 s39, 0
.LBB23_828:
	s_delay_alu instid0(SALU_CYCLE_1)
	s_and_b32 vcc_lo, exec_lo, s39
	s_cbranch_vccz .LBB23_831
; %bb.829:
	v_cmp_eq_u16_e32 vcc_lo, 11, v6
	s_mov_b32 s2, -1
	s_cbranch_vccz .LBB23_831
; %bb.830:
	v_cmp_neq_f64_e32 vcc_lo, 0, v[0:1]
	s_mov_b32 s3, -1
	s_mov_b32 s2, 0
	v_cndmask_b32_e64 v2, 0, 1, vcc_lo
	global_store_b8 v[4:5], v2, off
.LBB23_831:
.LBB23_832:
	s_and_not1_b32 vcc_lo, exec_lo, s3
	s_cbranch_vccnz .LBB23_732
.LBB23_833:
	v_add_nc_u32_e32 v11, 0x80, v11
	s_mov_b32 s3, -1
	s_branch .LBB23_734
.LBB23_834:
	s_mov_b32 s43, -1
.LBB23_835:
                                        ; implicit-def: $vgpr3_vgpr4
.LBB23_836:
	s_and_b32 vcc_lo, exec_lo, s3
	s_cbranch_vccz .LBB23_842
; %bb.837:
	v_cmp_eq_u16_e32 vcc_lo, 44, v7
	s_cbranch_vccz .LBB23_841
; %bb.838:
	global_load_u8 v1, v[5:6], off
	s_mov_b32 s43, 0
	s_mov_b32 s2, -1
	s_waitcnt vmcnt(0)
	v_cmp_ne_u32_e32 vcc_lo, 0xff, v1
	v_lshlrev_b32_e32 v3, 23, v1
	s_delay_alu instid0(VALU_DEP_1) | instskip(NEXT) | instid1(VALU_DEP_1)
	v_cvt_f64_f32_e32 v[3:4], v3
	v_cndmask_b32_e32 v4, 0x7ff80000, v4, vcc_lo
	s_delay_alu instid0(VALU_DEP_2) | instskip(SKIP_1) | instid1(VALU_DEP_3)
	v_cndmask_b32_e32 v3, 0x20000000, v3, vcc_lo
	v_cmp_ne_u32_e32 vcc_lo, 0, v1
	v_cndmask_b32_e32 v4, 0x38000000, v4, vcc_lo
	s_delay_alu instid0(VALU_DEP_3)
	v_cndmask_b32_e32 v3, 0, v3, vcc_lo
	s_branch .LBB23_842
.LBB23_839:
	s_or_saveexec_b32 s42, s42
                                        ; implicit-def: $sgpr43
	s_delay_alu instid0(SALU_CYCLE_1)
	s_xor_b32 exec_lo, exec_lo, s42
	s_cbranch_execz .LBB23_784
.LBB23_840:
	v_add_f32_e64 v3, 0x46000000, |v2|
	s_and_not1_b32 s39, s39, exec_lo
	s_mov_b32 s43, 0
	s_delay_alu instid0(VALU_DEP_1) | instskip(NEXT) | instid1(VALU_DEP_1)
	v_and_b32_e32 v3, 0xff, v3
	v_cmp_ne_u32_e32 vcc_lo, 0, v3
	s_and_b32 s44, vcc_lo, exec_lo
	s_delay_alu instid0(SALU_CYCLE_1)
	s_or_b32 s39, s39, s44
	s_or_b32 exec_lo, exec_lo, s42
	v_mov_b32_e32 v7, s43
	s_and_saveexec_b32 s42, s39
	s_cbranch_execnz .LBB23_785
	s_branch .LBB23_786
.LBB23_841:
	s_mov_b32 s43, -1
                                        ; implicit-def: $vgpr3_vgpr4
.LBB23_842:
	s_mov_b32 s3, 0
.LBB23_843:
	s_delay_alu instid0(SALU_CYCLE_1)
	s_and_b32 vcc_lo, exec_lo, s3
	s_cbranch_vccz .LBB23_847
; %bb.844:
	v_cmp_eq_u16_e32 vcc_lo, 29, v7
	s_cbranch_vccz .LBB23_846
; %bb.845:
	global_load_b64 v[3:4], v[5:6], off
	s_mov_b32 s2, -1
	s_mov_b32 s43, 0
	s_mov_b32 s3, 0
	s_waitcnt vmcnt(0)
	v_cvt_f64_u32_e32 v[13:14], v4
	v_cvt_f64_u32_e32 v[3:4], v3
	s_delay_alu instid0(VALU_DEP_2) | instskip(NEXT) | instid1(VALU_DEP_1)
	v_ldexp_f64 v[13:14], v[13:14], 32
	v_add_f64 v[3:4], v[13:14], v[3:4]
	s_branch .LBB23_848
.LBB23_846:
	s_mov_b32 s43, -1
                                        ; implicit-def: $vgpr3_vgpr4
.LBB23_847:
	s_mov_b32 s3, 0
.LBB23_848:
	s_delay_alu instid0(SALU_CYCLE_1)
	s_and_b32 vcc_lo, exec_lo, s3
	s_cbranch_vccz .LBB23_868
; %bb.849:
	v_cmp_gt_i16_e32 vcc_lo, 27, v7
	s_cbranch_vccnz .LBB23_852
; %bb.850:
	v_cmp_lt_i16_e32 vcc_lo, 27, v7
	s_cbranch_vccz .LBB23_853
; %bb.851:
	global_load_b32 v1, v[5:6], off
	s_mov_b32 s2, 0
	s_waitcnt vmcnt(0)
	v_cvt_f64_u32_e32 v[3:4], v1
	s_branch .LBB23_854
.LBB23_852:
	s_mov_b32 s2, -1
                                        ; implicit-def: $vgpr3_vgpr4
	s_branch .LBB23_857
.LBB23_853:
	s_mov_b32 s2, -1
                                        ; implicit-def: $vgpr3_vgpr4
.LBB23_854:
	s_delay_alu instid0(SALU_CYCLE_1)
	s_and_not1_b32 vcc_lo, exec_lo, s2
	s_cbranch_vccnz .LBB23_856
; %bb.855:
	global_load_u16 v1, v[5:6], off
	s_waitcnt vmcnt(0)
	v_cvt_f64_u32_e32 v[3:4], v1
.LBB23_856:
	s_mov_b32 s2, 0
.LBB23_857:
	s_delay_alu instid0(SALU_CYCLE_1)
	s_and_not1_b32 vcc_lo, exec_lo, s2
	s_cbranch_vccnz .LBB23_867
; %bb.858:
	global_load_u8 v1, v[5:6], off
	s_mov_b32 s44, 0
	s_mov_b32 s45, exec_lo
                                        ; implicit-def: $sgpr2_sgpr3
	s_waitcnt vmcnt(0)
	v_cmpx_lt_i16_e32 0x7f, v1
	s_xor_b32 s45, exec_lo, s45
	s_cbranch_execz .LBB23_862
; %bb.859:
	s_mov_b32 s46, -1
	s_mov_b32 s44, exec_lo
                                        ; implicit-def: $sgpr2_sgpr3
	v_cmpx_eq_u16_e32 0x80, v1
; %bb.860:
	s_mov_b32 s3, 0x7ff80000
	s_brev_b32 s2, 4
	s_xor_b32 s46, exec_lo, -1
; %bb.861:
	s_or_b32 exec_lo, exec_lo, s44
	s_delay_alu instid0(SALU_CYCLE_1)
	s_and_b32 s44, s46, exec_lo
.LBB23_862:
	s_or_saveexec_b32 s45, s45
	v_dual_mov_b32 v4, s3 :: v_dual_mov_b32 v3, s2
	s_xor_b32 exec_lo, exec_lo, s45
; %bb.863:
	v_cmp_ne_u16_e32 vcc_lo, 0, v1
	v_mov_b32_e32 v3, 0
	v_mov_b32_e32 v4, 0
	s_and_not1_b32 s2, s44, exec_lo
	s_and_b32 s3, vcc_lo, exec_lo
	s_delay_alu instid0(SALU_CYCLE_1)
	s_or_b32 s44, s2, s3
; %bb.864:
	s_or_b32 exec_lo, exec_lo, s45
	s_and_saveexec_b32 s2, s44
	s_cbranch_execz .LBB23_866
; %bb.865:
	v_and_b32_e32 v3, 0xffff, v1
	v_lshlrev_b32_e32 v1, 24, v1
	s_delay_alu instid0(VALU_DEP_2) | instskip(NEXT) | instid1(VALU_DEP_2)
	v_and_b32_e32 v4, 7, v3
	v_and_b32_e32 v1, 0x80000000, v1
	s_delay_alu instid0(VALU_DEP_2) | instskip(NEXT) | instid1(VALU_DEP_1)
	v_clz_i32_u32_e32 v8, v4
	v_min_u32_e32 v8, 32, v8
	s_delay_alu instid0(VALU_DEP_1) | instskip(SKIP_1) | instid1(VALU_DEP_2)
	v_subrev_nc_u32_e32 v13, 28, v8
	v_sub_nc_u32_e32 v8, 29, v8
	v_lshlrev_b32_e32 v13, v13, v3
	v_bfe_u32 v3, v3, 3, 4
	s_delay_alu instid0(VALU_DEP_2) | instskip(NEXT) | instid1(VALU_DEP_2)
	v_and_b32_e32 v13, 7, v13
	v_cmp_eq_u32_e32 vcc_lo, 0, v3
	s_delay_alu instid0(VALU_DEP_2) | instskip(NEXT) | instid1(VALU_DEP_1)
	v_dual_cndmask_b32 v3, v3, v8 :: v_dual_cndmask_b32 v4, v4, v13
	v_lshl_add_u32 v3, v3, 23, 0x3b800000
	s_delay_alu instid0(VALU_DEP_2) | instskip(NEXT) | instid1(VALU_DEP_1)
	v_lshlrev_b32_e32 v4, 20, v4
	v_or3_b32 v1, v1, v3, v4
	s_delay_alu instid0(VALU_DEP_1)
	v_cvt_f64_f32_e32 v[3:4], v1
.LBB23_866:
	s_or_b32 exec_lo, exec_lo, s2
.LBB23_867:
	s_mov_b32 s2, -1
.LBB23_868:
	s_mov_b32 s3, 0
.LBB23_869:
	s_delay_alu instid0(SALU_CYCLE_1)
	s_and_b32 vcc_lo, exec_lo, s3
	s_cbranch_vccz .LBB23_902
; %bb.870:
	v_cmp_lt_i16_e32 vcc_lo, 22, v7
	s_cbranch_vccz .LBB23_882
; %bb.871:
	v_cmp_gt_i16_e32 vcc_lo, 24, v7
	s_cbranch_vccnz .LBB23_883
; %bb.872:
	v_cmp_lt_i16_e32 vcc_lo, 24, v7
	s_cbranch_vccz .LBB23_884
; %bb.873:
	global_load_u8 v1, v[5:6], off
	s_mov_b32 s44, 0
	s_mov_b32 s45, exec_lo
                                        ; implicit-def: $sgpr2_sgpr3
	s_waitcnt vmcnt(0)
	v_cmpx_lt_i16_e32 0x7f, v1
	s_xor_b32 s45, exec_lo, s45
	s_cbranch_execz .LBB23_877
; %bb.874:
	s_mov_b32 s46, -1
	s_mov_b32 s44, exec_lo
                                        ; implicit-def: $sgpr2_sgpr3
	v_cmpx_eq_u16_e32 0x80, v1
; %bb.875:
	s_mov_b32 s3, 0x7ff80000
	s_brev_b32 s2, 4
	s_xor_b32 s46, exec_lo, -1
; %bb.876:
	s_or_b32 exec_lo, exec_lo, s44
	s_delay_alu instid0(SALU_CYCLE_1)
	s_and_b32 s44, s46, exec_lo
.LBB23_877:
	s_or_saveexec_b32 s45, s45
	v_dual_mov_b32 v4, s3 :: v_dual_mov_b32 v3, s2
	s_xor_b32 exec_lo, exec_lo, s45
; %bb.878:
	v_cmp_ne_u16_e32 vcc_lo, 0, v1
	v_mov_b32_e32 v3, 0
	v_mov_b32_e32 v4, 0
	s_and_not1_b32 s2, s44, exec_lo
	s_and_b32 s3, vcc_lo, exec_lo
	s_delay_alu instid0(SALU_CYCLE_1)
	s_or_b32 s44, s2, s3
; %bb.879:
	s_or_b32 exec_lo, exec_lo, s45
	s_and_saveexec_b32 s2, s44
	s_cbranch_execz .LBB23_881
; %bb.880:
	v_and_b32_e32 v3, 0xffff, v1
	v_lshlrev_b32_e32 v1, 24, v1
	s_delay_alu instid0(VALU_DEP_2) | instskip(NEXT) | instid1(VALU_DEP_2)
	v_and_b32_e32 v4, 3, v3
	v_and_b32_e32 v1, 0x80000000, v1
	s_delay_alu instid0(VALU_DEP_2) | instskip(NEXT) | instid1(VALU_DEP_1)
	v_clz_i32_u32_e32 v8, v4
	v_min_u32_e32 v8, 32, v8
	s_delay_alu instid0(VALU_DEP_1) | instskip(SKIP_1) | instid1(VALU_DEP_2)
	v_subrev_nc_u32_e32 v13, 29, v8
	v_sub_nc_u32_e32 v8, 30, v8
	v_lshlrev_b32_e32 v13, v13, v3
	v_bfe_u32 v3, v3, 2, 5
	s_delay_alu instid0(VALU_DEP_2) | instskip(NEXT) | instid1(VALU_DEP_2)
	v_and_b32_e32 v13, 3, v13
	v_cmp_eq_u32_e32 vcc_lo, 0, v3
	s_delay_alu instid0(VALU_DEP_2) | instskip(NEXT) | instid1(VALU_DEP_1)
	v_dual_cndmask_b32 v3, v3, v8 :: v_dual_cndmask_b32 v4, v4, v13
	v_lshl_add_u32 v3, v3, 23, 0x37800000
	s_delay_alu instid0(VALU_DEP_2) | instskip(NEXT) | instid1(VALU_DEP_1)
	v_lshlrev_b32_e32 v4, 21, v4
	v_or3_b32 v1, v1, v3, v4
	s_delay_alu instid0(VALU_DEP_1)
	v_cvt_f64_f32_e32 v[3:4], v1
.LBB23_881:
	s_or_b32 exec_lo, exec_lo, s2
	s_mov_b32 s2, 0
	s_branch .LBB23_885
.LBB23_882:
	s_mov_b32 s3, -1
                                        ; implicit-def: $vgpr3_vgpr4
	s_branch .LBB23_891
.LBB23_883:
	s_mov_b32 s2, -1
                                        ; implicit-def: $vgpr3_vgpr4
	s_branch .LBB23_888
.LBB23_884:
	s_mov_b32 s2, -1
                                        ; implicit-def: $vgpr3_vgpr4
.LBB23_885:
	s_delay_alu instid0(SALU_CYCLE_1)
	s_and_b32 vcc_lo, exec_lo, s2
	s_cbranch_vccz .LBB23_887
; %bb.886:
	global_load_u8 v1, v[5:6], off
	s_waitcnt vmcnt(0)
	v_lshlrev_b32_e32 v1, 24, v1
	s_delay_alu instid0(VALU_DEP_1) | instskip(NEXT) | instid1(VALU_DEP_1)
	v_and_b32_e32 v3, 0x7f000000, v1
	v_clz_i32_u32_e32 v4, v3
	v_cmp_ne_u32_e32 vcc_lo, 0, v3
	v_add_nc_u32_e32 v13, 0x1000000, v3
	s_delay_alu instid0(VALU_DEP_3) | instskip(NEXT) | instid1(VALU_DEP_1)
	v_min_u32_e32 v4, 32, v4
	v_sub_nc_u32_e64 v4, v4, 4 clamp
	s_delay_alu instid0(VALU_DEP_1) | instskip(SKIP_1) | instid1(VALU_DEP_2)
	v_lshlrev_b32_e32 v8, v4, v3
	v_lshlrev_b32_e32 v4, 23, v4
	v_lshrrev_b32_e32 v8, 4, v8
	s_delay_alu instid0(VALU_DEP_1) | instskip(SKIP_1) | instid1(VALU_DEP_2)
	v_sub_nc_u32_e32 v4, v8, v4
	v_ashrrev_i32_e32 v8, 8, v13
	v_add_nc_u32_e32 v4, 0x3c000000, v4
	s_delay_alu instid0(VALU_DEP_1) | instskip(NEXT) | instid1(VALU_DEP_1)
	v_and_or_b32 v4, 0x7f800000, v8, v4
	v_cndmask_b32_e32 v3, 0, v4, vcc_lo
	s_delay_alu instid0(VALU_DEP_1) | instskip(NEXT) | instid1(VALU_DEP_1)
	v_and_or_b32 v1, 0x80000000, v1, v3
	v_cvt_f64_f32_e32 v[3:4], v1
.LBB23_887:
	s_mov_b32 s2, 0
.LBB23_888:
	s_delay_alu instid0(SALU_CYCLE_1)
	s_and_not1_b32 vcc_lo, exec_lo, s2
	s_cbranch_vccnz .LBB23_890
; %bb.889:
	global_load_u8 v1, v[5:6], off
	s_waitcnt vmcnt(0)
	v_lshlrev_b32_e32 v3, 25, v1
	v_lshlrev_b16 v1, 8, v1
	s_delay_alu instid0(VALU_DEP_1) | instskip(SKIP_1) | instid1(VALU_DEP_2)
	v_and_or_b32 v8, 0x7f00, v1, 0.5
	v_bfe_i32 v1, v1, 0, 16
	v_add_f32_e32 v8, -0.5, v8
	v_lshrrev_b32_e32 v4, 4, v3
	v_cmp_gt_u32_e32 vcc_lo, 0x8000000, v3
	s_delay_alu instid0(VALU_DEP_2) | instskip(NEXT) | instid1(VALU_DEP_1)
	v_or_b32_e32 v4, 0x70000000, v4
	v_mul_f32_e32 v4, 0x7800000, v4
	s_delay_alu instid0(VALU_DEP_1) | instskip(NEXT) | instid1(VALU_DEP_1)
	v_cndmask_b32_e32 v3, v4, v8, vcc_lo
	v_and_or_b32 v1, 0x80000000, v1, v3
	s_delay_alu instid0(VALU_DEP_1)
	v_cvt_f64_f32_e32 v[3:4], v1
.LBB23_890:
	s_mov_b32 s3, 0
	s_mov_b32 s2, -1
.LBB23_891:
	s_and_not1_b32 vcc_lo, exec_lo, s3
	s_cbranch_vccnz .LBB23_902
; %bb.892:
	v_cmp_lt_i16_e32 vcc_lo, 14, v7
	s_cbranch_vccz .LBB23_895
; %bb.893:
	v_cmp_eq_u16_e32 vcc_lo, 15, v7
	s_cbranch_vccz .LBB23_896
; %bb.894:
	global_load_u16 v1, v[5:6], off
	s_mov_b32 s2, -1
	s_mov_b32 s43, 0
	s_waitcnt vmcnt(0)
	v_lshlrev_b32_e32 v1, 16, v1
	s_delay_alu instid0(VALU_DEP_1)
	v_cvt_f64_f32_e32 v[3:4], v1
	s_branch .LBB23_897
.LBB23_895:
	s_mov_b32 s3, -1
                                        ; implicit-def: $vgpr3_vgpr4
	s_branch .LBB23_898
.LBB23_896:
	s_mov_b32 s43, -1
                                        ; implicit-def: $vgpr3_vgpr4
.LBB23_897:
	s_mov_b32 s3, 0
.LBB23_898:
	s_delay_alu instid0(SALU_CYCLE_1)
	s_and_b32 vcc_lo, exec_lo, s3
	s_cbranch_vccz .LBB23_902
; %bb.899:
	v_cmp_eq_u16_e32 vcc_lo, 11, v7
	s_cbranch_vccz .LBB23_901
; %bb.900:
	global_load_u8 v1, v[5:6], off
	v_mov_b32_e32 v3, 0
	s_mov_b32 s43, 0
	s_mov_b32 s2, -1
	s_waitcnt vmcnt(0)
	v_cmp_ne_u16_e32 vcc_lo, 0, v1
	v_cndmask_b32_e64 v4, 0, 0x3ff00000, vcc_lo
	s_branch .LBB23_902
.LBB23_901:
	s_mov_b32 s43, -1
                                        ; implicit-def: $vgpr3_vgpr4
.LBB23_902:
	s_mov_b32 s3, 0
.LBB23_903:
	s_delay_alu instid0(SALU_CYCLE_1)
	s_and_b32 vcc_lo, exec_lo, s3
	s_cbranch_vccz .LBB23_952
; %bb.904:
	v_cmp_gt_i16_e32 vcc_lo, 5, v7
	s_cbranch_vccnz .LBB23_909
; %bb.905:
	v_cmp_gt_i16_e32 vcc_lo, 8, v7
	s_cbranch_vccnz .LBB23_910
	;; [unrolled: 3-line block ×3, first 2 shown]
; %bb.907:
	v_cmp_lt_i16_e32 vcc_lo, 9, v7
	s_cbranch_vccz .LBB23_912
; %bb.908:
	global_load_b64 v[3:4], v[5:6], off
	s_mov_b32 s2, 0
	s_branch .LBB23_913
.LBB23_909:
	s_mov_b32 s2, -1
                                        ; implicit-def: $vgpr3_vgpr4
	s_branch .LBB23_931
.LBB23_910:
	s_mov_b32 s2, -1
                                        ; implicit-def: $vgpr3_vgpr4
	s_branch .LBB23_919
.LBB23_911:
	s_mov_b32 s2, -1
                                        ; implicit-def: $vgpr3_vgpr4
	s_branch .LBB23_916
.LBB23_912:
	s_mov_b32 s2, -1
                                        ; implicit-def: $vgpr3_vgpr4
.LBB23_913:
	s_delay_alu instid0(SALU_CYCLE_1)
	s_and_not1_b32 vcc_lo, exec_lo, s2
	s_cbranch_vccnz .LBB23_915
; %bb.914:
	global_load_b32 v1, v[5:6], off
	s_waitcnt vmcnt(0)
	v_cvt_f64_f32_e32 v[3:4], v1
.LBB23_915:
	s_mov_b32 s2, 0
.LBB23_916:
	s_delay_alu instid0(SALU_CYCLE_1)
	s_and_not1_b32 vcc_lo, exec_lo, s2
	s_cbranch_vccnz .LBB23_918
; %bb.917:
	global_load_b32 v1, v[5:6], off
	s_waitcnt vmcnt(0)
	v_cvt_f32_f16_e32 v1, v1
	s_delay_alu instid0(VALU_DEP_1)
	v_cvt_f64_f32_e32 v[3:4], v1
.LBB23_918:
	s_mov_b32 s2, 0
.LBB23_919:
	s_delay_alu instid0(SALU_CYCLE_1)
	s_and_not1_b32 vcc_lo, exec_lo, s2
	s_cbranch_vccnz .LBB23_930
; %bb.920:
	v_cmp_gt_i16_e32 vcc_lo, 6, v7
	s_cbranch_vccnz .LBB23_923
; %bb.921:
	v_cmp_lt_i16_e32 vcc_lo, 6, v7
	s_cbranch_vccz .LBB23_924
; %bb.922:
	global_load_b64 v[3:4], v[5:6], off
	s_mov_b32 s2, 0
	s_branch .LBB23_925
.LBB23_923:
	s_mov_b32 s2, -1
                                        ; implicit-def: $vgpr3_vgpr4
	s_branch .LBB23_928
.LBB23_924:
	s_mov_b32 s2, -1
                                        ; implicit-def: $vgpr3_vgpr4
.LBB23_925:
	s_delay_alu instid0(SALU_CYCLE_1)
	s_and_not1_b32 vcc_lo, exec_lo, s2
	s_cbranch_vccnz .LBB23_927
; %bb.926:
	global_load_b32 v1, v[5:6], off
	s_waitcnt vmcnt(0)
	v_cvt_f64_f32_e32 v[3:4], v1
.LBB23_927:
	s_mov_b32 s2, 0
.LBB23_928:
	s_delay_alu instid0(SALU_CYCLE_1)
	s_and_not1_b32 vcc_lo, exec_lo, s2
	s_cbranch_vccnz .LBB23_930
; %bb.929:
	global_load_u16 v1, v[5:6], off
	s_waitcnt vmcnt(0)
	v_cvt_f32_f16_e32 v1, v1
	s_delay_alu instid0(VALU_DEP_1)
	v_cvt_f64_f32_e32 v[3:4], v1
.LBB23_930:
	s_mov_b32 s2, 0
.LBB23_931:
	s_delay_alu instid0(SALU_CYCLE_1)
	s_and_not1_b32 vcc_lo, exec_lo, s2
	s_cbranch_vccnz .LBB23_951
; %bb.932:
	v_cmp_gt_i16_e32 vcc_lo, 2, v7
	s_cbranch_vccnz .LBB23_936
; %bb.933:
	v_cmp_gt_i16_e32 vcc_lo, 3, v7
	s_cbranch_vccnz .LBB23_937
; %bb.934:
	v_cmp_lt_i16_e32 vcc_lo, 3, v7
	s_cbranch_vccz .LBB23_938
; %bb.935:
	global_load_b64 v[3:4], v[5:6], off
	s_mov_b32 s2, 0
	s_waitcnt vmcnt(0)
	v_cvt_f64_i32_e32 v[13:14], v4
	v_cvt_f64_u32_e32 v[3:4], v3
	s_delay_alu instid0(VALU_DEP_2) | instskip(NEXT) | instid1(VALU_DEP_1)
	v_ldexp_f64 v[13:14], v[13:14], 32
	v_add_f64 v[3:4], v[13:14], v[3:4]
	s_branch .LBB23_939
.LBB23_936:
	s_mov_b32 s2, -1
                                        ; implicit-def: $vgpr3_vgpr4
	s_branch .LBB23_945
.LBB23_937:
	s_mov_b32 s2, -1
                                        ; implicit-def: $vgpr3_vgpr4
	s_branch .LBB23_942
.LBB23_938:
	s_mov_b32 s2, -1
                                        ; implicit-def: $vgpr3_vgpr4
.LBB23_939:
	s_delay_alu instid0(SALU_CYCLE_1)
	s_and_not1_b32 vcc_lo, exec_lo, s2
	s_cbranch_vccnz .LBB23_941
; %bb.940:
	global_load_b32 v1, v[5:6], off
	s_waitcnt vmcnt(0)
	v_cvt_f64_i32_e32 v[3:4], v1
.LBB23_941:
	s_mov_b32 s2, 0
.LBB23_942:
	s_delay_alu instid0(SALU_CYCLE_1)
	s_and_not1_b32 vcc_lo, exec_lo, s2
	s_cbranch_vccnz .LBB23_944
; %bb.943:
	global_load_i16 v1, v[5:6], off
	s_waitcnt vmcnt(0)
	v_cvt_f64_i32_e32 v[3:4], v1
.LBB23_944:
	s_mov_b32 s2, 0
.LBB23_945:
	s_delay_alu instid0(SALU_CYCLE_1)
	s_and_not1_b32 vcc_lo, exec_lo, s2
	s_cbranch_vccnz .LBB23_951
; %bb.946:
	v_cmp_lt_i16_e32 vcc_lo, 0, v7
	s_mov_b32 s2, 0
	s_cbranch_vccz .LBB23_948
; %bb.947:
	global_load_i8 v1, v[5:6], off
	s_waitcnt vmcnt(0)
	v_cvt_f64_i32_e32 v[3:4], v1
	s_branch .LBB23_949
.LBB23_948:
	s_mov_b32 s2, -1
                                        ; implicit-def: $vgpr3_vgpr4
.LBB23_949:
	s_delay_alu instid0(SALU_CYCLE_1)
	s_and_not1_b32 vcc_lo, exec_lo, s2
	s_cbranch_vccnz .LBB23_951
; %bb.950:
	global_load_u8 v1, v[5:6], off
	s_waitcnt vmcnt(0)
	v_cvt_f64_u32_e32 v[3:4], v1
.LBB23_951:
	s_mov_b32 s2, -1
.LBB23_952:
	s_delay_alu instid0(SALU_CYCLE_1)
	s_and_not1_b32 vcc_lo, exec_lo, s2
	s_cbranch_vccnz .LBB23_960
; %bb.953:
	v_and_b32_e32 v7, 0xff, v10
	v_add_co_u32 v0, s2, s18, v0
	s_delay_alu instid0(VALU_DEP_1) | instskip(NEXT) | instid1(VALU_DEP_3)
	v_add_co_ci_u32_e64 v1, null, s19, 0, s2
	v_cmp_gt_i16_e32 vcc_lo, 11, v7
	s_mov_b32 s2, 0
	s_cbranch_vccnz .LBB23_961
; %bb.954:
	v_cmp_lt_i16_e32 vcc_lo, 25, v7
	s_cbranch_vccz .LBB23_962
; %bb.955:
	v_cmp_lt_i16_e32 vcc_lo, 28, v7
	s_cbranch_vccz .LBB23_963
	;; [unrolled: 3-line block ×4, first 2 shown]
; %bb.958:
	v_cmp_eq_u16_e32 vcc_lo, 46, v7
	s_mov_b32 s3, 0
	s_cbranch_vccz .LBB23_968
; %bb.959:
	global_load_b32 v5, v[0:1], off
	s_mov_b32 s2, -1
	s_mov_b32 s44, 0
	s_waitcnt vmcnt(0)
	v_lshlrev_b32_e32 v5, 16, v5
	s_delay_alu instid0(VALU_DEP_1)
	v_cvt_f64_f32_e32 v[5:6], v5
	s_branch .LBB23_970
.LBB23_960:
	s_mov_b32 s3, 0
	s_mov_b32 s2, s39
	;; [unrolled: 1-line block ×3, first 2 shown]
	s_branch .LBB23_1145
.LBB23_961:
	s_mov_b32 s3, -1
	s_mov_b32 s44, s40
                                        ; implicit-def: $vgpr5_vgpr6
	s_branch .LBB23_1035
.LBB23_962:
	s_mov_b32 s3, -1
	s_mov_b32 s44, s40
                                        ; implicit-def: $vgpr5_vgpr6
	s_branch .LBB23_1001
.LBB23_963:
	s_mov_b32 s3, -1
	s_mov_b32 s44, s40
                                        ; implicit-def: $vgpr5_vgpr6
	s_branch .LBB23_980
.LBB23_964:
	s_mov_b32 s3, -1
	s_mov_b32 s44, s40
                                        ; implicit-def: $vgpr5_vgpr6
	s_branch .LBB23_975
.LBB23_965:
	s_mov_b32 s3, -1
	s_mov_b32 s44, s40
	s_branch .LBB23_969
.LBB23_966:
	s_or_saveexec_b32 s42, s42
                                        ; implicit-def: $sgpr43
	s_delay_alu instid0(SALU_CYCLE_1)
	s_xor_b32 exec_lo, exec_lo, s42
	s_cbranch_execz .LBB23_797
.LBB23_967:
	v_add_f32_e64 v3, 0x42800000, |v2|
	s_and_not1_b32 s39, s39, exec_lo
	s_mov_b32 s43, 0
	s_delay_alu instid0(VALU_DEP_1) | instskip(NEXT) | instid1(VALU_DEP_1)
	v_and_b32_e32 v3, 0xff, v3
	v_cmp_ne_u32_e32 vcc_lo, 0, v3
	s_and_b32 s44, vcc_lo, exec_lo
	s_delay_alu instid0(SALU_CYCLE_1)
	s_or_b32 s39, s39, s44
	s_or_b32 exec_lo, exec_lo, s42
	v_mov_b32_e32 v7, s43
	s_and_saveexec_b32 s42, s39
	s_cbranch_execnz .LBB23_798
	s_branch .LBB23_799
.LBB23_968:
	s_mov_b32 s44, -1
.LBB23_969:
                                        ; implicit-def: $vgpr5_vgpr6
.LBB23_970:
	s_and_b32 vcc_lo, exec_lo, s3
	s_cbranch_vccz .LBB23_974
; %bb.971:
	v_cmp_eq_u16_e32 vcc_lo, 44, v7
	s_cbranch_vccz .LBB23_973
; %bb.972:
	global_load_u8 v8, v[0:1], off
	s_mov_b32 s44, 0
	s_mov_b32 s2, -1
	s_waitcnt vmcnt(0)
	v_cmp_ne_u32_e32 vcc_lo, 0xff, v8
	v_lshlrev_b32_e32 v5, 23, v8
	s_delay_alu instid0(VALU_DEP_1) | instskip(NEXT) | instid1(VALU_DEP_1)
	v_cvt_f64_f32_e32 v[5:6], v5
	v_cndmask_b32_e32 v6, 0x7ff80000, v6, vcc_lo
	s_delay_alu instid0(VALU_DEP_2) | instskip(SKIP_1) | instid1(VALU_DEP_3)
	v_cndmask_b32_e32 v5, 0x20000000, v5, vcc_lo
	v_cmp_ne_u32_e32 vcc_lo, 0, v8
	v_cndmask_b32_e32 v6, 0x38000000, v6, vcc_lo
	s_delay_alu instid0(VALU_DEP_3)
	v_cndmask_b32_e32 v5, 0, v5, vcc_lo
	s_branch .LBB23_974
.LBB23_973:
	s_mov_b32 s44, -1
                                        ; implicit-def: $vgpr5_vgpr6
.LBB23_974:
	s_mov_b32 s3, 0
.LBB23_975:
	s_delay_alu instid0(SALU_CYCLE_1)
	s_and_b32 vcc_lo, exec_lo, s3
	s_cbranch_vccz .LBB23_979
; %bb.976:
	v_cmp_eq_u16_e32 vcc_lo, 29, v7
	s_cbranch_vccz .LBB23_978
; %bb.977:
	global_load_b64 v[5:6], v[0:1], off
	s_mov_b32 s2, -1
	s_mov_b32 s44, 0
	s_mov_b32 s3, 0
	s_waitcnt vmcnt(0)
	v_cvt_f64_u32_e32 v[13:14], v6
	v_cvt_f64_u32_e32 v[5:6], v5
	s_delay_alu instid0(VALU_DEP_2) | instskip(NEXT) | instid1(VALU_DEP_1)
	v_ldexp_f64 v[13:14], v[13:14], 32
	v_add_f64 v[5:6], v[13:14], v[5:6]
	s_branch .LBB23_980
.LBB23_978:
	s_mov_b32 s44, -1
                                        ; implicit-def: $vgpr5_vgpr6
.LBB23_979:
	s_mov_b32 s3, 0
.LBB23_980:
	s_delay_alu instid0(SALU_CYCLE_1)
	s_and_b32 vcc_lo, exec_lo, s3
	s_cbranch_vccz .LBB23_1000
; %bb.981:
	v_cmp_gt_i16_e32 vcc_lo, 27, v7
	s_cbranch_vccnz .LBB23_984
; %bb.982:
	v_cmp_lt_i16_e32 vcc_lo, 27, v7
	s_cbranch_vccz .LBB23_985
; %bb.983:
	global_load_b32 v5, v[0:1], off
	s_mov_b32 s2, 0
	s_waitcnt vmcnt(0)
	v_cvt_f64_u32_e32 v[5:6], v5
	s_branch .LBB23_986
.LBB23_984:
	s_mov_b32 s2, -1
                                        ; implicit-def: $vgpr5_vgpr6
	s_branch .LBB23_989
.LBB23_985:
	s_mov_b32 s2, -1
                                        ; implicit-def: $vgpr5_vgpr6
.LBB23_986:
	s_delay_alu instid0(SALU_CYCLE_1)
	s_and_not1_b32 vcc_lo, exec_lo, s2
	s_cbranch_vccnz .LBB23_988
; %bb.987:
	global_load_u16 v5, v[0:1], off
	s_waitcnt vmcnt(0)
	v_cvt_f64_u32_e32 v[5:6], v5
.LBB23_988:
	s_mov_b32 s2, 0
.LBB23_989:
	s_delay_alu instid0(SALU_CYCLE_1)
	s_and_not1_b32 vcc_lo, exec_lo, s2
	s_cbranch_vccnz .LBB23_999
; %bb.990:
	global_load_u8 v8, v[0:1], off
	s_mov_b32 s45, 0
	s_mov_b32 s46, exec_lo
                                        ; implicit-def: $sgpr2_sgpr3
	s_waitcnt vmcnt(0)
	v_cmpx_lt_i16_e32 0x7f, v8
	s_xor_b32 s46, exec_lo, s46
	s_cbranch_execz .LBB23_994
; %bb.991:
	s_mov_b32 s47, -1
	s_mov_b32 s45, exec_lo
                                        ; implicit-def: $sgpr2_sgpr3
	v_cmpx_eq_u16_e32 0x80, v8
; %bb.992:
	s_mov_b32 s3, 0x7ff80000
	s_brev_b32 s2, 4
	s_xor_b32 s47, exec_lo, -1
; %bb.993:
	s_or_b32 exec_lo, exec_lo, s45
	s_delay_alu instid0(SALU_CYCLE_1)
	s_and_b32 s45, s47, exec_lo
.LBB23_994:
	s_or_saveexec_b32 s46, s46
	v_dual_mov_b32 v6, s3 :: v_dual_mov_b32 v5, s2
	s_xor_b32 exec_lo, exec_lo, s46
; %bb.995:
	v_cmp_ne_u16_e32 vcc_lo, 0, v8
	v_mov_b32_e32 v5, 0
	v_mov_b32_e32 v6, 0
	s_and_not1_b32 s2, s45, exec_lo
	s_and_b32 s3, vcc_lo, exec_lo
	s_delay_alu instid0(SALU_CYCLE_1)
	s_or_b32 s45, s2, s3
; %bb.996:
	s_or_b32 exec_lo, exec_lo, s46
	s_and_saveexec_b32 s2, s45
	s_cbranch_execz .LBB23_998
; %bb.997:
	v_and_b32_e32 v5, 0xffff, v8
	v_lshlrev_b32_e32 v8, 24, v8
	s_delay_alu instid0(VALU_DEP_2) | instskip(NEXT) | instid1(VALU_DEP_2)
	v_and_b32_e32 v6, 7, v5
	v_and_b32_e32 v8, 0x80000000, v8
	s_delay_alu instid0(VALU_DEP_2) | instskip(NEXT) | instid1(VALU_DEP_1)
	v_clz_i32_u32_e32 v13, v6
	v_min_u32_e32 v13, 32, v13
	s_delay_alu instid0(VALU_DEP_1) | instskip(SKIP_1) | instid1(VALU_DEP_2)
	v_subrev_nc_u32_e32 v14, 28, v13
	v_sub_nc_u32_e32 v13, 29, v13
	v_lshlrev_b32_e32 v14, v14, v5
	v_bfe_u32 v5, v5, 3, 4
	s_delay_alu instid0(VALU_DEP_1) | instskip(NEXT) | instid1(VALU_DEP_3)
	v_cmp_eq_u32_e32 vcc_lo, 0, v5
	v_dual_cndmask_b32 v5, v5, v13 :: v_dual_and_b32 v14, 7, v14
	s_delay_alu instid0(VALU_DEP_1) | instskip(NEXT) | instid1(VALU_DEP_2)
	v_cndmask_b32_e32 v6, v6, v14, vcc_lo
	v_lshl_add_u32 v5, v5, 23, 0x3b800000
	s_delay_alu instid0(VALU_DEP_2) | instskip(NEXT) | instid1(VALU_DEP_1)
	v_lshlrev_b32_e32 v6, 20, v6
	v_or3_b32 v5, v8, v5, v6
	s_delay_alu instid0(VALU_DEP_1)
	v_cvt_f64_f32_e32 v[5:6], v5
.LBB23_998:
	s_or_b32 exec_lo, exec_lo, s2
.LBB23_999:
	s_mov_b32 s2, -1
.LBB23_1000:
	s_mov_b32 s3, 0
.LBB23_1001:
	s_delay_alu instid0(SALU_CYCLE_1)
	s_and_b32 vcc_lo, exec_lo, s3
	s_cbranch_vccz .LBB23_1034
; %bb.1002:
	v_cmp_lt_i16_e32 vcc_lo, 22, v7
	s_cbranch_vccz .LBB23_1014
; %bb.1003:
	v_cmp_gt_i16_e32 vcc_lo, 24, v7
	s_cbranch_vccnz .LBB23_1015
; %bb.1004:
	v_cmp_lt_i16_e32 vcc_lo, 24, v7
	s_cbranch_vccz .LBB23_1016
; %bb.1005:
	global_load_u8 v8, v[0:1], off
	s_mov_b32 s45, 0
	s_mov_b32 s46, exec_lo
                                        ; implicit-def: $sgpr2_sgpr3
	s_waitcnt vmcnt(0)
	v_cmpx_lt_i16_e32 0x7f, v8
	s_xor_b32 s46, exec_lo, s46
	s_cbranch_execz .LBB23_1009
; %bb.1006:
	s_mov_b32 s47, -1
	s_mov_b32 s45, exec_lo
                                        ; implicit-def: $sgpr2_sgpr3
	v_cmpx_eq_u16_e32 0x80, v8
; %bb.1007:
	s_mov_b32 s3, 0x7ff80000
	s_brev_b32 s2, 4
	s_xor_b32 s47, exec_lo, -1
; %bb.1008:
	s_or_b32 exec_lo, exec_lo, s45
	s_delay_alu instid0(SALU_CYCLE_1)
	s_and_b32 s45, s47, exec_lo
.LBB23_1009:
	s_or_saveexec_b32 s46, s46
	v_dual_mov_b32 v6, s3 :: v_dual_mov_b32 v5, s2
	s_xor_b32 exec_lo, exec_lo, s46
; %bb.1010:
	v_cmp_ne_u16_e32 vcc_lo, 0, v8
	v_mov_b32_e32 v5, 0
	v_mov_b32_e32 v6, 0
	s_and_not1_b32 s2, s45, exec_lo
	s_and_b32 s3, vcc_lo, exec_lo
	s_delay_alu instid0(SALU_CYCLE_1)
	s_or_b32 s45, s2, s3
; %bb.1011:
	s_or_b32 exec_lo, exec_lo, s46
	s_and_saveexec_b32 s2, s45
	s_cbranch_execz .LBB23_1013
; %bb.1012:
	v_and_b32_e32 v5, 0xffff, v8
	v_lshlrev_b32_e32 v8, 24, v8
	s_delay_alu instid0(VALU_DEP_2) | instskip(NEXT) | instid1(VALU_DEP_2)
	v_and_b32_e32 v6, 3, v5
	v_and_b32_e32 v8, 0x80000000, v8
	s_delay_alu instid0(VALU_DEP_2) | instskip(NEXT) | instid1(VALU_DEP_1)
	v_clz_i32_u32_e32 v13, v6
	v_min_u32_e32 v13, 32, v13
	s_delay_alu instid0(VALU_DEP_1) | instskip(SKIP_1) | instid1(VALU_DEP_2)
	v_subrev_nc_u32_e32 v14, 29, v13
	v_sub_nc_u32_e32 v13, 30, v13
	v_lshlrev_b32_e32 v14, v14, v5
	v_bfe_u32 v5, v5, 2, 5
	s_delay_alu instid0(VALU_DEP_1) | instskip(NEXT) | instid1(VALU_DEP_3)
	v_cmp_eq_u32_e32 vcc_lo, 0, v5
	v_dual_cndmask_b32 v5, v5, v13 :: v_dual_and_b32 v14, 3, v14
	s_delay_alu instid0(VALU_DEP_1) | instskip(NEXT) | instid1(VALU_DEP_2)
	v_cndmask_b32_e32 v6, v6, v14, vcc_lo
	v_lshl_add_u32 v5, v5, 23, 0x37800000
	s_delay_alu instid0(VALU_DEP_2) | instskip(NEXT) | instid1(VALU_DEP_1)
	v_lshlrev_b32_e32 v6, 21, v6
	v_or3_b32 v5, v8, v5, v6
	s_delay_alu instid0(VALU_DEP_1)
	v_cvt_f64_f32_e32 v[5:6], v5
.LBB23_1013:
	s_or_b32 exec_lo, exec_lo, s2
	s_mov_b32 s2, 0
	s_branch .LBB23_1017
.LBB23_1014:
	s_mov_b32 s3, -1
                                        ; implicit-def: $vgpr5_vgpr6
	s_branch .LBB23_1023
.LBB23_1015:
	s_mov_b32 s2, -1
                                        ; implicit-def: $vgpr5_vgpr6
	s_branch .LBB23_1020
.LBB23_1016:
	s_mov_b32 s2, -1
                                        ; implicit-def: $vgpr5_vgpr6
.LBB23_1017:
	s_delay_alu instid0(SALU_CYCLE_1)
	s_and_b32 vcc_lo, exec_lo, s2
	s_cbranch_vccz .LBB23_1019
; %bb.1018:
	global_load_u8 v5, v[0:1], off
	s_waitcnt vmcnt(0)
	v_lshlrev_b32_e32 v5, 24, v5
	s_delay_alu instid0(VALU_DEP_1) | instskip(NEXT) | instid1(VALU_DEP_1)
	v_and_b32_e32 v6, 0x7f000000, v5
	v_clz_i32_u32_e32 v8, v6
	v_add_nc_u32_e32 v14, 0x1000000, v6
	v_cmp_ne_u32_e32 vcc_lo, 0, v6
	s_delay_alu instid0(VALU_DEP_3) | instskip(NEXT) | instid1(VALU_DEP_1)
	v_min_u32_e32 v8, 32, v8
	v_sub_nc_u32_e64 v8, v8, 4 clamp
	s_delay_alu instid0(VALU_DEP_1) | instskip(SKIP_1) | instid1(VALU_DEP_2)
	v_lshlrev_b32_e32 v13, v8, v6
	v_lshlrev_b32_e32 v8, 23, v8
	v_lshrrev_b32_e32 v13, 4, v13
	s_delay_alu instid0(VALU_DEP_1) | instskip(SKIP_1) | instid1(VALU_DEP_2)
	v_sub_nc_u32_e32 v8, v13, v8
	v_ashrrev_i32_e32 v13, 8, v14
	v_add_nc_u32_e32 v8, 0x3c000000, v8
	s_delay_alu instid0(VALU_DEP_1) | instskip(NEXT) | instid1(VALU_DEP_1)
	v_and_or_b32 v8, 0x7f800000, v13, v8
	v_cndmask_b32_e32 v6, 0, v8, vcc_lo
	s_delay_alu instid0(VALU_DEP_1) | instskip(NEXT) | instid1(VALU_DEP_1)
	v_and_or_b32 v5, 0x80000000, v5, v6
	v_cvt_f64_f32_e32 v[5:6], v5
.LBB23_1019:
	s_mov_b32 s2, 0
.LBB23_1020:
	s_delay_alu instid0(SALU_CYCLE_1)
	s_and_not1_b32 vcc_lo, exec_lo, s2
	s_cbranch_vccnz .LBB23_1022
; %bb.1021:
	global_load_u8 v5, v[0:1], off
	s_waitcnt vmcnt(0)
	v_lshlrev_b32_e32 v6, 25, v5
	v_lshlrev_b16 v5, 8, v5
	s_delay_alu instid0(VALU_DEP_2) | instskip(NEXT) | instid1(VALU_DEP_2)
	v_lshrrev_b32_e32 v8, 4, v6
	v_and_or_b32 v13, 0x7f00, v5, 0.5
	v_cmp_gt_u32_e32 vcc_lo, 0x8000000, v6
	v_bfe_i32 v5, v5, 0, 16
	s_delay_alu instid0(VALU_DEP_4) | instskip(NEXT) | instid1(VALU_DEP_1)
	v_or_b32_e32 v8, 0x70000000, v8
	v_dual_add_f32 v13, -0.5, v13 :: v_dual_mul_f32 v8, 0x7800000, v8
	s_delay_alu instid0(VALU_DEP_1) | instskip(NEXT) | instid1(VALU_DEP_1)
	v_cndmask_b32_e32 v6, v8, v13, vcc_lo
	v_and_or_b32 v5, 0x80000000, v5, v6
	s_delay_alu instid0(VALU_DEP_1)
	v_cvt_f64_f32_e32 v[5:6], v5
.LBB23_1022:
	s_mov_b32 s3, 0
	s_mov_b32 s2, -1
.LBB23_1023:
	s_and_not1_b32 vcc_lo, exec_lo, s3
	s_cbranch_vccnz .LBB23_1034
; %bb.1024:
	v_cmp_lt_i16_e32 vcc_lo, 14, v7
	s_cbranch_vccz .LBB23_1027
; %bb.1025:
	v_cmp_eq_u16_e32 vcc_lo, 15, v7
	s_cbranch_vccz .LBB23_1028
; %bb.1026:
	global_load_u16 v5, v[0:1], off
	s_mov_b32 s2, -1
	s_mov_b32 s44, 0
	s_waitcnt vmcnt(0)
	v_lshlrev_b32_e32 v5, 16, v5
	s_delay_alu instid0(VALU_DEP_1)
	v_cvt_f64_f32_e32 v[5:6], v5
	s_branch .LBB23_1029
.LBB23_1027:
	s_mov_b32 s3, -1
                                        ; implicit-def: $vgpr5_vgpr6
	s_branch .LBB23_1030
.LBB23_1028:
	s_mov_b32 s44, -1
                                        ; implicit-def: $vgpr5_vgpr6
.LBB23_1029:
	s_mov_b32 s3, 0
.LBB23_1030:
	s_delay_alu instid0(SALU_CYCLE_1)
	s_and_b32 vcc_lo, exec_lo, s3
	s_cbranch_vccz .LBB23_1034
; %bb.1031:
	v_cmp_eq_u16_e32 vcc_lo, 11, v7
	s_cbranch_vccz .LBB23_1033
; %bb.1032:
	global_load_u8 v5, v[0:1], off
	s_mov_b32 s44, 0
	s_mov_b32 s2, -1
	s_waitcnt vmcnt(0)
	v_cmp_ne_u16_e32 vcc_lo, 0, v5
	v_mov_b32_e32 v5, 0
	v_cndmask_b32_e64 v6, 0, 0x3ff00000, vcc_lo
	s_branch .LBB23_1034
.LBB23_1033:
	s_mov_b32 s44, -1
                                        ; implicit-def: $vgpr5_vgpr6
.LBB23_1034:
	s_mov_b32 s3, 0
.LBB23_1035:
	s_delay_alu instid0(SALU_CYCLE_1)
	s_and_b32 vcc_lo, exec_lo, s3
	s_cbranch_vccz .LBB23_1084
; %bb.1036:
	v_cmp_gt_i16_e32 vcc_lo, 5, v7
	s_cbranch_vccnz .LBB23_1041
; %bb.1037:
	v_cmp_gt_i16_e32 vcc_lo, 8, v7
	s_cbranch_vccnz .LBB23_1042
	;; [unrolled: 3-line block ×3, first 2 shown]
; %bb.1039:
	v_cmp_lt_i16_e32 vcc_lo, 9, v7
	s_cbranch_vccz .LBB23_1044
; %bb.1040:
	global_load_b64 v[5:6], v[0:1], off
	s_mov_b32 s2, 0
	s_branch .LBB23_1045
.LBB23_1041:
	s_mov_b32 s2, -1
                                        ; implicit-def: $vgpr5_vgpr6
	s_branch .LBB23_1063
.LBB23_1042:
	s_mov_b32 s2, -1
                                        ; implicit-def: $vgpr5_vgpr6
	s_branch .LBB23_1051
.LBB23_1043:
	s_mov_b32 s2, -1
                                        ; implicit-def: $vgpr5_vgpr6
	s_branch .LBB23_1048
.LBB23_1044:
	s_mov_b32 s2, -1
                                        ; implicit-def: $vgpr5_vgpr6
.LBB23_1045:
	s_delay_alu instid0(SALU_CYCLE_1)
	s_and_not1_b32 vcc_lo, exec_lo, s2
	s_cbranch_vccnz .LBB23_1047
; %bb.1046:
	global_load_b32 v5, v[0:1], off
	s_waitcnt vmcnt(0)
	v_cvt_f64_f32_e32 v[5:6], v5
.LBB23_1047:
	s_mov_b32 s2, 0
.LBB23_1048:
	s_delay_alu instid0(SALU_CYCLE_1)
	s_and_not1_b32 vcc_lo, exec_lo, s2
	s_cbranch_vccnz .LBB23_1050
; %bb.1049:
	global_load_b32 v5, v[0:1], off
	s_waitcnt vmcnt(0)
	v_cvt_f32_f16_e32 v5, v5
	s_delay_alu instid0(VALU_DEP_1)
	v_cvt_f64_f32_e32 v[5:6], v5
.LBB23_1050:
	s_mov_b32 s2, 0
.LBB23_1051:
	s_delay_alu instid0(SALU_CYCLE_1)
	s_and_not1_b32 vcc_lo, exec_lo, s2
	s_cbranch_vccnz .LBB23_1062
; %bb.1052:
	v_cmp_gt_i16_e32 vcc_lo, 6, v7
	s_cbranch_vccnz .LBB23_1055
; %bb.1053:
	v_cmp_lt_i16_e32 vcc_lo, 6, v7
	s_cbranch_vccz .LBB23_1056
; %bb.1054:
	global_load_b64 v[5:6], v[0:1], off
	s_mov_b32 s2, 0
	s_branch .LBB23_1057
.LBB23_1055:
	s_mov_b32 s2, -1
                                        ; implicit-def: $vgpr5_vgpr6
	s_branch .LBB23_1060
.LBB23_1056:
	s_mov_b32 s2, -1
                                        ; implicit-def: $vgpr5_vgpr6
.LBB23_1057:
	s_delay_alu instid0(SALU_CYCLE_1)
	s_and_not1_b32 vcc_lo, exec_lo, s2
	s_cbranch_vccnz .LBB23_1059
; %bb.1058:
	global_load_b32 v5, v[0:1], off
	s_waitcnt vmcnt(0)
	v_cvt_f64_f32_e32 v[5:6], v5
.LBB23_1059:
	s_mov_b32 s2, 0
.LBB23_1060:
	s_delay_alu instid0(SALU_CYCLE_1)
	s_and_not1_b32 vcc_lo, exec_lo, s2
	s_cbranch_vccnz .LBB23_1062
; %bb.1061:
	global_load_u16 v5, v[0:1], off
	s_waitcnt vmcnt(0)
	v_cvt_f32_f16_e32 v5, v5
	s_delay_alu instid0(VALU_DEP_1)
	v_cvt_f64_f32_e32 v[5:6], v5
.LBB23_1062:
	s_mov_b32 s2, 0
.LBB23_1063:
	s_delay_alu instid0(SALU_CYCLE_1)
	s_and_not1_b32 vcc_lo, exec_lo, s2
	s_cbranch_vccnz .LBB23_1083
; %bb.1064:
	v_cmp_gt_i16_e32 vcc_lo, 2, v7
	s_cbranch_vccnz .LBB23_1068
; %bb.1065:
	v_cmp_gt_i16_e32 vcc_lo, 3, v7
	s_cbranch_vccnz .LBB23_1069
; %bb.1066:
	v_cmp_lt_i16_e32 vcc_lo, 3, v7
	s_cbranch_vccz .LBB23_1070
; %bb.1067:
	global_load_b64 v[5:6], v[0:1], off
	s_mov_b32 s2, 0
	s_waitcnt vmcnt(0)
	v_cvt_f64_i32_e32 v[13:14], v6
	v_cvt_f64_u32_e32 v[5:6], v5
	s_delay_alu instid0(VALU_DEP_2) | instskip(NEXT) | instid1(VALU_DEP_1)
	v_ldexp_f64 v[13:14], v[13:14], 32
	v_add_f64 v[5:6], v[13:14], v[5:6]
	s_branch .LBB23_1071
.LBB23_1068:
	s_mov_b32 s2, -1
                                        ; implicit-def: $vgpr5_vgpr6
	s_branch .LBB23_1077
.LBB23_1069:
	s_mov_b32 s2, -1
                                        ; implicit-def: $vgpr5_vgpr6
	s_branch .LBB23_1074
.LBB23_1070:
	s_mov_b32 s2, -1
                                        ; implicit-def: $vgpr5_vgpr6
.LBB23_1071:
	s_delay_alu instid0(SALU_CYCLE_1)
	s_and_not1_b32 vcc_lo, exec_lo, s2
	s_cbranch_vccnz .LBB23_1073
; %bb.1072:
	global_load_b32 v5, v[0:1], off
	s_waitcnt vmcnt(0)
	v_cvt_f64_i32_e32 v[5:6], v5
.LBB23_1073:
	s_mov_b32 s2, 0
.LBB23_1074:
	s_delay_alu instid0(SALU_CYCLE_1)
	s_and_not1_b32 vcc_lo, exec_lo, s2
	s_cbranch_vccnz .LBB23_1076
; %bb.1075:
	global_load_i16 v5, v[0:1], off
	s_waitcnt vmcnt(0)
	v_cvt_f64_i32_e32 v[5:6], v5
.LBB23_1076:
	s_mov_b32 s2, 0
.LBB23_1077:
	s_delay_alu instid0(SALU_CYCLE_1)
	s_and_not1_b32 vcc_lo, exec_lo, s2
	s_cbranch_vccnz .LBB23_1083
; %bb.1078:
	v_cmp_lt_i16_e32 vcc_lo, 0, v7
	s_mov_b32 s2, 0
	s_cbranch_vccz .LBB23_1080
; %bb.1079:
	global_load_i8 v5, v[0:1], off
	s_waitcnt vmcnt(0)
	v_cvt_f64_i32_e32 v[5:6], v5
	s_branch .LBB23_1081
.LBB23_1080:
	s_mov_b32 s2, -1
                                        ; implicit-def: $vgpr5_vgpr6
.LBB23_1081:
	s_delay_alu instid0(SALU_CYCLE_1)
	s_and_not1_b32 vcc_lo, exec_lo, s2
	s_cbranch_vccnz .LBB23_1083
; %bb.1082:
	global_load_u8 v0, v[0:1], off
	s_waitcnt vmcnt(0)
	v_cvt_f64_u32_e32 v[5:6], v0
.LBB23_1083:
	s_mov_b32 s2, -1
.LBB23_1084:
	s_delay_alu instid0(SALU_CYCLE_1)
	s_and_not1_b32 vcc_lo, exec_lo, s2
	s_cbranch_vccnz .LBB23_1104
; %bb.1085:
	s_waitcnt vmcnt(0)
	s_delay_alu instid0(VALU_DEP_1) | instskip(SKIP_2) | instid1(VALU_DEP_2)
	v_trunc_f64_e32 v[0:1], v[5:6]
	v_cmp_class_f64_e64 vcc_lo, v[5:6], 0x1f8
	s_mov_b32 s45, exec_lo
	v_ldexp_f64 v[7:8], v[0:1], 0xffffffe0
	s_delay_alu instid0(VALU_DEP_1) | instskip(NEXT) | instid1(VALU_DEP_1)
	v_floor_f64_e32 v[7:8], v[7:8]
	v_fma_f64 v[0:1], 0xc1f00000, v[7:8], v[0:1]
	v_cvt_i32_f64_e32 v7, v[7:8]
	s_delay_alu instid0(VALU_DEP_2) | instskip(NEXT) | instid1(VALU_DEP_1)
	v_cvt_u32_f64_e32 v0, v[0:1]
	v_dual_cndmask_b32 v6, -1, v7 :: v_dual_cndmask_b32 v5, -1, v0
	v_mov_b32_e32 v0, 0
	v_mov_b32_e32 v1, 0
	s_delay_alu instid0(VALU_DEP_3)
	v_cmpx_lt_i64_e32 -1, v[5:6]
	s_cbranch_execz .LBB23_1097
; %bb.1086:
	v_mov_b32_e32 v0, 0
	v_mov_b32_e32 v1, 0x3ff00000
	s_mov_b32 s46, exec_lo
	v_cmpx_lt_i64_e32 0, v[5:6]
	s_cbranch_execz .LBB23_1096
; %bb.1087:
                                        ; implicit-def: $vgpr0_vgpr1
	s_mov_b32 s2, exec_lo
	v_cmpx_ne_u64_e32 1, v[5:6]
	s_xor_b32 s47, exec_lo, s2
	s_cbranch_execz .LBB23_1093
; %bb.1088:
	v_mov_b32_e32 v0, 0
	v_mov_b32_e32 v1, 0x7ff80000
	s_mov_b32 s48, exec_lo
	v_cmpx_gt_u64_e32 0x201, v[5:6]
	s_cbranch_execz .LBB23_1092
; %bb.1089:
	v_add_f64 v[3:4], v[3:4], v[3:4]
	v_lshlrev_b64 v[5:6], 1, v[5:6]
	v_mov_b32_e32 v7, 0
	v_mov_b32_e32 v8, 0x3ff00000
	s_mov_b64 s[2:3], 2
	s_mov_b32 s49, 0
	s_delay_alu instid0(VALU_DEP_4)
	v_dual_mov_b32 v0, v3 :: v_dual_mov_b32 v1, v4
.LBB23_1090:                            ; =>This Inner Loop Header: Depth=1
	v_cvt_f64_u32_e32 v[13:14], s3
	v_cvt_f64_u32_e32 v[15:16], s2
	s_add_u32 s2, s2, 2
	s_addc_u32 s3, s3, 0
	s_delay_alu instid0(SALU_CYCLE_1) | instskip(SKIP_1) | instid1(VALU_DEP_3)
	v_cmp_ge_u64_e32 vcc_lo, s[2:3], v[5:6]
	s_or_b32 s49, vcc_lo, s49
	v_ldexp_f64 v[13:14], v[13:14], 32
	s_delay_alu instid0(VALU_DEP_1) | instskip(NEXT) | instid1(VALU_DEP_1)
	v_add_f64 v[13:14], v[13:14], v[15:16]
	v_mul_f64 v[7:8], v[7:8], v[13:14]
	v_dual_mov_b32 v14, v1 :: v_dual_mov_b32 v13, v0
	s_delay_alu instid0(VALU_DEP_1)
	v_fma_f64 v[0:1], v[3:4], v[13:14], -v[7:8]
	v_dual_mov_b32 v7, v13 :: v_dual_mov_b32 v8, v14
	s_and_not1_b32 exec_lo, exec_lo, s49
	s_cbranch_execnz .LBB23_1090
; %bb.1091:
	s_or_b32 exec_lo, exec_lo, s49
.LBB23_1092:
	s_delay_alu instid0(SALU_CYCLE_1)
	s_or_b32 exec_lo, exec_lo, s48
                                        ; implicit-def: $vgpr3_vgpr4
.LBB23_1093:
	s_and_not1_saveexec_b32 s2, s47
; %bb.1094:
	v_add_f64 v[0:1], v[3:4], v[3:4]
; %bb.1095:
	s_or_b32 exec_lo, exec_lo, s2
.LBB23_1096:
	s_delay_alu instid0(SALU_CYCLE_1)
	s_or_b32 exec_lo, exec_lo, s46
.LBB23_1097:
	s_delay_alu instid0(SALU_CYCLE_1) | instskip(SKIP_2) | instid1(VALU_DEP_1)
	s_or_b32 exec_lo, exec_lo, s45
	v_and_b32_e32 v6, 0xff, v9
	v_add_co_u32 v4, s2, s4, v2
	v_add_co_ci_u32_e64 v5, null, s5, 0, s2
	s_delay_alu instid0(VALU_DEP_3)
	v_cmp_gt_i16_e32 vcc_lo, 11, v6
	s_mov_b32 s3, 0
	s_mov_b32 s45, -1
	s_mov_b32 s2, s39
	s_cbranch_vccnz .LBB23_1105
; %bb.1098:
	v_cmp_lt_i16_e32 vcc_lo, 25, v6
	s_cbranch_vccz .LBB23_1168
; %bb.1099:
	v_cmp_lt_i16_e32 vcc_lo, 28, v6
	s_cbranch_vccz .LBB23_1170
	;; [unrolled: 3-line block ×4, first 2 shown]
; %bb.1102:
	v_cmp_eq_u16_e32 vcc_lo, 46, v6
	s_mov_b32 s45, 0
	s_mov_b32 s2, -1
	s_cbranch_vccz .LBB23_1175
; %bb.1103:
	v_cvt_f32_f64_e32 v2, v[0:1]
	s_mov_b32 s3, -1
	s_mov_b32 s2, 0
	s_delay_alu instid0(VALU_DEP_1) | instskip(SKIP_1) | instid1(VALU_DEP_2)
	v_bfe_u32 v3, v2, 16, 1
	v_cmp_o_f32_e32 vcc_lo, v2, v2
	v_add3_u32 v3, v2, v3, 0x7fff
	s_delay_alu instid0(VALU_DEP_1) | instskip(NEXT) | instid1(VALU_DEP_1)
	v_lshrrev_b32_e32 v3, 16, v3
	v_cndmask_b32_e32 v2, 0x7fc0, v3, vcc_lo
	global_store_b32 v[4:5], v2, off
	s_branch .LBB23_1175
.LBB23_1104:
	s_mov_b32 s3, 0
	s_mov_b32 s2, s39
	s_branch .LBB23_1145
.LBB23_1105:
	s_and_b32 vcc_lo, exec_lo, s45
	s_cbranch_vccz .LBB23_1244
; %bb.1106:
	v_cmp_gt_i16_e32 vcc_lo, 5, v6
	s_mov_b32 s3, -1
	s_cbranch_vccnz .LBB23_1127
; %bb.1107:
	v_cmp_gt_i16_e32 vcc_lo, 8, v6
	s_cbranch_vccnz .LBB23_1117
; %bb.1108:
	v_cmp_gt_i16_e32 vcc_lo, 9, v6
	s_cbranch_vccnz .LBB23_1114
; %bb.1109:
	v_cmp_lt_i16_e32 vcc_lo, 9, v6
	s_cbranch_vccz .LBB23_1111
; %bb.1110:
	v_mov_b32_e32 v2, 0
	s_mov_b32 s3, 0
	s_delay_alu instid0(VALU_DEP_1)
	v_mov_b32_e32 v3, v2
	global_store_b128 v[4:5], v[0:3], off
.LBB23_1111:
	s_and_not1_b32 vcc_lo, exec_lo, s3
	s_cbranch_vccnz .LBB23_1113
; %bb.1112:
	v_cvt_f32_f64_e32 v2, v[0:1]
	v_mov_b32_e32 v3, 0
	global_store_b64 v[4:5], v[2:3], off
.LBB23_1113:
	s_mov_b32 s3, 0
.LBB23_1114:
	s_delay_alu instid0(SALU_CYCLE_1)
	s_and_not1_b32 vcc_lo, exec_lo, s3
	s_cbranch_vccnz .LBB23_1116
; %bb.1115:
	v_cvt_f32_f64_e32 v2, v[0:1]
	s_delay_alu instid0(VALU_DEP_1) | instskip(NEXT) | instid1(VALU_DEP_1)
	v_cvt_f16_f32_e32 v2, v2
	v_and_b32_e32 v2, 0xffff, v2
	global_store_b32 v[4:5], v2, off
.LBB23_1116:
	s_mov_b32 s3, 0
.LBB23_1117:
	s_delay_alu instid0(SALU_CYCLE_1)
	s_and_not1_b32 vcc_lo, exec_lo, s3
	s_cbranch_vccnz .LBB23_1126
; %bb.1118:
	v_cmp_gt_i16_e32 vcc_lo, 6, v6
	s_mov_b32 s3, -1
	s_cbranch_vccnz .LBB23_1124
; %bb.1119:
	v_cmp_lt_i16_e32 vcc_lo, 6, v6
	s_cbranch_vccz .LBB23_1121
; %bb.1120:
	s_mov_b32 s3, 0
	global_store_b64 v[4:5], v[0:1], off
.LBB23_1121:
	s_and_not1_b32 vcc_lo, exec_lo, s3
	s_cbranch_vccnz .LBB23_1123
; %bb.1122:
	v_cvt_f32_f64_e32 v2, v[0:1]
	global_store_b32 v[4:5], v2, off
.LBB23_1123:
	s_mov_b32 s3, 0
.LBB23_1124:
	s_delay_alu instid0(SALU_CYCLE_1)
	s_and_not1_b32 vcc_lo, exec_lo, s3
	s_cbranch_vccnz .LBB23_1126
; %bb.1125:
	v_cvt_f32_f64_e32 v2, v[0:1]
	s_delay_alu instid0(VALU_DEP_1)
	v_cvt_f16_f32_e32 v2, v2
	global_store_b16 v[4:5], v2, off
.LBB23_1126:
	s_mov_b32 s3, 0
.LBB23_1127:
	s_delay_alu instid0(SALU_CYCLE_1)
	s_and_not1_b32 vcc_lo, exec_lo, s3
	s_cbranch_vccnz .LBB23_1143
; %bb.1128:
	v_cmp_gt_i16_e32 vcc_lo, 2, v6
	s_mov_b32 s3, -1
	s_cbranch_vccnz .LBB23_1138
; %bb.1129:
	v_cmp_gt_i16_e32 vcc_lo, 3, v6
	s_cbranch_vccnz .LBB23_1135
; %bb.1130:
	v_cmp_lt_i16_e32 vcc_lo, 3, v6
	s_cbranch_vccz .LBB23_1132
; %bb.1131:
	v_trunc_f64_e32 v[2:3], v[0:1]
	s_mov_b32 s3, 0
	s_delay_alu instid0(VALU_DEP_1) | instskip(NEXT) | instid1(VALU_DEP_1)
	v_ldexp_f64 v[7:8], v[2:3], 0xffffffe0
	v_floor_f64_e32 v[7:8], v[7:8]
	s_delay_alu instid0(VALU_DEP_1) | instskip(SKIP_1) | instid1(VALU_DEP_2)
	v_fma_f64 v[2:3], 0xc1f00000, v[7:8], v[2:3]
	v_cvt_i32_f64_e32 v8, v[7:8]
	v_cvt_u32_f64_e32 v7, v[2:3]
	global_store_b64 v[4:5], v[7:8], off
.LBB23_1132:
	s_and_not1_b32 vcc_lo, exec_lo, s3
	s_cbranch_vccnz .LBB23_1134
; %bb.1133:
	v_cvt_i32_f64_e32 v2, v[0:1]
	global_store_b32 v[4:5], v2, off
.LBB23_1134:
	s_mov_b32 s3, 0
.LBB23_1135:
	s_delay_alu instid0(SALU_CYCLE_1)
	s_and_not1_b32 vcc_lo, exec_lo, s3
	s_cbranch_vccnz .LBB23_1137
; %bb.1136:
	v_cvt_i32_f64_e32 v2, v[0:1]
	global_store_b16 v[4:5], v2, off
.LBB23_1137:
	s_mov_b32 s3, 0
.LBB23_1138:
	s_delay_alu instid0(SALU_CYCLE_1)
	s_and_not1_b32 vcc_lo, exec_lo, s3
	s_cbranch_vccnz .LBB23_1143
; %bb.1139:
	v_cmp_lt_i16_e32 vcc_lo, 0, v6
	s_mov_b32 s3, -1
	s_cbranch_vccz .LBB23_1141
; %bb.1140:
	v_cvt_i32_f64_e32 v2, v[0:1]
	s_mov_b32 s3, 0
	global_store_b8 v[4:5], v2, off
.LBB23_1141:
	s_and_not1_b32 vcc_lo, exec_lo, s3
	s_cbranch_vccnz .LBB23_1143
; %bb.1142:
	v_trunc_f64_e32 v[0:1], v[0:1]
	s_delay_alu instid0(VALU_DEP_1) | instskip(NEXT) | instid1(VALU_DEP_1)
	v_ldexp_f64 v[2:3], v[0:1], 0xffffffe0
	v_floor_f64_e32 v[2:3], v[2:3]
	s_delay_alu instid0(VALU_DEP_1) | instskip(NEXT) | instid1(VALU_DEP_1)
	v_fma_f64 v[0:1], 0xc1f00000, v[2:3], v[0:1]
	v_cvt_u32_f64_e32 v0, v[0:1]
	global_store_b8 v[4:5], v0, off
.LBB23_1143:
	s_branch .LBB23_1245
.LBB23_1144:
	s_mov_b32 s3, 0
.LBB23_1145:
                                        ; implicit-def: $vgpr11
.LBB23_1146:
	s_and_not1_b32 s45, s39, exec_lo
	s_and_b32 s2, s2, exec_lo
	s_and_b32 s44, s44, exec_lo
	s_or_b32 s45, s45, s2
	s_and_not1_b32 s2, s40, exec_lo
	s_and_not1_b32 s46, s38, exec_lo
	s_and_b32 s43, s43, exec_lo
	s_or_b32 s44, s2, s44
	s_or_b32 s43, s46, s43
	s_or_not1_b32 s47, s3, exec_lo
.LBB23_1147:
	s_or_b32 exec_lo, exec_lo, s42
	s_mov_b32 s3, 0
	s_mov_b32 s46, 0
	;; [unrolled: 1-line block ×3, first 2 shown]
                                        ; implicit-def: $vgpr7
                                        ; implicit-def: $vgpr5_vgpr6
                                        ; implicit-def: $vgpr2
                                        ; implicit-def: $vgpr0
                                        ; implicit-def: $vgpr3_vgpr4
	s_and_saveexec_b32 s42, s47
	s_cbranch_execz .LBB23_1315
; %bb.1148:
	v_cmp_gt_i32_e32 vcc_lo, s31, v11
	s_mov_b32 s47, s43
                                        ; implicit-def: $vgpr7
                                        ; implicit-def: $vgpr5_vgpr6
                                        ; implicit-def: $vgpr2
                                        ; implicit-def: $vgpr0
                                        ; implicit-def: $vgpr3_vgpr4
	s_and_saveexec_b32 s31, vcc_lo
	s_cbranch_execz .LBB23_1314
; %bb.1149:
	s_and_not1_b32 vcc_lo, exec_lo, s27
	s_cbranch_vccnz .LBB23_1155
; %bb.1150:
	v_dual_mov_b32 v2, 0 :: v_dual_mov_b32 v1, 0
	v_mov_b32_e32 v0, 0
	s_and_not1_b32 vcc_lo, exec_lo, s33
	s_mov_b32 s33, 0
	s_cbranch_vccnz .LBB23_1156
; %bb.1151:
	s_add_i32 s2, s30, 1
	v_dual_mov_b32 v0, 0 :: v_dual_mov_b32 v1, 0
	s_waitcnt vmcnt(0)
	v_dual_mov_b32 v2, 0 :: v_dual_mov_b32 v3, v11
	s_and_b32 s46, s2, 30
	s_add_u32 s2, s16, 0xffffffec
	s_addc_u32 s3, s17, -1
	s_set_inst_prefetch_distance 0x1
	.p2align	6
.LBB23_1152:                            ; =>This Inner Loop Header: Depth=1
	s_clause 0x2
	s_load_b128 s[48:51], s[2:3], 0x18
	s_load_b64 s[56:57], s[2:3], 0x28
	s_load_b128 s[52:55], s[2:3], 0xd8
	s_waitcnt lgkmcnt(0)
	v_mul_hi_u32 v4, s49, v3
	s_delay_alu instid0(VALU_DEP_1) | instskip(NEXT) | instid1(VALU_DEP_1)
	v_add_nc_u32_e32 v4, v3, v4
	v_lshrrev_b32_e32 v4, s50, v4
	s_delay_alu instid0(VALU_DEP_1)
	v_mul_hi_u32 v5, s56, v4
	v_mul_lo_u32 v6, v4, s48
	s_load_b64 s[48:49], s[2:3], 0xe8
	s_add_u32 s2, s2, 24
	s_addc_u32 s3, s3, 0
	s_add_i32 s46, s46, -2
	s_delay_alu instid0(SALU_CYCLE_1) | instskip(NEXT) | instid1(VALU_DEP_2)
	s_cmp_eq_u32 s46, 0
	v_add_nc_u32_e32 v5, v4, v5
	s_delay_alu instid0(VALU_DEP_2) | instskip(NEXT) | instid1(VALU_DEP_2)
	v_sub_nc_u32_e32 v6, v3, v6
	v_lshrrev_b32_e32 v3, s57, v5
	s_delay_alu instid0(VALU_DEP_2) | instskip(NEXT) | instid1(VALU_DEP_2)
	v_mul_lo_u32 v7, v6, s52
	v_mul_lo_u32 v5, v3, s51
	s_delay_alu instid0(VALU_DEP_1) | instskip(SKIP_2) | instid1(VALU_DEP_3)
	v_sub_nc_u32_e32 v4, v4, v5
	v_mul_lo_u32 v5, v6, s53
	v_mul_lo_u32 v6, v6, s54
	;; [unrolled: 1-line block ×3, first 2 shown]
	s_waitcnt lgkmcnt(0)
	v_mul_lo_u32 v13, v4, s48
	v_mul_lo_u32 v4, v4, s49
	s_delay_alu instid0(VALU_DEP_3) | instskip(NEXT) | instid1(VALU_DEP_3)
	v_add3_u32 v2, v7, v2, v8
	v_add3_u32 v1, v5, v1, v13
	s_delay_alu instid0(VALU_DEP_3)
	v_add3_u32 v0, v6, v0, v4
	s_cbranch_scc0 .LBB23_1152
; %bb.1153:
	s_set_inst_prefetch_distance 0x2
	s_bitcmp1_b32 s30, 0
	s_cselect_b32 s30, -1, 0
	s_delay_alu instid0(SALU_CYCLE_1)
	s_and_b32 vcc_lo, exec_lo, s30
	s_cbranch_vccnz .LBB23_1156
; %bb.1154:
	s_clause 0x3
	s_load_b64 s[46:47], s[2:3], 0x18
	s_load_b32 s30, s[2:3], 0x20
	s_load_b64 s[48:49], s[2:3], 0xd8
	s_load_b32 s2, s[2:3], 0xe0
	s_waitcnt lgkmcnt(0)
	v_mul_hi_u32 v4, s47, v3
	s_delay_alu instid0(VALU_DEP_1) | instskip(NEXT) | instid1(VALU_DEP_1)
	v_add_nc_u32_e32 v4, v3, v4
	v_lshrrev_b32_e32 v4, s30, v4
	s_delay_alu instid0(VALU_DEP_1) | instskip(NEXT) | instid1(VALU_DEP_1)
	v_mul_lo_u32 v4, v4, s46
	v_sub_nc_u32_e32 v7, v3, v4
	s_delay_alu instid0(VALU_DEP_1) | instskip(SKIP_2) | instid1(VALU_DEP_2)
	v_mad_u64_u32 v[3:4], null, v7, s48, v[2:3]
	v_mad_u64_u32 v[4:5], null, v7, s49, v[1:2]
	;; [unrolled: 1-line block ×3, first 2 shown]
	v_dual_mov_b32 v2, v3 :: v_dual_mov_b32 v1, v4
	s_delay_alu instid0(VALU_DEP_2)
	v_mov_b32_e32 v0, v5
	s_branch .LBB23_1156
.LBB23_1155:
	s_mov_b32 s33, -1
                                        ; implicit-def: $vgpr2
                                        ; implicit-def: $vgpr1
                                        ; implicit-def: $vgpr0
.LBB23_1156:
	s_delay_alu instid0(SALU_CYCLE_1)
	s_and_not1_b32 vcc_lo, exec_lo, s33
	s_cbranch_vccnz .LBB23_1159
; %bb.1157:
	s_waitcnt lgkmcnt(0)
	v_mul_hi_u32 v0, s13, v11
	s_and_not1_b32 vcc_lo, exec_lo, s29
	s_delay_alu instid0(VALU_DEP_1) | instskip(SKIP_1) | instid1(VALU_DEP_1)
	v_add_nc_u32_e32 v0, v11, v0
	s_waitcnt vmcnt(0)
	v_lshrrev_b32_e32 v3, s14, v0
	s_delay_alu instid0(VALU_DEP_1) | instskip(NEXT) | instid1(VALU_DEP_1)
	v_mul_lo_u32 v0, v3, s12
	v_sub_nc_u32_e32 v0, v11, v0
	s_delay_alu instid0(VALU_DEP_1)
	v_mul_lo_u32 v2, v0, s8
	v_mul_lo_u32 v1, v0, s9
	v_mul_lo_u32 v0, v0, s10
	s_cbranch_vccnz .LBB23_1159
; %bb.1158:
	v_mul_hi_u32 v4, s22, v3
	s_delay_alu instid0(VALU_DEP_1) | instskip(NEXT) | instid1(VALU_DEP_1)
	v_add_nc_u32_e32 v4, v3, v4
	v_lshrrev_b32_e32 v4, s23, v4
	s_delay_alu instid0(VALU_DEP_1) | instskip(NEXT) | instid1(VALU_DEP_1)
	v_mul_lo_u32 v4, v4, s15
	v_sub_nc_u32_e32 v7, v3, v4
	s_delay_alu instid0(VALU_DEP_1) | instskip(SKIP_2) | instid1(VALU_DEP_2)
	v_mad_u64_u32 v[3:4], null, v7, s11, v[2:3]
	v_mad_u64_u32 v[4:5], null, v7, s20, v[1:2]
	;; [unrolled: 1-line block ×3, first 2 shown]
	v_dual_mov_b32 v2, v3 :: v_dual_mov_b32 v1, v4
	s_delay_alu instid0(VALU_DEP_2)
	v_mov_b32_e32 v0, v5
.LBB23_1159:
	v_and_b32_e32 v7, 0xff, v12
	s_waitcnt vmcnt(0) lgkmcnt(0)
	s_delay_alu instid0(VALU_DEP_3) | instskip(NEXT) | instid1(VALU_DEP_1)
	v_add_co_u32 v5, s2, s6, v1
	v_add_co_ci_u32_e64 v6, null, s7, 0, s2
	s_delay_alu instid0(VALU_DEP_3)
	v_cmp_gt_i16_e32 vcc_lo, 11, v7
	s_mov_b32 s2, 0
	s_cbranch_vccnz .LBB23_1166
; %bb.1160:
	v_cmp_lt_i16_e32 vcc_lo, 25, v7
	s_mov_b32 s7, 0
	s_cbranch_vccz .LBB23_1167
; %bb.1161:
	v_cmp_lt_i16_e32 vcc_lo, 28, v7
	s_cbranch_vccz .LBB23_1169
; %bb.1162:
	v_cmp_lt_i16_e32 vcc_lo, 43, v7
	;; [unrolled: 3-line block ×3, first 2 shown]
	s_cbranch_vccz .LBB23_1173
; %bb.1164:
	v_cmp_eq_u16_e32 vcc_lo, 46, v7
	s_mov_b32 s3, 0
	s_cbranch_vccz .LBB23_1246
; %bb.1165:
	global_load_b32 v1, v[5:6], off
	s_mov_b32 s6, 0
	s_mov_b32 s2, -1
	s_waitcnt vmcnt(0)
	v_lshlrev_b32_e32 v1, 16, v1
	s_delay_alu instid0(VALU_DEP_1)
	v_cvt_f64_f32_e32 v[3:4], v1
	s_branch .LBB23_1248
.LBB23_1166:
	s_mov_b32 s3, -1
	s_mov_b32 s7, 0
	s_mov_b32 s6, s43
                                        ; implicit-def: $vgpr3_vgpr4
	s_branch .LBB23_1313
.LBB23_1167:
	s_mov_b32 s3, -1
	s_mov_b32 s6, s43
                                        ; implicit-def: $vgpr3_vgpr4
	s_branch .LBB23_1281
.LBB23_1168:
	s_mov_b32 s2, s39
	s_branch .LBB23_1202
.LBB23_1169:
	s_mov_b32 s3, -1
	s_mov_b32 s6, s43
                                        ; implicit-def: $vgpr3_vgpr4
	s_branch .LBB23_1260
.LBB23_1170:
	s_mov_b32 s2, s39
	s_branch .LBB23_1185
.LBB23_1171:
	s_mov_b32 s3, -1
	s_mov_b32 s6, s43
                                        ; implicit-def: $vgpr3_vgpr4
	s_branch .LBB23_1255
.LBB23_1172:
	s_mov_b32 s2, s39
	s_branch .LBB23_1181
.LBB23_1173:
	s_mov_b32 s3, -1
	s_mov_b32 s6, s43
	s_branch .LBB23_1247
.LBB23_1174:
	s_mov_b32 s2, s39
.LBB23_1175:
	s_and_b32 vcc_lo, exec_lo, s45
	s_cbranch_vccz .LBB23_1180
; %bb.1176:
	v_cmp_eq_u16_e32 vcc_lo, 44, v6
	s_mov_b32 s2, -1
	s_cbranch_vccz .LBB23_1180
; %bb.1177:
	v_cvt_f32_f64_e32 v2, v[0:1]
	v_mov_b32_e32 v3, 0xff
	s_mov_b32 s3, exec_lo
	s_delay_alu instid0(VALU_DEP_2) | instskip(NEXT) | instid1(VALU_DEP_1)
	v_bfe_u32 v7, v2, 23, 8
	v_cmpx_ne_u32_e32 0xff, v7
; %bb.1178:
	v_and_b32_e32 v3, 0x400000, v2
	v_and_or_b32 v7, 0x3fffff, v2, v7
	v_lshrrev_b32_e32 v2, 23, v2
	s_delay_alu instid0(VALU_DEP_3) | instskip(NEXT) | instid1(VALU_DEP_3)
	v_cmp_ne_u32_e32 vcc_lo, 0, v3
	v_cmp_ne_u32_e64 s2, 0, v7
	s_delay_alu instid0(VALU_DEP_1) | instskip(NEXT) | instid1(SALU_CYCLE_1)
	s_and_b32 s2, vcc_lo, s2
	v_cndmask_b32_e64 v3, 0, 1, s2
	s_delay_alu instid0(VALU_DEP_1)
	v_add_nc_u32_e32 v3, v2, v3
; %bb.1179:
	s_or_b32 exec_lo, exec_lo, s3
	s_mov_b32 s3, -1
	s_mov_b32 s2, 0
	global_store_b8 v[4:5], v3, off
.LBB23_1180:
	s_mov_b32 s45, 0
.LBB23_1181:
	s_delay_alu instid0(SALU_CYCLE_1)
	s_and_b32 vcc_lo, exec_lo, s45
	s_cbranch_vccz .LBB23_1184
; %bb.1182:
	v_cmp_eq_u16_e32 vcc_lo, 29, v6
	s_mov_b32 s2, -1
	s_cbranch_vccz .LBB23_1184
; %bb.1183:
	v_trunc_f64_e32 v[2:3], v[0:1]
	s_mov_b32 s3, -1
	s_mov_b32 s2, 0
	s_mov_b32 s45, 0
	s_delay_alu instid0(VALU_DEP_1) | instskip(NEXT) | instid1(VALU_DEP_1)
	v_ldexp_f64 v[7:8], v[2:3], 0xffffffe0
	v_floor_f64_e32 v[7:8], v[7:8]
	s_delay_alu instid0(VALU_DEP_1) | instskip(SKIP_1) | instid1(VALU_DEP_2)
	v_fma_f64 v[2:3], 0xc1f00000, v[7:8], v[2:3]
	v_cvt_u32_f64_e32 v8, v[7:8]
	v_cvt_u32_f64_e32 v7, v[2:3]
	global_store_b64 v[4:5], v[7:8], off
	s_branch .LBB23_1185
.LBB23_1184:
	s_mov_b32 s45, 0
.LBB23_1185:
	s_delay_alu instid0(SALU_CYCLE_1)
	s_and_b32 vcc_lo, exec_lo, s45
	s_cbranch_vccz .LBB23_1201
; %bb.1186:
	v_cmp_gt_i16_e32 vcc_lo, 27, v6
	s_mov_b32 s3, -1
	s_cbranch_vccnz .LBB23_1192
; %bb.1187:
	v_cvt_u32_f64_e32 v2, v[0:1]
	v_cmp_lt_i16_e32 vcc_lo, 27, v6
	s_cbranch_vccz .LBB23_1189
; %bb.1188:
	s_mov_b32 s3, 0
	global_store_b32 v[4:5], v2, off
.LBB23_1189:
	s_and_not1_b32 vcc_lo, exec_lo, s3
	s_cbranch_vccnz .LBB23_1191
; %bb.1190:
	global_store_b16 v[4:5], v2, off
.LBB23_1191:
	s_mov_b32 s3, 0
.LBB23_1192:
	s_delay_alu instid0(SALU_CYCLE_1)
	s_and_not1_b32 vcc_lo, exec_lo, s3
	s_cbranch_vccnz .LBB23_1200
; %bb.1193:
	v_cvt_f32_f64_e32 v2, v[0:1]
	v_mov_b32_e32 v7, 0x80
	s_mov_b32 s3, exec_lo
	s_delay_alu instid0(VALU_DEP_2) | instskip(NEXT) | instid1(VALU_DEP_1)
	v_and_b32_e32 v3, 0x7fffffff, v2
	v_cmpx_gt_u32_e32 0x43800000, v3
	s_cbranch_execz .LBB23_1199
; %bb.1194:
	v_cmp_lt_u32_e32 vcc_lo, 0x3bffffff, v3
	s_mov_b32 s45, 0
                                        ; implicit-def: $vgpr3
	s_and_saveexec_b32 s46, vcc_lo
	s_delay_alu instid0(SALU_CYCLE_1)
	s_xor_b32 s46, exec_lo, s46
	s_cbranch_execz .LBB23_1251
; %bb.1195:
	v_bfe_u32 v3, v2, 20, 1
	s_mov_b32 s45, exec_lo
	s_delay_alu instid0(VALU_DEP_1) | instskip(NEXT) | instid1(VALU_DEP_1)
	v_add3_u32 v3, v2, v3, 0x487ffff
	v_lshrrev_b32_e32 v3, 20, v3
	s_or_saveexec_b32 s46, s46
                                        ; implicit-def: $sgpr47
	s_delay_alu instid0(SALU_CYCLE_1)
	s_xor_b32 exec_lo, exec_lo, s46
	s_cbranch_execnz .LBB23_1252
.LBB23_1196:
	s_or_b32 exec_lo, exec_lo, s46
	v_mov_b32_e32 v7, s47
	s_and_saveexec_b32 s46, s45
.LBB23_1197:
	v_lshrrev_b32_e32 v2, 24, v2
	s_delay_alu instid0(VALU_DEP_1)
	v_and_or_b32 v7, 0x80, v2, v3
.LBB23_1198:
	s_or_b32 exec_lo, exec_lo, s46
.LBB23_1199:
	s_delay_alu instid0(SALU_CYCLE_1)
	s_or_b32 exec_lo, exec_lo, s3
	global_store_b8 v[4:5], v7, off
.LBB23_1200:
	s_mov_b32 s3, -1
.LBB23_1201:
	s_mov_b32 s45, 0
.LBB23_1202:
	s_delay_alu instid0(SALU_CYCLE_1)
	s_and_b32 vcc_lo, exec_lo, s45
	s_cbranch_vccz .LBB23_1243
; %bb.1203:
	v_cmp_lt_i16_e32 vcc_lo, 22, v6
	s_mov_b32 s45, -1
	s_cbranch_vccz .LBB23_1235
; %bb.1204:
	v_cmp_gt_i16_e32 vcc_lo, 24, v6
	s_mov_b32 s3, -1
	s_cbranch_vccnz .LBB23_1224
; %bb.1205:
	v_cmp_lt_i16_e32 vcc_lo, 24, v6
	s_cbranch_vccz .LBB23_1213
; %bb.1206:
	v_cvt_f32_f64_e32 v2, v[0:1]
	v_mov_b32_e32 v7, 0x80
	s_mov_b32 s3, exec_lo
	s_delay_alu instid0(VALU_DEP_2) | instskip(NEXT) | instid1(VALU_DEP_1)
	v_and_b32_e32 v3, 0x7fffffff, v2
	v_cmpx_gt_u32_e32 0x47800000, v3
	s_cbranch_execz .LBB23_1212
; %bb.1207:
	v_cmp_lt_u32_e32 vcc_lo, 0x37ffffff, v3
	s_mov_b32 s45, 0
                                        ; implicit-def: $vgpr3
	s_and_saveexec_b32 s46, vcc_lo
	s_delay_alu instid0(SALU_CYCLE_1)
	s_xor_b32 s46, exec_lo, s46
	s_cbranch_execz .LBB23_2376
; %bb.1208:
	v_bfe_u32 v3, v2, 21, 1
	s_mov_b32 s45, exec_lo
	s_delay_alu instid0(VALU_DEP_1) | instskip(NEXT) | instid1(VALU_DEP_1)
	v_add3_u32 v3, v2, v3, 0x88fffff
	v_lshrrev_b32_e32 v3, 21, v3
	s_or_saveexec_b32 s46, s46
                                        ; implicit-def: $sgpr47
	s_delay_alu instid0(SALU_CYCLE_1)
	s_xor_b32 exec_lo, exec_lo, s46
	s_cbranch_execnz .LBB23_2377
.LBB23_1209:
	s_or_b32 exec_lo, exec_lo, s46
	v_mov_b32_e32 v7, s47
	s_and_saveexec_b32 s46, s45
.LBB23_1210:
	v_lshrrev_b32_e32 v2, 24, v2
	s_delay_alu instid0(VALU_DEP_1)
	v_and_or_b32 v7, 0x80, v2, v3
.LBB23_1211:
	s_or_b32 exec_lo, exec_lo, s46
.LBB23_1212:
	s_delay_alu instid0(SALU_CYCLE_1)
	s_or_b32 exec_lo, exec_lo, s3
	s_mov_b32 s3, 0
	global_store_b8 v[4:5], v7, off
.LBB23_1213:
	s_and_b32 vcc_lo, exec_lo, s3
	s_cbranch_vccz .LBB23_1223
; %bb.1214:
	v_cvt_f32_f64_e32 v2, v[0:1]
	s_mov_b32 s3, exec_lo
                                        ; implicit-def: $vgpr3
	s_delay_alu instid0(VALU_DEP_1) | instskip(NEXT) | instid1(VALU_DEP_1)
	v_and_b32_e32 v7, 0x7fffffff, v2
	v_cmpx_gt_u32_e32 0x43f00000, v7
	s_xor_b32 s3, exec_lo, s3
	s_cbranch_execz .LBB23_1220
; %bb.1215:
	s_mov_b32 s45, exec_lo
                                        ; implicit-def: $vgpr3
	v_cmpx_lt_u32_e32 0x3c7fffff, v7
	s_xor_b32 s45, exec_lo, s45
; %bb.1216:
	v_bfe_u32 v3, v2, 20, 1
	s_delay_alu instid0(VALU_DEP_1) | instskip(NEXT) | instid1(VALU_DEP_1)
	v_add3_u32 v3, v2, v3, 0x407ffff
	v_and_b32_e32 v7, 0xff00000, v3
	v_lshrrev_b32_e32 v3, 20, v3
	s_delay_alu instid0(VALU_DEP_2) | instskip(NEXT) | instid1(VALU_DEP_2)
	v_cmp_ne_u32_e32 vcc_lo, 0x7f00000, v7
	v_cndmask_b32_e32 v3, 0x7e, v3, vcc_lo
; %bb.1217:
	s_and_not1_saveexec_b32 s45, s45
; %bb.1218:
	v_add_f32_e64 v3, 0x46800000, |v2|
; %bb.1219:
	s_or_b32 exec_lo, exec_lo, s45
                                        ; implicit-def: $vgpr7
.LBB23_1220:
	s_and_not1_saveexec_b32 s3, s3
; %bb.1221:
	v_mov_b32_e32 v3, 0x7f
	v_cmp_lt_u32_e32 vcc_lo, 0x7f800000, v7
	s_delay_alu instid0(VALU_DEP_2)
	v_cndmask_b32_e32 v3, 0x7e, v3, vcc_lo
; %bb.1222:
	s_or_b32 exec_lo, exec_lo, s3
	v_lshrrev_b32_e32 v2, 24, v2
	s_delay_alu instid0(VALU_DEP_1)
	v_and_or_b32 v2, 0x80, v2, v3
	global_store_b8 v[4:5], v2, off
.LBB23_1223:
	s_mov_b32 s3, 0
.LBB23_1224:
	s_delay_alu instid0(SALU_CYCLE_1)
	s_and_not1_b32 vcc_lo, exec_lo, s3
	s_cbranch_vccnz .LBB23_1234
; %bb.1225:
	v_cvt_f32_f64_e32 v2, v[0:1]
	s_mov_b32 s3, exec_lo
                                        ; implicit-def: $vgpr3
	s_delay_alu instid0(VALU_DEP_1) | instskip(NEXT) | instid1(VALU_DEP_1)
	v_and_b32_e32 v7, 0x7fffffff, v2
	v_cmpx_gt_u32_e32 0x47800000, v7
	s_xor_b32 s3, exec_lo, s3
	s_cbranch_execz .LBB23_1231
; %bb.1226:
	s_mov_b32 s45, exec_lo
                                        ; implicit-def: $vgpr3
	v_cmpx_lt_u32_e32 0x387fffff, v7
	s_xor_b32 s45, exec_lo, s45
; %bb.1227:
	v_bfe_u32 v3, v2, 21, 1
	s_delay_alu instid0(VALU_DEP_1) | instskip(NEXT) | instid1(VALU_DEP_1)
	v_add3_u32 v3, v2, v3, 0x80fffff
	v_lshrrev_b32_e32 v3, 21, v3
; %bb.1228:
	s_and_not1_saveexec_b32 s45, s45
; %bb.1229:
	v_add_f32_e64 v3, 0x43000000, |v2|
; %bb.1230:
	s_or_b32 exec_lo, exec_lo, s45
                                        ; implicit-def: $vgpr7
.LBB23_1231:
	s_and_not1_saveexec_b32 s3, s3
; %bb.1232:
	v_mov_b32_e32 v3, 0x7f
	v_cmp_lt_u32_e32 vcc_lo, 0x7f800000, v7
	s_delay_alu instid0(VALU_DEP_2)
	v_cndmask_b32_e32 v3, 0x7c, v3, vcc_lo
; %bb.1233:
	s_or_b32 exec_lo, exec_lo, s3
	v_lshrrev_b32_e32 v2, 24, v2
	s_delay_alu instid0(VALU_DEP_1)
	v_and_or_b32 v2, 0x80, v2, v3
	global_store_b8 v[4:5], v2, off
.LBB23_1234:
	s_mov_b32 s45, 0
	s_mov_b32 s3, -1
.LBB23_1235:
	s_and_not1_b32 vcc_lo, exec_lo, s45
	s_cbranch_vccnz .LBB23_1243
; %bb.1236:
	v_cmp_lt_i16_e32 vcc_lo, 14, v6
	s_mov_b32 s45, -1
	s_cbranch_vccz .LBB23_1240
; %bb.1237:
	v_cmp_eq_u16_e32 vcc_lo, 15, v6
	s_mov_b32 s2, -1
	s_cbranch_vccz .LBB23_1239
; %bb.1238:
	v_cvt_f32_f64_e32 v2, v[0:1]
	s_mov_b32 s3, -1
	s_mov_b32 s2, 0
	s_delay_alu instid0(VALU_DEP_1) | instskip(SKIP_1) | instid1(VALU_DEP_2)
	v_bfe_u32 v3, v2, 16, 1
	v_cmp_o_f32_e32 vcc_lo, v2, v2
	v_add3_u32 v3, v2, v3, 0x7fff
	s_delay_alu instid0(VALU_DEP_1) | instskip(NEXT) | instid1(VALU_DEP_1)
	v_lshrrev_b32_e32 v3, 16, v3
	v_cndmask_b32_e32 v2, 0x7fc0, v3, vcc_lo
	global_store_b16 v[4:5], v2, off
.LBB23_1239:
	s_mov_b32 s45, 0
.LBB23_1240:
	s_delay_alu instid0(SALU_CYCLE_1)
	s_and_b32 vcc_lo, exec_lo, s45
	s_cbranch_vccz .LBB23_1243
; %bb.1241:
	v_cmp_eq_u16_e32 vcc_lo, 11, v6
	s_mov_b32 s2, -1
	s_cbranch_vccz .LBB23_1243
; %bb.1242:
	v_cmp_neq_f64_e32 vcc_lo, 0, v[0:1]
	s_mov_b32 s3, -1
	s_mov_b32 s2, 0
	v_cndmask_b32_e64 v2, 0, 1, vcc_lo
	global_store_b8 v[4:5], v2, off
.LBB23_1243:
.LBB23_1244:
	s_and_not1_b32 vcc_lo, exec_lo, s3
	s_cbranch_vccnz .LBB23_1144
.LBB23_1245:
	v_add_nc_u32_e32 v11, 0x80, v11
	s_mov_b32 s3, -1
	s_branch .LBB23_1146
.LBB23_1246:
	s_mov_b32 s6, -1
.LBB23_1247:
                                        ; implicit-def: $vgpr3_vgpr4
.LBB23_1248:
	s_and_b32 vcc_lo, exec_lo, s3
	s_cbranch_vccz .LBB23_1254
; %bb.1249:
	v_cmp_eq_u16_e32 vcc_lo, 44, v7
	s_cbranch_vccz .LBB23_1253
; %bb.1250:
	global_load_u8 v1, v[5:6], off
	s_mov_b32 s6, 0
	s_mov_b32 s2, -1
	s_waitcnt vmcnt(0)
	v_cmp_ne_u32_e32 vcc_lo, 0xff, v1
	v_lshlrev_b32_e32 v3, 23, v1
	s_delay_alu instid0(VALU_DEP_1) | instskip(NEXT) | instid1(VALU_DEP_1)
	v_cvt_f64_f32_e32 v[3:4], v3
	v_cndmask_b32_e32 v4, 0x7ff80000, v4, vcc_lo
	s_delay_alu instid0(VALU_DEP_2) | instskip(SKIP_1) | instid1(VALU_DEP_3)
	v_cndmask_b32_e32 v3, 0x20000000, v3, vcc_lo
	v_cmp_ne_u32_e32 vcc_lo, 0, v1
	v_cndmask_b32_e32 v4, 0x38000000, v4, vcc_lo
	s_delay_alu instid0(VALU_DEP_3)
	v_cndmask_b32_e32 v3, 0, v3, vcc_lo
	s_branch .LBB23_1254
.LBB23_1251:
	s_or_saveexec_b32 s46, s46
                                        ; implicit-def: $sgpr47
	s_delay_alu instid0(SALU_CYCLE_1)
	s_xor_b32 exec_lo, exec_lo, s46
	s_cbranch_execz .LBB23_1196
.LBB23_1252:
	v_add_f32_e64 v3, 0x46000000, |v2|
	s_and_not1_b32 s45, s45, exec_lo
	s_mov_b32 s47, 0
	s_delay_alu instid0(VALU_DEP_1) | instskip(NEXT) | instid1(VALU_DEP_1)
	v_and_b32_e32 v3, 0xff, v3
	v_cmp_ne_u32_e32 vcc_lo, 0, v3
	s_and_b32 s48, vcc_lo, exec_lo
	s_delay_alu instid0(SALU_CYCLE_1)
	s_or_b32 s45, s45, s48
	s_or_b32 exec_lo, exec_lo, s46
	v_mov_b32_e32 v7, s47
	s_and_saveexec_b32 s46, s45
	s_cbranch_execnz .LBB23_1197
	s_branch .LBB23_1198
.LBB23_1253:
	s_mov_b32 s6, -1
                                        ; implicit-def: $vgpr3_vgpr4
.LBB23_1254:
	s_mov_b32 s3, 0
.LBB23_1255:
	s_delay_alu instid0(SALU_CYCLE_1)
	s_and_b32 vcc_lo, exec_lo, s3
	s_cbranch_vccz .LBB23_1259
; %bb.1256:
	v_cmp_eq_u16_e32 vcc_lo, 29, v7
	s_cbranch_vccz .LBB23_1258
; %bb.1257:
	global_load_b64 v[3:4], v[5:6], off
	s_mov_b32 s6, 0
	s_mov_b32 s2, -1
	s_mov_b32 s3, 0
	s_waitcnt vmcnt(0)
	v_cvt_f64_u32_e32 v[11:12], v4
	v_cvt_f64_u32_e32 v[3:4], v3
	s_delay_alu instid0(VALU_DEP_2) | instskip(NEXT) | instid1(VALU_DEP_1)
	v_ldexp_f64 v[11:12], v[11:12], 32
	v_add_f64 v[3:4], v[11:12], v[3:4]
	s_branch .LBB23_1260
.LBB23_1258:
	s_mov_b32 s6, -1
                                        ; implicit-def: $vgpr3_vgpr4
.LBB23_1259:
	s_mov_b32 s3, 0
.LBB23_1260:
	s_delay_alu instid0(SALU_CYCLE_1)
	s_and_b32 vcc_lo, exec_lo, s3
	s_cbranch_vccz .LBB23_1280
; %bb.1261:
	v_cmp_gt_i16_e32 vcc_lo, 27, v7
	s_cbranch_vccnz .LBB23_1264
; %bb.1262:
	v_cmp_lt_i16_e32 vcc_lo, 27, v7
	s_cbranch_vccz .LBB23_1265
; %bb.1263:
	global_load_b32 v1, v[5:6], off
	s_mov_b32 s2, 0
	s_waitcnt vmcnt(0)
	v_cvt_f64_u32_e32 v[3:4], v1
	s_branch .LBB23_1266
.LBB23_1264:
	s_mov_b32 s2, -1
                                        ; implicit-def: $vgpr3_vgpr4
	s_branch .LBB23_1269
.LBB23_1265:
	s_mov_b32 s2, -1
                                        ; implicit-def: $vgpr3_vgpr4
.LBB23_1266:
	s_delay_alu instid0(SALU_CYCLE_1)
	s_and_not1_b32 vcc_lo, exec_lo, s2
	s_cbranch_vccnz .LBB23_1268
; %bb.1267:
	global_load_u16 v1, v[5:6], off
	s_waitcnt vmcnt(0)
	v_cvt_f64_u32_e32 v[3:4], v1
.LBB23_1268:
	s_mov_b32 s2, 0
.LBB23_1269:
	s_delay_alu instid0(SALU_CYCLE_1)
	s_and_not1_b32 vcc_lo, exec_lo, s2
	s_cbranch_vccnz .LBB23_1279
; %bb.1270:
	global_load_u8 v1, v[5:6], off
	s_mov_b32 s8, 0
	s_mov_b32 s9, exec_lo
                                        ; implicit-def: $sgpr2_sgpr3
	s_waitcnt vmcnt(0)
	v_cmpx_lt_i16_e32 0x7f, v1
	s_xor_b32 s9, exec_lo, s9
	s_cbranch_execz .LBB23_1274
; %bb.1271:
	s_mov_b32 s10, -1
	s_mov_b32 s8, exec_lo
                                        ; implicit-def: $sgpr2_sgpr3
	v_cmpx_eq_u16_e32 0x80, v1
; %bb.1272:
	s_mov_b32 s3, 0x7ff80000
	s_brev_b32 s2, 4
	s_xor_b32 s10, exec_lo, -1
; %bb.1273:
	s_or_b32 exec_lo, exec_lo, s8
	s_delay_alu instid0(SALU_CYCLE_1)
	s_and_b32 s8, s10, exec_lo
.LBB23_1274:
	s_or_saveexec_b32 s9, s9
	v_dual_mov_b32 v4, s3 :: v_dual_mov_b32 v3, s2
	s_xor_b32 exec_lo, exec_lo, s9
; %bb.1275:
	v_cmp_ne_u16_e32 vcc_lo, 0, v1
	v_mov_b32_e32 v3, 0
	v_mov_b32_e32 v4, 0
	s_and_not1_b32 s2, s8, exec_lo
	s_and_b32 s3, vcc_lo, exec_lo
	s_delay_alu instid0(SALU_CYCLE_1)
	s_or_b32 s8, s2, s3
; %bb.1276:
	s_or_b32 exec_lo, exec_lo, s9
	s_and_saveexec_b32 s2, s8
	s_cbranch_execz .LBB23_1278
; %bb.1277:
	v_and_b32_e32 v3, 0xffff, v1
	v_lshlrev_b32_e32 v1, 24, v1
	s_delay_alu instid0(VALU_DEP_2) | instskip(NEXT) | instid1(VALU_DEP_2)
	v_and_b32_e32 v4, 7, v3
	v_and_b32_e32 v1, 0x80000000, v1
	s_delay_alu instid0(VALU_DEP_2) | instskip(NEXT) | instid1(VALU_DEP_1)
	v_clz_i32_u32_e32 v8, v4
	v_min_u32_e32 v8, 32, v8
	s_delay_alu instid0(VALU_DEP_1) | instskip(SKIP_1) | instid1(VALU_DEP_2)
	v_subrev_nc_u32_e32 v11, 28, v8
	v_sub_nc_u32_e32 v8, 29, v8
	v_lshlrev_b32_e32 v11, v11, v3
	v_bfe_u32 v3, v3, 3, 4
	s_delay_alu instid0(VALU_DEP_2) | instskip(NEXT) | instid1(VALU_DEP_2)
	v_and_b32_e32 v11, 7, v11
	v_cmp_eq_u32_e32 vcc_lo, 0, v3
	s_delay_alu instid0(VALU_DEP_2) | instskip(NEXT) | instid1(VALU_DEP_1)
	v_dual_cndmask_b32 v3, v3, v8 :: v_dual_cndmask_b32 v4, v4, v11
	v_lshl_add_u32 v3, v3, 23, 0x3b800000
	s_delay_alu instid0(VALU_DEP_2) | instskip(NEXT) | instid1(VALU_DEP_1)
	v_lshlrev_b32_e32 v4, 20, v4
	v_or3_b32 v1, v1, v3, v4
	s_delay_alu instid0(VALU_DEP_1)
	v_cvt_f64_f32_e32 v[3:4], v1
.LBB23_1278:
	s_or_b32 exec_lo, exec_lo, s2
.LBB23_1279:
	s_mov_b32 s2, -1
.LBB23_1280:
	s_mov_b32 s3, 0
.LBB23_1281:
	s_delay_alu instid0(SALU_CYCLE_1)
	s_and_b32 vcc_lo, exec_lo, s3
	s_cbranch_vccz .LBB23_1312
; %bb.1282:
	v_cmp_lt_i16_e32 vcc_lo, 22, v7
	s_cbranch_vccz .LBB23_1294
; %bb.1283:
	v_cmp_gt_i16_e32 vcc_lo, 24, v7
	s_cbranch_vccnz .LBB23_1295
; %bb.1284:
	v_cmp_lt_i16_e32 vcc_lo, 24, v7
	s_cbranch_vccz .LBB23_1296
; %bb.1285:
	global_load_u8 v1, v[5:6], off
	s_mov_b32 s8, exec_lo
                                        ; implicit-def: $sgpr2_sgpr3
	s_waitcnt vmcnt(0)
	v_cmpx_lt_i16_e32 0x7f, v1
	s_xor_b32 s8, exec_lo, s8
	s_cbranch_execz .LBB23_1289
; %bb.1286:
	s_mov_b32 s9, -1
	s_mov_b32 s7, exec_lo
                                        ; implicit-def: $sgpr2_sgpr3
	v_cmpx_eq_u16_e32 0x80, v1
; %bb.1287:
	s_mov_b32 s3, 0x7ff80000
	s_brev_b32 s2, 4
	s_xor_b32 s9, exec_lo, -1
; %bb.1288:
	s_or_b32 exec_lo, exec_lo, s7
	s_delay_alu instid0(SALU_CYCLE_1)
	s_and_b32 s7, s9, exec_lo
.LBB23_1289:
	s_or_saveexec_b32 s8, s8
	v_dual_mov_b32 v4, s3 :: v_dual_mov_b32 v3, s2
	s_xor_b32 exec_lo, exec_lo, s8
; %bb.1290:
	v_cmp_ne_u16_e32 vcc_lo, 0, v1
	v_mov_b32_e32 v3, 0
	v_mov_b32_e32 v4, 0
	s_and_not1_b32 s2, s7, exec_lo
	s_and_b32 s3, vcc_lo, exec_lo
	s_delay_alu instid0(SALU_CYCLE_1)
	s_or_b32 s7, s2, s3
; %bb.1291:
	s_or_b32 exec_lo, exec_lo, s8
	s_and_saveexec_b32 s2, s7
	s_cbranch_execz .LBB23_1293
; %bb.1292:
	v_and_b32_e32 v3, 0xffff, v1
	v_lshlrev_b32_e32 v1, 24, v1
	s_delay_alu instid0(VALU_DEP_2) | instskip(NEXT) | instid1(VALU_DEP_2)
	v_and_b32_e32 v4, 3, v3
	v_and_b32_e32 v1, 0x80000000, v1
	s_delay_alu instid0(VALU_DEP_2) | instskip(NEXT) | instid1(VALU_DEP_1)
	v_clz_i32_u32_e32 v8, v4
	v_min_u32_e32 v8, 32, v8
	s_delay_alu instid0(VALU_DEP_1) | instskip(SKIP_1) | instid1(VALU_DEP_2)
	v_subrev_nc_u32_e32 v11, 29, v8
	v_sub_nc_u32_e32 v8, 30, v8
	v_lshlrev_b32_e32 v11, v11, v3
	v_bfe_u32 v3, v3, 2, 5
	s_delay_alu instid0(VALU_DEP_2) | instskip(NEXT) | instid1(VALU_DEP_2)
	v_and_b32_e32 v11, 3, v11
	v_cmp_eq_u32_e32 vcc_lo, 0, v3
	s_delay_alu instid0(VALU_DEP_2) | instskip(NEXT) | instid1(VALU_DEP_1)
	v_dual_cndmask_b32 v3, v3, v8 :: v_dual_cndmask_b32 v4, v4, v11
	v_lshl_add_u32 v3, v3, 23, 0x37800000
	s_delay_alu instid0(VALU_DEP_2) | instskip(NEXT) | instid1(VALU_DEP_1)
	v_lshlrev_b32_e32 v4, 21, v4
	v_or3_b32 v1, v1, v3, v4
	s_delay_alu instid0(VALU_DEP_1)
	v_cvt_f64_f32_e32 v[3:4], v1
.LBB23_1293:
	s_or_b32 exec_lo, exec_lo, s2
	s_mov_b32 s2, 0
	s_branch .LBB23_1297
.LBB23_1294:
	s_mov_b32 s3, -1
                                        ; implicit-def: $vgpr3_vgpr4
	s_branch .LBB23_1303
.LBB23_1295:
	s_mov_b32 s2, -1
                                        ; implicit-def: $vgpr3_vgpr4
	s_branch .LBB23_1300
.LBB23_1296:
	s_mov_b32 s2, -1
                                        ; implicit-def: $vgpr3_vgpr4
.LBB23_1297:
	s_delay_alu instid0(SALU_CYCLE_1)
	s_and_b32 vcc_lo, exec_lo, s2
	s_cbranch_vccz .LBB23_1299
; %bb.1298:
	global_load_u8 v1, v[5:6], off
	s_waitcnt vmcnt(0)
	v_lshlrev_b32_e32 v1, 24, v1
	s_delay_alu instid0(VALU_DEP_1) | instskip(NEXT) | instid1(VALU_DEP_1)
	v_and_b32_e32 v3, 0x7f000000, v1
	v_clz_i32_u32_e32 v4, v3
	v_cmp_ne_u32_e32 vcc_lo, 0, v3
	v_add_nc_u32_e32 v11, 0x1000000, v3
	s_delay_alu instid0(VALU_DEP_3) | instskip(NEXT) | instid1(VALU_DEP_1)
	v_min_u32_e32 v4, 32, v4
	v_sub_nc_u32_e64 v4, v4, 4 clamp
	s_delay_alu instid0(VALU_DEP_1) | instskip(SKIP_1) | instid1(VALU_DEP_2)
	v_lshlrev_b32_e32 v8, v4, v3
	v_lshlrev_b32_e32 v4, 23, v4
	v_lshrrev_b32_e32 v8, 4, v8
	s_delay_alu instid0(VALU_DEP_1) | instskip(SKIP_1) | instid1(VALU_DEP_2)
	v_sub_nc_u32_e32 v4, v8, v4
	v_ashrrev_i32_e32 v8, 8, v11
	v_add_nc_u32_e32 v4, 0x3c000000, v4
	s_delay_alu instid0(VALU_DEP_1) | instskip(NEXT) | instid1(VALU_DEP_1)
	v_and_or_b32 v4, 0x7f800000, v8, v4
	v_cndmask_b32_e32 v3, 0, v4, vcc_lo
	s_delay_alu instid0(VALU_DEP_1) | instskip(NEXT) | instid1(VALU_DEP_1)
	v_and_or_b32 v1, 0x80000000, v1, v3
	v_cvt_f64_f32_e32 v[3:4], v1
.LBB23_1299:
	s_mov_b32 s2, 0
.LBB23_1300:
	s_delay_alu instid0(SALU_CYCLE_1)
	s_and_not1_b32 vcc_lo, exec_lo, s2
	s_cbranch_vccnz .LBB23_1302
; %bb.1301:
	global_load_u8 v1, v[5:6], off
	s_waitcnt vmcnt(0)
	v_lshlrev_b32_e32 v3, 25, v1
	v_lshlrev_b16 v1, 8, v1
	s_delay_alu instid0(VALU_DEP_1) | instskip(SKIP_1) | instid1(VALU_DEP_2)
	v_and_or_b32 v8, 0x7f00, v1, 0.5
	v_bfe_i32 v1, v1, 0, 16
	v_add_f32_e32 v8, -0.5, v8
	v_lshrrev_b32_e32 v4, 4, v3
	v_cmp_gt_u32_e32 vcc_lo, 0x8000000, v3
	s_delay_alu instid0(VALU_DEP_2) | instskip(NEXT) | instid1(VALU_DEP_1)
	v_or_b32_e32 v4, 0x70000000, v4
	v_mul_f32_e32 v4, 0x7800000, v4
	s_delay_alu instid0(VALU_DEP_1) | instskip(NEXT) | instid1(VALU_DEP_1)
	v_cndmask_b32_e32 v3, v4, v8, vcc_lo
	v_and_or_b32 v1, 0x80000000, v1, v3
	s_delay_alu instid0(VALU_DEP_1)
	v_cvt_f64_f32_e32 v[3:4], v1
.LBB23_1302:
	s_mov_b32 s3, 0
	s_mov_b32 s2, -1
.LBB23_1303:
	s_and_not1_b32 vcc_lo, exec_lo, s3
	s_mov_b32 s7, 0
	s_cbranch_vccnz .LBB23_1312
; %bb.1304:
	v_cmp_lt_i16_e32 vcc_lo, 14, v7
	s_cbranch_vccz .LBB23_1307
; %bb.1305:
	v_cmp_eq_u16_e32 vcc_lo, 15, v7
	s_cbranch_vccz .LBB23_1308
; %bb.1306:
	global_load_u16 v1, v[5:6], off
	s_mov_b32 s6, 0
	s_mov_b32 s2, -1
	s_waitcnt vmcnt(0)
	v_lshlrev_b32_e32 v1, 16, v1
	s_delay_alu instid0(VALU_DEP_1)
	v_cvt_f64_f32_e32 v[3:4], v1
	s_branch .LBB23_1309
.LBB23_1307:
	s_mov_b32 s3, -1
                                        ; implicit-def: $vgpr3_vgpr4
	s_branch .LBB23_1310
.LBB23_1308:
	s_mov_b32 s6, -1
                                        ; implicit-def: $vgpr3_vgpr4
.LBB23_1309:
	s_mov_b32 s3, 0
.LBB23_1310:
	s_delay_alu instid0(SALU_CYCLE_1)
	s_and_b32 vcc_lo, exec_lo, s3
	s_cbranch_vccz .LBB23_1312
; %bb.1311:
	v_cmp_ne_u16_e32 vcc_lo, 11, v7
	s_and_not1_b32 s3, s6, exec_lo
	s_mov_b32 s7, -1
                                        ; implicit-def: $vgpr3_vgpr4
	s_and_b32 s6, vcc_lo, exec_lo
	s_delay_alu instid0(SALU_CYCLE_1)
	s_or_b32 s6, s3, s6
.LBB23_1312:
	s_mov_b32 s3, 0
.LBB23_1313:
	s_and_not1_b32 s8, s43, exec_lo
	s_and_b32 s6, s6, exec_lo
	s_and_b32 s2, s2, exec_lo
	;; [unrolled: 1-line block ×4, first 2 shown]
	s_or_b32 s47, s8, s6
.LBB23_1314:
	s_or_b32 exec_lo, exec_lo, s31
	s_waitcnt lgkmcnt(0)
	s_and_not1_b32 s6, s43, exec_lo
	s_and_b32 s7, s47, exec_lo
	s_and_b32 s2, s2, exec_lo
	;; [unrolled: 1-line block ×4, first 2 shown]
	s_or_b32 s43, s6, s7
.LBB23_1315:
	s_or_b32 exec_lo, exec_lo, s42
	s_waitcnt lgkmcnt(0)
	s_and_not1_b32 s6, s39, exec_lo
	s_and_b32 s7, s45, exec_lo
	s_and_not1_b32 s8, s40, exec_lo
	s_and_b32 s9, s44, exec_lo
	s_or_b32 s39, s6, s7
	s_and_not1_b32 s6, s38, exec_lo
	s_and_b32 s7, s43, exec_lo
	s_or_b32 s40, s8, s9
	s_and_b32 s2, s2, exec_lo
	s_and_b32 s42, s46, exec_lo
	;; [unrolled: 1-line block ×3, first 2 shown]
	s_or_b32 s38, s6, s7
.LBB23_1316:
	s_or_b32 exec_lo, exec_lo, s41
	s_waitcnt lgkmcnt(0)
	s_and_not1_b32 s6, s34, exec_lo
	s_and_b32 s7, s39, exec_lo
	s_and_not1_b32 s8, s35, exec_lo
	s_and_b32 s9, s40, exec_lo
	s_or_b32 s34, s6, s7
	s_and_not1_b32 s6, s36, exec_lo
	s_and_b32 s7, s38, exec_lo
	s_or_b32 s35, s8, s9
	s_and_b32 s2, s2, exec_lo
	s_and_b32 s39, s42, exec_lo
	;; [unrolled: 1-line block ×3, first 2 shown]
	s_or_b32 s36, s6, s7
.LBB23_1317:
	s_or_b32 exec_lo, exec_lo, s37
	s_waitcnt lgkmcnt(0)
	s_mov_b32 s6, 0
	s_and_saveexec_b32 s3, s36
	s_cbranch_execnz .LBB23_1329
; %bb.1318:
	s_or_b32 exec_lo, exec_lo, s3
	s_and_saveexec_b32 s3, s38
	s_delay_alu instid0(SALU_CYCLE_1)
	s_xor_b32 s3, exec_lo, s3
	s_cbranch_execz .LBB23_1320
.LBB23_1319:
	s_waitcnt vmcnt(0)
	global_load_u8 v1, v[5:6], off
	v_mov_b32_e32 v3, 0
	s_or_b32 s2, s2, exec_lo
	s_waitcnt vmcnt(0)
	v_cmp_ne_u16_e32 vcc_lo, 0, v1
	v_cndmask_b32_e64 v4, 0, 0x3ff00000, vcc_lo
.LBB23_1320:
	s_or_b32 exec_lo, exec_lo, s3
	s_and_saveexec_b32 s3, s39
	s_cbranch_execz .LBB23_1368
; %bb.1321:
	v_cmp_gt_i16_e32 vcc_lo, 5, v7
	s_cbranch_vccnz .LBB23_1326
; %bb.1322:
	v_cmp_gt_i16_e32 vcc_lo, 8, v7
	s_cbranch_vccnz .LBB23_1327
	;; [unrolled: 3-line block ×3, first 2 shown]
; %bb.1324:
	v_cmp_lt_i16_e32 vcc_lo, 9, v7
	s_cbranch_vccz .LBB23_1331
; %bb.1325:
	s_waitcnt vmcnt(0)
	global_load_b64 v[3:4], v[5:6], off
	s_mov_b32 s7, 0
	s_branch .LBB23_1332
.LBB23_1326:
                                        ; implicit-def: $vgpr3_vgpr4
	s_branch .LBB23_1349
.LBB23_1327:
                                        ; implicit-def: $vgpr3_vgpr4
	s_branch .LBB23_1338
.LBB23_1328:
	s_mov_b32 s7, -1
                                        ; implicit-def: $vgpr3_vgpr4
	s_branch .LBB23_1335
.LBB23_1329:
	s_cbranch_execnz .LBB23_1380
; %bb.1330:
	s_mov_b32 s6, exec_lo
	s_and_not1_b32 s38, s38, exec_lo
                                        ; implicit-def: $vgpr3_vgpr4
	s_or_b32 exec_lo, exec_lo, s3
	s_and_saveexec_b32 s3, s38
	s_delay_alu instid0(SALU_CYCLE_1)
	s_xor_b32 s3, exec_lo, s3
	s_cbranch_execnz .LBB23_1319
	s_branch .LBB23_1320
.LBB23_1331:
	s_mov_b32 s7, -1
                                        ; implicit-def: $vgpr3_vgpr4
.LBB23_1332:
	s_delay_alu instid0(SALU_CYCLE_1)
	s_and_not1_b32 vcc_lo, exec_lo, s7
	s_cbranch_vccnz .LBB23_1334
; %bb.1333:
	s_waitcnt vmcnt(0)
	global_load_b32 v1, v[5:6], off
	s_waitcnt vmcnt(0)
	v_cvt_f64_f32_e32 v[3:4], v1
.LBB23_1334:
	s_mov_b32 s7, 0
.LBB23_1335:
	s_delay_alu instid0(SALU_CYCLE_1)
	s_and_not1_b32 vcc_lo, exec_lo, s7
	s_cbranch_vccnz .LBB23_1337
; %bb.1336:
	s_waitcnt vmcnt(0)
	global_load_b32 v1, v[5:6], off
	s_waitcnt vmcnt(0)
	v_cvt_f32_f16_e32 v1, v1
	s_delay_alu instid0(VALU_DEP_1)
	v_cvt_f64_f32_e32 v[3:4], v1
.LBB23_1337:
	s_cbranch_execnz .LBB23_1348
.LBB23_1338:
	v_cmp_gt_i16_e32 vcc_lo, 6, v7
	s_cbranch_vccnz .LBB23_1341
; %bb.1339:
	v_cmp_lt_i16_e32 vcc_lo, 6, v7
	s_cbranch_vccz .LBB23_1342
; %bb.1340:
	s_waitcnt vmcnt(0)
	global_load_b64 v[3:4], v[5:6], off
	s_mov_b32 s7, 0
	s_branch .LBB23_1343
.LBB23_1341:
	s_mov_b32 s7, -1
                                        ; implicit-def: $vgpr3_vgpr4
	s_branch .LBB23_1346
.LBB23_1342:
	s_mov_b32 s7, -1
                                        ; implicit-def: $vgpr3_vgpr4
.LBB23_1343:
	s_delay_alu instid0(SALU_CYCLE_1)
	s_and_not1_b32 vcc_lo, exec_lo, s7
	s_cbranch_vccnz .LBB23_1345
; %bb.1344:
	s_waitcnt vmcnt(0)
	global_load_b32 v1, v[5:6], off
	s_waitcnt vmcnt(0)
	v_cvt_f64_f32_e32 v[3:4], v1
.LBB23_1345:
	s_mov_b32 s7, 0
.LBB23_1346:
	s_delay_alu instid0(SALU_CYCLE_1)
	s_and_not1_b32 vcc_lo, exec_lo, s7
	s_cbranch_vccnz .LBB23_1348
; %bb.1347:
	s_waitcnt vmcnt(0)
	global_load_u16 v1, v[5:6], off
	s_waitcnt vmcnt(0)
	v_cvt_f32_f16_e32 v1, v1
	s_delay_alu instid0(VALU_DEP_1)
	v_cvt_f64_f32_e32 v[3:4], v1
.LBB23_1348:
	s_cbranch_execnz .LBB23_1367
.LBB23_1349:
	v_cmp_gt_i16_e32 vcc_lo, 2, v7
	s_cbranch_vccnz .LBB23_1353
; %bb.1350:
	v_cmp_gt_i16_e32 vcc_lo, 3, v7
	s_cbranch_vccnz .LBB23_1354
; %bb.1351:
	v_cmp_lt_i16_e32 vcc_lo, 3, v7
	s_cbranch_vccz .LBB23_1355
; %bb.1352:
	s_waitcnt vmcnt(0)
	global_load_b64 v[3:4], v[5:6], off
	s_mov_b32 s7, 0
	s_waitcnt vmcnt(0)
	v_cvt_f64_i32_e32 v[11:12], v4
	v_cvt_f64_u32_e32 v[3:4], v3
	s_delay_alu instid0(VALU_DEP_2) | instskip(NEXT) | instid1(VALU_DEP_1)
	v_ldexp_f64 v[11:12], v[11:12], 32
	v_add_f64 v[3:4], v[11:12], v[3:4]
	s_branch .LBB23_1356
.LBB23_1353:
                                        ; implicit-def: $vgpr3_vgpr4
	s_branch .LBB23_1362
.LBB23_1354:
	s_mov_b32 s7, -1
                                        ; implicit-def: $vgpr3_vgpr4
	s_branch .LBB23_1359
.LBB23_1355:
	s_mov_b32 s7, -1
                                        ; implicit-def: $vgpr3_vgpr4
.LBB23_1356:
	s_delay_alu instid0(SALU_CYCLE_1)
	s_and_not1_b32 vcc_lo, exec_lo, s7
	s_cbranch_vccnz .LBB23_1358
; %bb.1357:
	s_waitcnt vmcnt(0)
	global_load_b32 v1, v[5:6], off
	s_waitcnt vmcnt(0)
	v_cvt_f64_i32_e32 v[3:4], v1
.LBB23_1358:
	s_mov_b32 s7, 0
.LBB23_1359:
	s_delay_alu instid0(SALU_CYCLE_1)
	s_and_not1_b32 vcc_lo, exec_lo, s7
	s_cbranch_vccnz .LBB23_1361
; %bb.1360:
	s_waitcnt vmcnt(0)
	global_load_i16 v1, v[5:6], off
	s_waitcnt vmcnt(0)
	v_cvt_f64_i32_e32 v[3:4], v1
.LBB23_1361:
	s_cbranch_execnz .LBB23_1367
.LBB23_1362:
	v_cmp_lt_i16_e32 vcc_lo, 0, v7
	s_mov_b32 s7, 0
	s_cbranch_vccz .LBB23_1364
; %bb.1363:
	s_waitcnt vmcnt(0)
	global_load_i8 v1, v[5:6], off
	s_waitcnt vmcnt(0)
	v_cvt_f64_i32_e32 v[3:4], v1
	s_branch .LBB23_1365
.LBB23_1364:
	s_mov_b32 s7, -1
                                        ; implicit-def: $vgpr3_vgpr4
.LBB23_1365:
	s_delay_alu instid0(SALU_CYCLE_1)
	s_and_not1_b32 vcc_lo, exec_lo, s7
	s_cbranch_vccnz .LBB23_1367
; %bb.1366:
	s_waitcnt vmcnt(0)
	global_load_u8 v1, v[5:6], off
	s_waitcnt vmcnt(0)
	v_cvt_f64_u32_e32 v[3:4], v1
.LBB23_1367:
	s_or_b32 s2, s2, exec_lo
.LBB23_1368:
	s_or_b32 exec_lo, exec_lo, s3
	s_mov_b32 s8, 0
	s_mov_b32 s10, 0
	;; [unrolled: 1-line block ×3, first 2 shown]
                                        ; implicit-def: $vgpr1
                                        ; implicit-def: $vgpr5_vgpr6
                                        ; implicit-def: $vgpr7_vgpr8
	s_and_saveexec_b32 s7, s2
	s_cbranch_execz .LBB23_1448
; %bb.1369:
	s_waitcnt vmcnt(0)
	v_and_b32_e32 v1, 0xff, v10
	v_add_co_u32 v5, s2, s18, v0
	s_delay_alu instid0(VALU_DEP_1) | instskip(NEXT) | instid1(VALU_DEP_3)
	v_add_co_ci_u32_e64 v6, null, s19, 0, s2
	v_cmp_gt_i16_e32 vcc_lo, 11, v1
	s_mov_b32 s2, 0
	s_cbranch_vccnz .LBB23_1376
; %bb.1370:
	v_cmp_lt_i16_e32 vcc_lo, 25, v1
	s_mov_b32 s9, 0
	s_cbranch_vccz .LBB23_1377
; %bb.1371:
	v_cmp_lt_i16_e32 vcc_lo, 28, v1
	s_cbranch_vccz .LBB23_1378
; %bb.1372:
	v_cmp_lt_i16_e32 vcc_lo, 43, v1
	;; [unrolled: 3-line block ×3, first 2 shown]
	s_cbranch_vccz .LBB23_1382
; %bb.1374:
	v_cmp_eq_u16_e32 vcc_lo, 46, v1
	s_cbranch_vccz .LBB23_1383
; %bb.1375:
	global_load_b32 v0, v[5:6], off
	s_mov_b32 s2, -1
	s_waitcnt vmcnt(0)
	v_lshlrev_b32_e32 v0, 16, v0
	s_delay_alu instid0(VALU_DEP_1)
	v_cvt_f64_f32_e32 v[7:8], v0
	s_branch .LBB23_1385
.LBB23_1376:
	s_mov_b32 s10, -1
	s_mov_b32 s9, 0
	s_mov_b32 s8, s35
                                        ; implicit-def: $vgpr7_vgpr8
	s_branch .LBB23_1447
.LBB23_1377:
	s_mov_b32 s8, s35
                                        ; implicit-def: $vgpr7_vgpr8
	s_cbranch_execnz .LBB23_1416
	s_branch .LBB23_1446
.LBB23_1378:
	s_mov_b32 s3, -1
	s_mov_b32 s8, s35
                                        ; implicit-def: $vgpr7_vgpr8
	s_branch .LBB23_1395
.LBB23_1379:
	s_mov_b32 s3, -1
	s_mov_b32 s8, s35
                                        ; implicit-def: $vgpr7_vgpr8
	s_branch .LBB23_1390
.LBB23_1380:
	s_trap 2
	s_sendmsg_rtn_b32 s0, sendmsg(MSG_RTN_GET_DOORBELL)
	s_mov_b32 ttmp2, m0
	s_waitcnt lgkmcnt(0)
	s_and_b32 s0, s0, 0x3ff
	s_delay_alu instid0(SALU_CYCLE_1) | instskip(NEXT) | instid1(SALU_CYCLE_1)
	s_bitset1_b32 s0, 10
	s_mov_b32 m0, s0
	s_sendmsg sendmsg(MSG_INTERRUPT)
	s_mov_b32 m0, ttmp2
.LBB23_1381:                            ; =>This Inner Loop Header: Depth=1
	s_sethalt 5
	s_branch .LBB23_1381
.LBB23_1382:
	s_mov_b32 s3, -1
	s_mov_b32 s8, s35
	s_branch .LBB23_1384
.LBB23_1383:
	s_mov_b32 s8, -1
.LBB23_1384:
                                        ; implicit-def: $vgpr7_vgpr8
.LBB23_1385:
	s_and_b32 vcc_lo, exec_lo, s3
	s_cbranch_vccz .LBB23_1389
; %bb.1386:
	v_cmp_eq_u16_e32 vcc_lo, 44, v1
	s_cbranch_vccz .LBB23_1388
; %bb.1387:
	global_load_u8 v0, v[5:6], off
	s_mov_b32 s8, 0
	s_mov_b32 s2, -1
	s_waitcnt vmcnt(0)
	v_lshlrev_b32_e32 v7, 23, v0
	v_cmp_ne_u32_e32 vcc_lo, 0xff, v0
	s_delay_alu instid0(VALU_DEP_2) | instskip(NEXT) | instid1(VALU_DEP_1)
	v_cvt_f64_f32_e32 v[7:8], v7
	v_cndmask_b32_e32 v7, 0x20000000, v7, vcc_lo
	s_delay_alu instid0(VALU_DEP_2) | instskip(SKIP_1) | instid1(VALU_DEP_2)
	v_cndmask_b32_e32 v8, 0x7ff80000, v8, vcc_lo
	v_cmp_ne_u32_e32 vcc_lo, 0, v0
	v_cndmask_b32_e32 v8, 0x38000000, v8, vcc_lo
	s_delay_alu instid0(VALU_DEP_4)
	v_cndmask_b32_e32 v7, 0, v7, vcc_lo
	s_branch .LBB23_1389
.LBB23_1388:
	s_mov_b32 s8, -1
                                        ; implicit-def: $vgpr7_vgpr8
.LBB23_1389:
	s_mov_b32 s3, 0
.LBB23_1390:
	s_delay_alu instid0(SALU_CYCLE_1)
	s_and_b32 vcc_lo, exec_lo, s3
	s_cbranch_vccz .LBB23_1394
; %bb.1391:
	v_cmp_eq_u16_e32 vcc_lo, 29, v1
	s_cbranch_vccz .LBB23_1393
; %bb.1392:
	global_load_b64 v[7:8], v[5:6], off
	s_mov_b32 s8, 0
	s_mov_b32 s2, -1
	s_mov_b32 s3, 0
	s_waitcnt vmcnt(0)
	v_cvt_f64_u32_e32 v[10:11], v8
	v_cvt_f64_u32_e32 v[7:8], v7
	s_delay_alu instid0(VALU_DEP_2) | instskip(NEXT) | instid1(VALU_DEP_1)
	v_ldexp_f64 v[10:11], v[10:11], 32
	v_add_f64 v[7:8], v[10:11], v[7:8]
	s_branch .LBB23_1395
.LBB23_1393:
	s_mov_b32 s8, -1
                                        ; implicit-def: $vgpr7_vgpr8
.LBB23_1394:
	s_mov_b32 s3, 0
.LBB23_1395:
	s_delay_alu instid0(SALU_CYCLE_1)
	s_and_b32 vcc_lo, exec_lo, s3
	s_cbranch_vccz .LBB23_1415
; %bb.1396:
	v_cmp_gt_i16_e32 vcc_lo, 27, v1
	s_cbranch_vccnz .LBB23_1399
; %bb.1397:
	v_cmp_lt_i16_e32 vcc_lo, 27, v1
	s_cbranch_vccz .LBB23_1400
; %bb.1398:
	global_load_b32 v0, v[5:6], off
	s_mov_b32 s2, 0
	s_waitcnt vmcnt(0)
	v_cvt_f64_u32_e32 v[7:8], v0
	s_branch .LBB23_1401
.LBB23_1399:
	s_mov_b32 s2, -1
                                        ; implicit-def: $vgpr7_vgpr8
	s_branch .LBB23_1404
.LBB23_1400:
	s_mov_b32 s2, -1
                                        ; implicit-def: $vgpr7_vgpr8
.LBB23_1401:
	s_delay_alu instid0(SALU_CYCLE_1)
	s_and_not1_b32 vcc_lo, exec_lo, s2
	s_cbranch_vccnz .LBB23_1403
; %bb.1402:
	global_load_u16 v0, v[5:6], off
	s_waitcnt vmcnt(0)
	v_cvt_f64_u32_e32 v[7:8], v0
.LBB23_1403:
	s_mov_b32 s2, 0
.LBB23_1404:
	s_delay_alu instid0(SALU_CYCLE_1)
	s_and_not1_b32 vcc_lo, exec_lo, s2
	s_cbranch_vccnz .LBB23_1414
; %bb.1405:
	global_load_u8 v0, v[5:6], off
	s_mov_b32 s11, exec_lo
                                        ; implicit-def: $sgpr2_sgpr3
	s_waitcnt vmcnt(0)
	v_cmpx_lt_i16_e32 0x7f, v0
	s_xor_b32 s11, exec_lo, s11
	s_cbranch_execz .LBB23_1409
; %bb.1406:
	s_mov_b32 s12, -1
	s_mov_b32 s10, exec_lo
                                        ; implicit-def: $sgpr2_sgpr3
	v_cmpx_eq_u16_e32 0x80, v0
; %bb.1407:
	s_mov_b32 s3, 0x7ff80000
	s_brev_b32 s2, 4
	s_xor_b32 s12, exec_lo, -1
; %bb.1408:
	s_or_b32 exec_lo, exec_lo, s10
	s_delay_alu instid0(SALU_CYCLE_1)
	s_and_b32 s10, s12, exec_lo
.LBB23_1409:
	s_or_saveexec_b32 s11, s11
	v_dual_mov_b32 v8, s3 :: v_dual_mov_b32 v7, s2
	s_xor_b32 exec_lo, exec_lo, s11
; %bb.1410:
	v_cmp_ne_u16_e32 vcc_lo, 0, v0
	v_mov_b32_e32 v7, 0
	v_mov_b32_e32 v8, 0
	s_and_not1_b32 s2, s10, exec_lo
	s_and_b32 s3, vcc_lo, exec_lo
	s_delay_alu instid0(SALU_CYCLE_1)
	s_or_b32 s10, s2, s3
; %bb.1411:
	s_or_b32 exec_lo, exec_lo, s11
	s_and_saveexec_b32 s2, s10
	s_cbranch_execz .LBB23_1413
; %bb.1412:
	v_and_b32_e32 v7, 0xffff, v0
	v_lshlrev_b32_e32 v0, 24, v0
	s_delay_alu instid0(VALU_DEP_2) | instskip(NEXT) | instid1(VALU_DEP_2)
	v_and_b32_e32 v8, 7, v7
	v_and_b32_e32 v0, 0x80000000, v0
	s_delay_alu instid0(VALU_DEP_2) | instskip(NEXT) | instid1(VALU_DEP_1)
	v_clz_i32_u32_e32 v10, v8
	v_min_u32_e32 v10, 32, v10
	s_delay_alu instid0(VALU_DEP_1) | instskip(SKIP_1) | instid1(VALU_DEP_2)
	v_subrev_nc_u32_e32 v11, 28, v10
	v_sub_nc_u32_e32 v10, 29, v10
	v_lshlrev_b32_e32 v11, v11, v7
	v_bfe_u32 v7, v7, 3, 4
	s_delay_alu instid0(VALU_DEP_2) | instskip(NEXT) | instid1(VALU_DEP_2)
	v_and_b32_e32 v11, 7, v11
	v_cmp_eq_u32_e32 vcc_lo, 0, v7
	s_delay_alu instid0(VALU_DEP_2) | instskip(NEXT) | instid1(VALU_DEP_1)
	v_dual_cndmask_b32 v7, v7, v10 :: v_dual_cndmask_b32 v8, v8, v11
	v_lshl_add_u32 v7, v7, 23, 0x3b800000
	s_delay_alu instid0(VALU_DEP_2) | instskip(NEXT) | instid1(VALU_DEP_1)
	v_lshlrev_b32_e32 v8, 20, v8
	v_or3_b32 v0, v0, v7, v8
	s_delay_alu instid0(VALU_DEP_1)
	v_cvt_f64_f32_e32 v[7:8], v0
.LBB23_1413:
	s_or_b32 exec_lo, exec_lo, s2
.LBB23_1414:
	s_mov_b32 s2, -1
.LBB23_1415:
	s_branch .LBB23_1446
.LBB23_1416:
	v_cmp_lt_i16_e32 vcc_lo, 22, v1
	s_cbranch_vccz .LBB23_1428
; %bb.1417:
	v_cmp_gt_i16_e32 vcc_lo, 24, v1
	s_cbranch_vccnz .LBB23_1429
; %bb.1418:
	v_cmp_lt_i16_e32 vcc_lo, 24, v1
	s_cbranch_vccz .LBB23_1430
; %bb.1419:
	global_load_u8 v0, v[5:6], off
	s_mov_b32 s10, exec_lo
                                        ; implicit-def: $sgpr2_sgpr3
	s_waitcnt vmcnt(0)
	v_cmpx_lt_i16_e32 0x7f, v0
	s_xor_b32 s10, exec_lo, s10
	s_cbranch_execz .LBB23_1423
; %bb.1420:
	s_mov_b32 s11, -1
	s_mov_b32 s9, exec_lo
                                        ; implicit-def: $sgpr2_sgpr3
	v_cmpx_eq_u16_e32 0x80, v0
; %bb.1421:
	s_mov_b32 s3, 0x7ff80000
	s_brev_b32 s2, 4
	s_xor_b32 s11, exec_lo, -1
; %bb.1422:
	s_or_b32 exec_lo, exec_lo, s9
	s_delay_alu instid0(SALU_CYCLE_1)
	s_and_b32 s9, s11, exec_lo
.LBB23_1423:
	s_or_saveexec_b32 s10, s10
	v_dual_mov_b32 v8, s3 :: v_dual_mov_b32 v7, s2
	s_xor_b32 exec_lo, exec_lo, s10
; %bb.1424:
	v_cmp_ne_u16_e32 vcc_lo, 0, v0
	v_mov_b32_e32 v7, 0
	v_mov_b32_e32 v8, 0
	s_and_not1_b32 s2, s9, exec_lo
	s_and_b32 s3, vcc_lo, exec_lo
	s_delay_alu instid0(SALU_CYCLE_1)
	s_or_b32 s9, s2, s3
; %bb.1425:
	s_or_b32 exec_lo, exec_lo, s10
	s_and_saveexec_b32 s2, s9
	s_cbranch_execz .LBB23_1427
; %bb.1426:
	v_and_b32_e32 v7, 0xffff, v0
	v_lshlrev_b32_e32 v0, 24, v0
	s_delay_alu instid0(VALU_DEP_2) | instskip(NEXT) | instid1(VALU_DEP_2)
	v_and_b32_e32 v8, 3, v7
	v_and_b32_e32 v0, 0x80000000, v0
	s_delay_alu instid0(VALU_DEP_2) | instskip(NEXT) | instid1(VALU_DEP_1)
	v_clz_i32_u32_e32 v10, v8
	v_min_u32_e32 v10, 32, v10
	s_delay_alu instid0(VALU_DEP_1) | instskip(SKIP_1) | instid1(VALU_DEP_2)
	v_subrev_nc_u32_e32 v11, 29, v10
	v_sub_nc_u32_e32 v10, 30, v10
	v_lshlrev_b32_e32 v11, v11, v7
	v_bfe_u32 v7, v7, 2, 5
	s_delay_alu instid0(VALU_DEP_2) | instskip(NEXT) | instid1(VALU_DEP_2)
	v_and_b32_e32 v11, 3, v11
	v_cmp_eq_u32_e32 vcc_lo, 0, v7
	s_delay_alu instid0(VALU_DEP_2) | instskip(NEXT) | instid1(VALU_DEP_1)
	v_dual_cndmask_b32 v7, v7, v10 :: v_dual_cndmask_b32 v8, v8, v11
	v_lshl_add_u32 v7, v7, 23, 0x37800000
	s_delay_alu instid0(VALU_DEP_2) | instskip(NEXT) | instid1(VALU_DEP_1)
	v_lshlrev_b32_e32 v8, 21, v8
	v_or3_b32 v0, v0, v7, v8
	s_delay_alu instid0(VALU_DEP_1)
	v_cvt_f64_f32_e32 v[7:8], v0
.LBB23_1427:
	s_or_b32 exec_lo, exec_lo, s2
	s_mov_b32 s2, 0
	s_branch .LBB23_1431
.LBB23_1428:
	s_mov_b32 s3, -1
                                        ; implicit-def: $vgpr7_vgpr8
	s_branch .LBB23_1437
.LBB23_1429:
	s_mov_b32 s2, -1
                                        ; implicit-def: $vgpr7_vgpr8
	s_branch .LBB23_1434
.LBB23_1430:
	s_mov_b32 s2, -1
                                        ; implicit-def: $vgpr7_vgpr8
.LBB23_1431:
	s_delay_alu instid0(SALU_CYCLE_1)
	s_and_b32 vcc_lo, exec_lo, s2
	s_cbranch_vccz .LBB23_1433
; %bb.1432:
	global_load_u8 v0, v[5:6], off
	s_waitcnt vmcnt(0)
	v_lshlrev_b32_e32 v0, 24, v0
	s_delay_alu instid0(VALU_DEP_1) | instskip(NEXT) | instid1(VALU_DEP_1)
	v_and_b32_e32 v7, 0x7f000000, v0
	v_clz_i32_u32_e32 v8, v7
	v_cmp_ne_u32_e32 vcc_lo, 0, v7
	v_add_nc_u32_e32 v11, 0x1000000, v7
	s_delay_alu instid0(VALU_DEP_3) | instskip(NEXT) | instid1(VALU_DEP_1)
	v_min_u32_e32 v8, 32, v8
	v_sub_nc_u32_e64 v8, v8, 4 clamp
	s_delay_alu instid0(VALU_DEP_1) | instskip(SKIP_1) | instid1(VALU_DEP_2)
	v_lshlrev_b32_e32 v10, v8, v7
	v_lshlrev_b32_e32 v8, 23, v8
	v_lshrrev_b32_e32 v10, 4, v10
	s_delay_alu instid0(VALU_DEP_1) | instskip(SKIP_1) | instid1(VALU_DEP_2)
	v_sub_nc_u32_e32 v8, v10, v8
	v_ashrrev_i32_e32 v10, 8, v11
	v_add_nc_u32_e32 v8, 0x3c000000, v8
	s_delay_alu instid0(VALU_DEP_1) | instskip(NEXT) | instid1(VALU_DEP_1)
	v_and_or_b32 v8, 0x7f800000, v10, v8
	v_cndmask_b32_e32 v7, 0, v8, vcc_lo
	s_delay_alu instid0(VALU_DEP_1) | instskip(NEXT) | instid1(VALU_DEP_1)
	v_and_or_b32 v0, 0x80000000, v0, v7
	v_cvt_f64_f32_e32 v[7:8], v0
.LBB23_1433:
	s_mov_b32 s2, 0
.LBB23_1434:
	s_delay_alu instid0(SALU_CYCLE_1)
	s_and_not1_b32 vcc_lo, exec_lo, s2
	s_cbranch_vccnz .LBB23_1436
; %bb.1435:
	global_load_u8 v0, v[5:6], off
	s_waitcnt vmcnt(0)
	v_lshlrev_b32_e32 v7, 25, v0
	v_lshlrev_b16 v0, 8, v0
	s_delay_alu instid0(VALU_DEP_1) | instskip(SKIP_1) | instid1(VALU_DEP_2)
	v_and_or_b32 v10, 0x7f00, v0, 0.5
	v_bfe_i32 v0, v0, 0, 16
	v_add_f32_e32 v10, -0.5, v10
	v_lshrrev_b32_e32 v8, 4, v7
	v_cmp_gt_u32_e32 vcc_lo, 0x8000000, v7
	s_delay_alu instid0(VALU_DEP_2) | instskip(NEXT) | instid1(VALU_DEP_1)
	v_or_b32_e32 v8, 0x70000000, v8
	v_mul_f32_e32 v8, 0x7800000, v8
	s_delay_alu instid0(VALU_DEP_1) | instskip(NEXT) | instid1(VALU_DEP_1)
	v_cndmask_b32_e32 v7, v8, v10, vcc_lo
	v_and_or_b32 v0, 0x80000000, v0, v7
	s_delay_alu instid0(VALU_DEP_1)
	v_cvt_f64_f32_e32 v[7:8], v0
.LBB23_1436:
	s_mov_b32 s3, 0
	s_mov_b32 s2, -1
.LBB23_1437:
	s_and_not1_b32 vcc_lo, exec_lo, s3
	s_mov_b32 s9, 0
	s_cbranch_vccnz .LBB23_1446
; %bb.1438:
	v_cmp_lt_i16_e32 vcc_lo, 14, v1
	s_cbranch_vccz .LBB23_1441
; %bb.1439:
	v_cmp_eq_u16_e32 vcc_lo, 15, v1
	s_cbranch_vccz .LBB23_1442
; %bb.1440:
	global_load_u16 v0, v[5:6], off
	s_mov_b32 s8, 0
	s_mov_b32 s2, -1
	s_waitcnt vmcnt(0)
	v_lshlrev_b32_e32 v0, 16, v0
	s_delay_alu instid0(VALU_DEP_1)
	v_cvt_f64_f32_e32 v[7:8], v0
	s_branch .LBB23_1443
.LBB23_1441:
	s_mov_b32 s3, -1
                                        ; implicit-def: $vgpr7_vgpr8
	s_branch .LBB23_1444
.LBB23_1442:
	s_mov_b32 s8, -1
                                        ; implicit-def: $vgpr7_vgpr8
.LBB23_1443:
	s_mov_b32 s3, 0
.LBB23_1444:
	s_delay_alu instid0(SALU_CYCLE_1)
	s_and_b32 vcc_lo, exec_lo, s3
	s_cbranch_vccz .LBB23_1446
; %bb.1445:
	v_cmp_ne_u16_e32 vcc_lo, 11, v1
	s_and_not1_b32 s3, s8, exec_lo
	s_mov_b32 s9, -1
                                        ; implicit-def: $vgpr7_vgpr8
	s_and_b32 s8, vcc_lo, exec_lo
	s_delay_alu instid0(SALU_CYCLE_1)
	s_or_b32 s8, s3, s8
.LBB23_1446:
	s_mov_b32 s10, 0
.LBB23_1447:
	s_and_b32 s3, s2, exec_lo
	s_and_not1_b32 s2, s35, exec_lo
	s_and_b32 s11, s8, exec_lo
	s_and_b32 s10, s10, exec_lo
	;; [unrolled: 1-line block ×3, first 2 shown]
	s_or_b32 s35, s2, s11
.LBB23_1448:
	s_or_b32 exec_lo, exec_lo, s7
	s_and_saveexec_b32 s2, s35
	s_cbranch_execnz .LBB23_1460
; %bb.1449:
	s_or_b32 exec_lo, exec_lo, s2
	s_and_saveexec_b32 s2, s8
	s_delay_alu instid0(SALU_CYCLE_1)
	s_xor_b32 s2, exec_lo, s2
	s_cbranch_execz .LBB23_1451
.LBB23_1450:
	s_waitcnt vmcnt(0)
	global_load_u8 v0, v[5:6], off
	v_mov_b32_e32 v7, 0
	s_or_b32 s3, s3, exec_lo
	s_waitcnt vmcnt(0)
	v_cmp_ne_u16_e32 vcc_lo, 0, v0
	v_cndmask_b32_e64 v8, 0, 0x3ff00000, vcc_lo
.LBB23_1451:
	s_or_b32 exec_lo, exec_lo, s2
	s_and_saveexec_b32 s2, s10
	s_cbranch_execz .LBB23_1499
; %bb.1452:
	v_cmp_gt_i16_e32 vcc_lo, 5, v1
	s_cbranch_vccnz .LBB23_1457
; %bb.1453:
	v_cmp_gt_i16_e32 vcc_lo, 8, v1
	s_cbranch_vccnz .LBB23_1458
	;; [unrolled: 3-line block ×3, first 2 shown]
; %bb.1455:
	v_cmp_lt_i16_e32 vcc_lo, 9, v1
	s_cbranch_vccz .LBB23_1462
; %bb.1456:
	s_waitcnt vmcnt(0)
	global_load_b64 v[7:8], v[5:6], off
	s_mov_b32 s7, 0
	s_branch .LBB23_1463
.LBB23_1457:
                                        ; implicit-def: $vgpr7_vgpr8
	s_branch .LBB23_1480
.LBB23_1458:
                                        ; implicit-def: $vgpr7_vgpr8
	s_branch .LBB23_1469
.LBB23_1459:
	s_mov_b32 s7, -1
                                        ; implicit-def: $vgpr7_vgpr8
	s_branch .LBB23_1466
.LBB23_1460:
	s_cbranch_execnz .LBB23_1730
; %bb.1461:
	s_or_b32 s6, s6, exec_lo
	s_and_not1_b32 s8, s8, exec_lo
                                        ; implicit-def: $vgpr7_vgpr8
	s_or_b32 exec_lo, exec_lo, s2
	s_and_saveexec_b32 s2, s8
	s_delay_alu instid0(SALU_CYCLE_1)
	s_xor_b32 s2, exec_lo, s2
	s_cbranch_execnz .LBB23_1450
	s_branch .LBB23_1451
.LBB23_1462:
	s_mov_b32 s7, -1
                                        ; implicit-def: $vgpr7_vgpr8
.LBB23_1463:
	s_delay_alu instid0(SALU_CYCLE_1)
	s_and_not1_b32 vcc_lo, exec_lo, s7
	s_cbranch_vccnz .LBB23_1465
; %bb.1464:
	s_waitcnt vmcnt(0)
	global_load_b32 v0, v[5:6], off
	s_waitcnt vmcnt(0)
	v_cvt_f64_f32_e32 v[7:8], v0
.LBB23_1465:
	s_mov_b32 s7, 0
.LBB23_1466:
	s_delay_alu instid0(SALU_CYCLE_1)
	s_and_not1_b32 vcc_lo, exec_lo, s7
	s_cbranch_vccnz .LBB23_1468
; %bb.1467:
	s_waitcnt vmcnt(0)
	global_load_b32 v0, v[5:6], off
	s_waitcnt vmcnt(0)
	v_cvt_f32_f16_e32 v0, v0
	s_delay_alu instid0(VALU_DEP_1)
	v_cvt_f64_f32_e32 v[7:8], v0
.LBB23_1468:
	s_cbranch_execnz .LBB23_1479
.LBB23_1469:
	v_cmp_gt_i16_e32 vcc_lo, 6, v1
	s_cbranch_vccnz .LBB23_1472
; %bb.1470:
	v_cmp_lt_i16_e32 vcc_lo, 6, v1
	s_cbranch_vccz .LBB23_1473
; %bb.1471:
	s_waitcnt vmcnt(0)
	global_load_b64 v[7:8], v[5:6], off
	s_mov_b32 s7, 0
	s_branch .LBB23_1474
.LBB23_1472:
	s_mov_b32 s7, -1
                                        ; implicit-def: $vgpr7_vgpr8
	s_branch .LBB23_1477
.LBB23_1473:
	s_mov_b32 s7, -1
                                        ; implicit-def: $vgpr7_vgpr8
.LBB23_1474:
	s_delay_alu instid0(SALU_CYCLE_1)
	s_and_not1_b32 vcc_lo, exec_lo, s7
	s_cbranch_vccnz .LBB23_1476
; %bb.1475:
	s_waitcnt vmcnt(0)
	global_load_b32 v0, v[5:6], off
	s_waitcnt vmcnt(0)
	v_cvt_f64_f32_e32 v[7:8], v0
.LBB23_1476:
	s_mov_b32 s7, 0
.LBB23_1477:
	s_delay_alu instid0(SALU_CYCLE_1)
	s_and_not1_b32 vcc_lo, exec_lo, s7
	s_cbranch_vccnz .LBB23_1479
; %bb.1478:
	s_waitcnt vmcnt(0)
	global_load_u16 v0, v[5:6], off
	s_waitcnt vmcnt(0)
	v_cvt_f32_f16_e32 v0, v0
	s_delay_alu instid0(VALU_DEP_1)
	v_cvt_f64_f32_e32 v[7:8], v0
.LBB23_1479:
	s_cbranch_execnz .LBB23_1498
.LBB23_1480:
	v_cmp_gt_i16_e32 vcc_lo, 2, v1
	s_cbranch_vccnz .LBB23_1484
; %bb.1481:
	v_cmp_gt_i16_e32 vcc_lo, 3, v1
	s_cbranch_vccnz .LBB23_1485
; %bb.1482:
	v_cmp_lt_i16_e32 vcc_lo, 3, v1
	s_cbranch_vccz .LBB23_1486
; %bb.1483:
	s_waitcnt vmcnt(0)
	global_load_b64 v[7:8], v[5:6], off
	s_mov_b32 s7, 0
	s_waitcnt vmcnt(0)
	v_cvt_f64_i32_e32 v[10:11], v8
	v_cvt_f64_u32_e32 v[7:8], v7
	s_delay_alu instid0(VALU_DEP_2) | instskip(NEXT) | instid1(VALU_DEP_1)
	v_ldexp_f64 v[10:11], v[10:11], 32
	v_add_f64 v[7:8], v[10:11], v[7:8]
	s_branch .LBB23_1487
.LBB23_1484:
                                        ; implicit-def: $vgpr7_vgpr8
	s_branch .LBB23_1493
.LBB23_1485:
	s_mov_b32 s7, -1
                                        ; implicit-def: $vgpr7_vgpr8
	s_branch .LBB23_1490
.LBB23_1486:
	s_mov_b32 s7, -1
                                        ; implicit-def: $vgpr7_vgpr8
.LBB23_1487:
	s_delay_alu instid0(SALU_CYCLE_1)
	s_and_not1_b32 vcc_lo, exec_lo, s7
	s_cbranch_vccnz .LBB23_1489
; %bb.1488:
	s_waitcnt vmcnt(0)
	global_load_b32 v0, v[5:6], off
	s_waitcnt vmcnt(0)
	v_cvt_f64_i32_e32 v[7:8], v0
.LBB23_1489:
	s_mov_b32 s7, 0
.LBB23_1490:
	s_delay_alu instid0(SALU_CYCLE_1)
	s_and_not1_b32 vcc_lo, exec_lo, s7
	s_cbranch_vccnz .LBB23_1492
; %bb.1491:
	s_waitcnt vmcnt(0)
	global_load_i16 v0, v[5:6], off
	s_waitcnt vmcnt(0)
	v_cvt_f64_i32_e32 v[7:8], v0
.LBB23_1492:
	s_cbranch_execnz .LBB23_1498
.LBB23_1493:
	v_cmp_lt_i16_e32 vcc_lo, 0, v1
	s_mov_b32 s7, 0
	s_cbranch_vccz .LBB23_1495
; %bb.1494:
	s_waitcnt vmcnt(0)
	global_load_i8 v0, v[5:6], off
	s_waitcnt vmcnt(0)
	v_cvt_f64_i32_e32 v[7:8], v0
	s_branch .LBB23_1496
.LBB23_1495:
	s_mov_b32 s7, -1
                                        ; implicit-def: $vgpr7_vgpr8
.LBB23_1496:
	s_delay_alu instid0(SALU_CYCLE_1)
	s_and_not1_b32 vcc_lo, exec_lo, s7
	s_cbranch_vccnz .LBB23_1498
; %bb.1497:
	s_waitcnt vmcnt(0)
	global_load_u8 v0, v[5:6], off
	s_waitcnt vmcnt(0)
	v_cvt_f64_u32_e32 v[7:8], v0
.LBB23_1498:
	s_or_b32 s3, s3, exec_lo
.LBB23_1499:
	s_or_b32 exec_lo, exec_lo, s2
	s_mov_b32 s2, 0
	s_mov_b32 s8, 0
                                        ; implicit-def: $vgpr10
                                        ; implicit-def: $vgpr5_vgpr6
                                        ; implicit-def: $vgpr0_vgpr1
	s_and_saveexec_b32 s7, s3
	s_cbranch_execz .LBB23_1588
; %bb.1500:
	s_waitcnt vmcnt(0)
	s_delay_alu instid0(VALU_DEP_1) | instskip(SKIP_2) | instid1(VALU_DEP_2)
	v_trunc_f64_e32 v[0:1], v[7:8]
	v_cmp_class_f64_e64 vcc_lo, v[7:8], 0x1f8
	s_mov_b32 s8, exec_lo
	v_ldexp_f64 v[5:6], v[0:1], 0xffffffe0
	s_delay_alu instid0(VALU_DEP_1) | instskip(NEXT) | instid1(VALU_DEP_1)
	v_floor_f64_e32 v[5:6], v[5:6]
	v_fma_f64 v[0:1], 0xc1f00000, v[5:6], v[0:1]
	v_cvt_i32_f64_e32 v5, v[5:6]
	s_delay_alu instid0(VALU_DEP_2) | instskip(NEXT) | instid1(VALU_DEP_1)
	v_cvt_u32_f64_e32 v0, v[0:1]
	v_dual_cndmask_b32 v6, -1, v5 :: v_dual_cndmask_b32 v5, -1, v0
	v_mov_b32_e32 v0, 0
	v_mov_b32_e32 v1, 0
	s_delay_alu instid0(VALU_DEP_3)
	v_cmpx_lt_i64_e32 -1, v[5:6]
	s_cbranch_execz .LBB23_1512
; %bb.1501:
	v_mov_b32_e32 v0, 0
	v_mov_b32_e32 v1, 0x3ff00000
	s_mov_b32 s9, exec_lo
	v_cmpx_lt_i64_e32 0, v[5:6]
	s_cbranch_execz .LBB23_1511
; %bb.1502:
                                        ; implicit-def: $vgpr0_vgpr1
	s_mov_b32 s2, exec_lo
	v_cmpx_ne_u64_e32 1, v[5:6]
	s_xor_b32 s10, exec_lo, s2
	s_cbranch_execz .LBB23_1508
; %bb.1503:
	v_mov_b32_e32 v0, 0
	v_mov_b32_e32 v1, 0x7ff80000
	s_mov_b32 s11, exec_lo
	v_cmpx_gt_u64_e32 0x201, v[5:6]
	s_cbranch_execz .LBB23_1507
; %bb.1504:
	v_add_f64 v[3:4], v[3:4], v[3:4]
	v_lshlrev_b64 v[5:6], 1, v[5:6]
	v_mov_b32_e32 v7, 0
	v_mov_b32_e32 v8, 0x3ff00000
	s_mov_b64 s[2:3], 2
	s_mov_b32 s12, 0
	s_delay_alu instid0(VALU_DEP_4)
	v_dual_mov_b32 v0, v3 :: v_dual_mov_b32 v1, v4
	.p2align	6
.LBB23_1505:                            ; =>This Inner Loop Header: Depth=1
	v_cvt_f64_u32_e32 v[10:11], s3
	v_cvt_f64_u32_e32 v[12:13], s2
	s_add_u32 s2, s2, 2
	s_addc_u32 s3, s3, 0
	s_delay_alu instid0(SALU_CYCLE_1) | instskip(SKIP_1) | instid1(VALU_DEP_3)
	v_cmp_ge_u64_e32 vcc_lo, s[2:3], v[5:6]
	s_or_b32 s12, vcc_lo, s12
	v_ldexp_f64 v[10:11], v[10:11], 32
	s_delay_alu instid0(VALU_DEP_1) | instskip(NEXT) | instid1(VALU_DEP_1)
	v_add_f64 v[10:11], v[10:11], v[12:13]
	v_mul_f64 v[7:8], v[7:8], v[10:11]
	v_dual_mov_b32 v11, v1 :: v_dual_mov_b32 v10, v0
	s_delay_alu instid0(VALU_DEP_1)
	v_fma_f64 v[0:1], v[3:4], v[10:11], -v[7:8]
	v_dual_mov_b32 v7, v10 :: v_dual_mov_b32 v8, v11
	s_and_not1_b32 exec_lo, exec_lo, s12
	s_cbranch_execnz .LBB23_1505
; %bb.1506:
	s_or_b32 exec_lo, exec_lo, s12
.LBB23_1507:
	s_delay_alu instid0(SALU_CYCLE_1)
	s_or_b32 exec_lo, exec_lo, s11
                                        ; implicit-def: $vgpr3_vgpr4
.LBB23_1508:
	s_and_not1_saveexec_b32 s2, s10
; %bb.1509:
	v_add_f64 v[0:1], v[3:4], v[3:4]
; %bb.1510:
	s_or_b32 exec_lo, exec_lo, s2
.LBB23_1511:
	s_delay_alu instid0(SALU_CYCLE_1)
	s_or_b32 exec_lo, exec_lo, s9
.LBB23_1512:
	s_delay_alu instid0(SALU_CYCLE_1) | instskip(SKIP_2) | instid1(VALU_DEP_1)
	s_or_b32 exec_lo, exec_lo, s8
	v_and_b32_e32 v10, 0xff, v9
	v_add_co_u32 v5, s2, s4, v2
	v_add_co_ci_u32_e64 v6, null, s5, 0, s2
	s_delay_alu instid0(VALU_DEP_3)
	v_cmp_gt_i16_e32 vcc_lo, 11, v10
	s_mov_b32 s9, 0
	s_mov_b32 s3, -1
	s_mov_b32 s2, s34
	s_cbranch_vccnz .LBB23_1587
; %bb.1513:
	v_cmp_lt_i16_e32 vcc_lo, 25, v10
	s_mov_b32 s2, s34
	s_cbranch_vccz .LBB23_1546
; %bb.1514:
	v_cmp_lt_i16_e32 vcc_lo, 28, v10
	s_mov_b32 s2, s34
	s_cbranch_vccz .LBB23_1530
	;; [unrolled: 4-line block ×4, first 2 shown]
; %bb.1517:
	v_cmp_eq_u16_e32 vcc_lo, 46, v10
	s_mov_b32 s2, -1
	s_cbranch_vccz .LBB23_1519
; %bb.1518:
	v_cvt_f32_f64_e32 v2, v[0:1]
	s_mov_b32 s2, 0
	s_delay_alu instid0(VALU_DEP_1) | instskip(SKIP_1) | instid1(VALU_DEP_2)
	v_bfe_u32 v3, v2, 16, 1
	v_cmp_o_f32_e32 vcc_lo, v2, v2
	v_add3_u32 v3, v2, v3, 0x7fff
	s_delay_alu instid0(VALU_DEP_1) | instskip(NEXT) | instid1(VALU_DEP_1)
	v_lshrrev_b32_e32 v3, 16, v3
	v_cndmask_b32_e32 v2, 0x7fc0, v3, vcc_lo
	global_store_b32 v[5:6], v2, off
.LBB23_1519:
	s_mov_b32 s3, 0
.LBB23_1520:
	s_delay_alu instid0(SALU_CYCLE_1)
	s_and_b32 vcc_lo, exec_lo, s3
	s_cbranch_vccz .LBB23_1525
; %bb.1521:
	v_cmp_eq_u16_e32 vcc_lo, 44, v10
	s_mov_b32 s2, -1
	s_cbranch_vccz .LBB23_1525
; %bb.1522:
	v_cvt_f32_f64_e32 v2, v[0:1]
	v_mov_b32_e32 v3, 0xff
	s_mov_b32 s3, exec_lo
	s_delay_alu instid0(VALU_DEP_2) | instskip(NEXT) | instid1(VALU_DEP_1)
	v_bfe_u32 v4, v2, 23, 8
	v_cmpx_ne_u32_e32 0xff, v4
; %bb.1523:
	v_and_b32_e32 v3, 0x400000, v2
	v_and_or_b32 v4, 0x3fffff, v2, v4
	v_lshrrev_b32_e32 v2, 23, v2
	s_delay_alu instid0(VALU_DEP_3) | instskip(NEXT) | instid1(VALU_DEP_3)
	v_cmp_ne_u32_e32 vcc_lo, 0, v3
	v_cmp_ne_u32_e64 s2, 0, v4
	s_delay_alu instid0(VALU_DEP_1) | instskip(NEXT) | instid1(SALU_CYCLE_1)
	s_and_b32 s2, vcc_lo, s2
	v_cndmask_b32_e64 v3, 0, 1, s2
	s_delay_alu instid0(VALU_DEP_1)
	v_add_nc_u32_e32 v3, v2, v3
; %bb.1524:
	s_or_b32 exec_lo, exec_lo, s3
	s_mov_b32 s2, 0
	global_store_b8 v[5:6], v3, off
.LBB23_1525:
	s_mov_b32 s3, 0
.LBB23_1526:
	s_delay_alu instid0(SALU_CYCLE_1)
	s_and_b32 vcc_lo, exec_lo, s3
	s_cbranch_vccz .LBB23_1529
; %bb.1527:
	v_cmp_eq_u16_e32 vcc_lo, 29, v10
	s_mov_b32 s2, -1
	s_cbranch_vccz .LBB23_1529
; %bb.1528:
	v_trunc_f64_e32 v[2:3], v[0:1]
	s_mov_b32 s2, 0
	s_delay_alu instid0(VALU_DEP_1) | instskip(NEXT) | instid1(VALU_DEP_1)
	v_ldexp_f64 v[7:8], v[2:3], 0xffffffe0
	v_floor_f64_e32 v[7:8], v[7:8]
	s_delay_alu instid0(VALU_DEP_1) | instskip(SKIP_1) | instid1(VALU_DEP_2)
	v_fma_f64 v[2:3], 0xc1f00000, v[7:8], v[2:3]
	v_cvt_u32_f64_e32 v4, v[7:8]
	v_cvt_u32_f64_e32 v3, v[2:3]
	global_store_b64 v[5:6], v[3:4], off
.LBB23_1529:
	s_mov_b32 s3, 0
.LBB23_1530:
	s_delay_alu instid0(SALU_CYCLE_1)
	s_and_b32 vcc_lo, exec_lo, s3
	s_cbranch_vccz .LBB23_1545
; %bb.1531:
	v_cmp_gt_i16_e32 vcc_lo, 27, v10
	s_mov_b32 s3, -1
	s_cbranch_vccnz .LBB23_1537
; %bb.1532:
	v_cvt_u32_f64_e32 v2, v[0:1]
	v_cmp_lt_i16_e32 vcc_lo, 27, v10
	s_cbranch_vccz .LBB23_1534
; %bb.1533:
	s_mov_b32 s3, 0
	global_store_b32 v[5:6], v2, off
.LBB23_1534:
	s_and_not1_b32 vcc_lo, exec_lo, s3
	s_cbranch_vccnz .LBB23_1536
; %bb.1535:
	global_store_b16 v[5:6], v2, off
.LBB23_1536:
	s_mov_b32 s3, 0
.LBB23_1537:
	s_delay_alu instid0(SALU_CYCLE_1)
	s_and_not1_b32 vcc_lo, exec_lo, s3
	s_cbranch_vccnz .LBB23_1545
; %bb.1538:
	v_cvt_f32_f64_e32 v2, v[0:1]
	v_mov_b32_e32 v4, 0x80
	s_mov_b32 s3, exec_lo
	s_delay_alu instid0(VALU_DEP_2) | instskip(NEXT) | instid1(VALU_DEP_1)
	v_and_b32_e32 v3, 0x7fffffff, v2
	v_cmpx_gt_u32_e32 0x43800000, v3
	s_cbranch_execz .LBB23_1544
; %bb.1539:
	v_cmp_lt_u32_e32 vcc_lo, 0x3bffffff, v3
	s_mov_b32 s4, 0
                                        ; implicit-def: $vgpr3
	s_and_saveexec_b32 s5, vcc_lo
	s_delay_alu instid0(SALU_CYCLE_1)
	s_xor_b32 s5, exec_lo, s5
	s_cbranch_execz .LBB23_1822
; %bb.1540:
	v_bfe_u32 v3, v2, 20, 1
	s_mov_b32 s4, exec_lo
	s_delay_alu instid0(VALU_DEP_1) | instskip(NEXT) | instid1(VALU_DEP_1)
	v_add3_u32 v3, v2, v3, 0x487ffff
	v_lshrrev_b32_e32 v3, 20, v3
	s_or_saveexec_b32 s5, s5
                                        ; implicit-def: $sgpr8
	s_delay_alu instid0(SALU_CYCLE_1)
	s_xor_b32 exec_lo, exec_lo, s5
	s_cbranch_execnz .LBB23_1823
.LBB23_1541:
	s_or_b32 exec_lo, exec_lo, s5
	v_mov_b32_e32 v4, s8
	s_and_saveexec_b32 s5, s4
.LBB23_1542:
	v_lshrrev_b32_e32 v2, 24, v2
	s_delay_alu instid0(VALU_DEP_1)
	v_and_or_b32 v4, 0x80, v2, v3
.LBB23_1543:
	s_or_b32 exec_lo, exec_lo, s5
.LBB23_1544:
	s_delay_alu instid0(SALU_CYCLE_1)
	s_or_b32 exec_lo, exec_lo, s3
	global_store_b8 v[5:6], v4, off
.LBB23_1545:
	s_mov_b32 s3, 0
.LBB23_1546:
	s_delay_alu instid0(SALU_CYCLE_1)
	s_and_b32 vcc_lo, exec_lo, s3
	s_mov_b32 s3, 0
	s_cbranch_vccz .LBB23_1586
; %bb.1547:
	v_cmp_lt_i16_e32 vcc_lo, 22, v10
	s_mov_b32 s4, -1
	s_cbranch_vccz .LBB23_1579
; %bb.1548:
	v_cmp_gt_i16_e32 vcc_lo, 24, v10
	s_cbranch_vccnz .LBB23_1568
; %bb.1549:
	v_cmp_lt_i16_e32 vcc_lo, 24, v10
	s_cbranch_vccz .LBB23_1557
; %bb.1550:
	v_cvt_f32_f64_e32 v2, v[0:1]
	v_mov_b32_e32 v4, 0x80
	s_mov_b32 s4, exec_lo
	s_delay_alu instid0(VALU_DEP_2) | instskip(NEXT) | instid1(VALU_DEP_1)
	v_and_b32_e32 v3, 0x7fffffff, v2
	v_cmpx_gt_u32_e32 0x47800000, v3
	s_cbranch_execz .LBB23_1556
; %bb.1551:
	v_cmp_lt_u32_e32 vcc_lo, 0x37ffffff, v3
	s_mov_b32 s5, 0
                                        ; implicit-def: $vgpr3
	s_and_saveexec_b32 s8, vcc_lo
	s_delay_alu instid0(SALU_CYCLE_1)
	s_xor_b32 s8, exec_lo, s8
	s_cbranch_execz .LBB23_1966
; %bb.1552:
	v_bfe_u32 v3, v2, 21, 1
	s_mov_b32 s5, exec_lo
	s_delay_alu instid0(VALU_DEP_1) | instskip(NEXT) | instid1(VALU_DEP_1)
	v_add3_u32 v3, v2, v3, 0x88fffff
	v_lshrrev_b32_e32 v3, 21, v3
	s_or_saveexec_b32 s8, s8
                                        ; implicit-def: $sgpr9
	s_delay_alu instid0(SALU_CYCLE_1)
	s_xor_b32 exec_lo, exec_lo, s8
	s_cbranch_execnz .LBB23_1967
.LBB23_1553:
	s_or_b32 exec_lo, exec_lo, s8
	v_mov_b32_e32 v4, s9
	s_and_saveexec_b32 s8, s5
.LBB23_1554:
	v_lshrrev_b32_e32 v2, 24, v2
	s_delay_alu instid0(VALU_DEP_1)
	v_and_or_b32 v4, 0x80, v2, v3
.LBB23_1555:
	s_or_b32 exec_lo, exec_lo, s8
.LBB23_1556:
	s_delay_alu instid0(SALU_CYCLE_1)
	s_or_b32 exec_lo, exec_lo, s4
	s_mov_b32 s4, 0
	global_store_b8 v[5:6], v4, off
.LBB23_1557:
	s_and_b32 vcc_lo, exec_lo, s4
	s_cbranch_vccz .LBB23_1567
; %bb.1558:
	v_cvt_f32_f64_e32 v2, v[0:1]
	s_mov_b32 s4, exec_lo
                                        ; implicit-def: $vgpr3
	s_delay_alu instid0(VALU_DEP_1) | instskip(NEXT) | instid1(VALU_DEP_1)
	v_and_b32_e32 v4, 0x7fffffff, v2
	v_cmpx_gt_u32_e32 0x43f00000, v4
	s_xor_b32 s4, exec_lo, s4
	s_cbranch_execz .LBB23_1564
; %bb.1559:
	s_mov_b32 s5, exec_lo
                                        ; implicit-def: $vgpr3
	v_cmpx_lt_u32_e32 0x3c7fffff, v4
	s_xor_b32 s5, exec_lo, s5
; %bb.1560:
	v_bfe_u32 v3, v2, 20, 1
	s_delay_alu instid0(VALU_DEP_1) | instskip(NEXT) | instid1(VALU_DEP_1)
	v_add3_u32 v3, v2, v3, 0x407ffff
	v_and_b32_e32 v4, 0xff00000, v3
	v_lshrrev_b32_e32 v3, 20, v3
	s_delay_alu instid0(VALU_DEP_2) | instskip(NEXT) | instid1(VALU_DEP_2)
	v_cmp_ne_u32_e32 vcc_lo, 0x7f00000, v4
	v_cndmask_b32_e32 v3, 0x7e, v3, vcc_lo
; %bb.1561:
	s_and_not1_saveexec_b32 s5, s5
; %bb.1562:
	v_add_f32_e64 v3, 0x46800000, |v2|
; %bb.1563:
	s_or_b32 exec_lo, exec_lo, s5
                                        ; implicit-def: $vgpr4
.LBB23_1564:
	s_and_not1_saveexec_b32 s4, s4
; %bb.1565:
	v_mov_b32_e32 v3, 0x7f
	v_cmp_lt_u32_e32 vcc_lo, 0x7f800000, v4
	s_delay_alu instid0(VALU_DEP_2)
	v_cndmask_b32_e32 v3, 0x7e, v3, vcc_lo
; %bb.1566:
	s_or_b32 exec_lo, exec_lo, s4
	v_lshrrev_b32_e32 v2, 24, v2
	s_delay_alu instid0(VALU_DEP_1)
	v_and_or_b32 v2, 0x80, v2, v3
	global_store_b8 v[5:6], v2, off
.LBB23_1567:
	s_mov_b32 s4, 0
.LBB23_1568:
	s_delay_alu instid0(SALU_CYCLE_1)
	s_and_not1_b32 vcc_lo, exec_lo, s4
	s_cbranch_vccnz .LBB23_1578
; %bb.1569:
	v_cvt_f32_f64_e32 v2, v[0:1]
	s_mov_b32 s4, exec_lo
                                        ; implicit-def: $vgpr3
	s_delay_alu instid0(VALU_DEP_1) | instskip(NEXT) | instid1(VALU_DEP_1)
	v_and_b32_e32 v4, 0x7fffffff, v2
	v_cmpx_gt_u32_e32 0x47800000, v4
	s_xor_b32 s4, exec_lo, s4
	s_cbranch_execz .LBB23_1575
; %bb.1570:
	s_mov_b32 s5, exec_lo
                                        ; implicit-def: $vgpr3
	v_cmpx_lt_u32_e32 0x387fffff, v4
	s_xor_b32 s5, exec_lo, s5
; %bb.1571:
	v_bfe_u32 v3, v2, 21, 1
	s_delay_alu instid0(VALU_DEP_1) | instskip(NEXT) | instid1(VALU_DEP_1)
	v_add3_u32 v3, v2, v3, 0x80fffff
	v_lshrrev_b32_e32 v3, 21, v3
; %bb.1572:
	s_and_not1_saveexec_b32 s5, s5
; %bb.1573:
	v_add_f32_e64 v3, 0x43000000, |v2|
; %bb.1574:
	s_or_b32 exec_lo, exec_lo, s5
                                        ; implicit-def: $vgpr4
.LBB23_1575:
	s_and_not1_saveexec_b32 s4, s4
; %bb.1576:
	v_mov_b32_e32 v3, 0x7f
	v_cmp_lt_u32_e32 vcc_lo, 0x7f800000, v4
	s_delay_alu instid0(VALU_DEP_2)
	v_cndmask_b32_e32 v3, 0x7c, v3, vcc_lo
; %bb.1577:
	s_or_b32 exec_lo, exec_lo, s4
	v_lshrrev_b32_e32 v2, 24, v2
	s_delay_alu instid0(VALU_DEP_1)
	v_and_or_b32 v2, 0x80, v2, v3
	global_store_b8 v[5:6], v2, off
.LBB23_1578:
	s_mov_b32 s4, 0
.LBB23_1579:
	s_delay_alu instid0(SALU_CYCLE_1)
	s_and_not1_b32 vcc_lo, exec_lo, s4
	s_mov_b32 s9, 0
	s_cbranch_vccnz .LBB23_1587
; %bb.1580:
	v_cmp_lt_i16_e32 vcc_lo, 14, v10
	s_mov_b32 s4, -1
	s_cbranch_vccz .LBB23_1584
; %bb.1581:
	v_cmp_eq_u16_e32 vcc_lo, 15, v10
	s_mov_b32 s2, -1
	s_cbranch_vccz .LBB23_1583
; %bb.1582:
	v_cvt_f32_f64_e32 v2, v[0:1]
	s_mov_b32 s2, 0
	s_delay_alu instid0(VALU_DEP_1) | instskip(SKIP_1) | instid1(VALU_DEP_2)
	v_bfe_u32 v3, v2, 16, 1
	v_cmp_o_f32_e32 vcc_lo, v2, v2
	v_add3_u32 v3, v2, v3, 0x7fff
	s_delay_alu instid0(VALU_DEP_1) | instskip(NEXT) | instid1(VALU_DEP_1)
	v_lshrrev_b32_e32 v3, 16, v3
	v_cndmask_b32_e32 v2, 0x7fc0, v3, vcc_lo
	global_store_b16 v[5:6], v2, off
.LBB23_1583:
	s_mov_b32 s4, 0
.LBB23_1584:
	s_delay_alu instid0(SALU_CYCLE_1)
	s_and_b32 vcc_lo, exec_lo, s4
	s_cbranch_vccz .LBB23_1587
; %bb.1585:
	v_cmp_ne_u16_e32 vcc_lo, 11, v10
	s_and_not1_b32 s2, s2, exec_lo
	s_mov_b32 s9, -1
	s_and_b32 s4, vcc_lo, exec_lo
	s_delay_alu instid0(SALU_CYCLE_1)
	s_or_b32 s2, s2, s4
	s_branch .LBB23_1587
.LBB23_1586:
	s_mov_b32 s9, 0
.LBB23_1587:
	s_and_b32 s8, s3, exec_lo
	s_and_not1_b32 s3, s34, exec_lo
	s_and_b32 s4, s2, exec_lo
	s_and_b32 s2, s9, exec_lo
	s_or_b32 s34, s3, s4
.LBB23_1588:
	s_or_b32 exec_lo, exec_lo, s7
	s_and_saveexec_b32 s3, s34
	s_cbranch_execnz .LBB23_1690
; %bb.1589:
	s_or_b32 exec_lo, exec_lo, s3
	s_and_saveexec_b32 s3, s2
	s_delay_alu instid0(SALU_CYCLE_1)
	s_xor_b32 s2, exec_lo, s3
	s_cbranch_execz .LBB23_1591
.LBB23_1590:
	v_cmp_neq_f64_e32 vcc_lo, 0, v[0:1]
	v_cndmask_b32_e64 v2, 0, 1, vcc_lo
	s_waitcnt vmcnt(0)
	global_store_b8 v[5:6], v2, off
.LBB23_1591:
	s_or_b32 exec_lo, exec_lo, s2
	s_and_saveexec_b32 s2, s8
	s_delay_alu instid0(SALU_CYCLE_1)
	s_xor_b32 s2, exec_lo, s2
	s_cbranch_execz .LBB23_1629
; %bb.1592:
	s_waitcnt vmcnt(0)
	v_cmp_gt_i16_e32 vcc_lo, 5, v10
	s_mov_b32 s3, -1
	s_cbranch_vccnz .LBB23_1613
; %bb.1593:
	v_cmp_gt_i16_e32 vcc_lo, 8, v10
	s_cbranch_vccnz .LBB23_1603
; %bb.1594:
	v_cmp_gt_i16_e32 vcc_lo, 9, v10
	s_cbranch_vccnz .LBB23_1600
; %bb.1595:
	v_cmp_lt_i16_e32 vcc_lo, 9, v10
	s_cbranch_vccz .LBB23_1597
; %bb.1596:
	v_mov_b32_e32 v2, 0
	s_mov_b32 s3, 0
	s_delay_alu instid0(VALU_DEP_1)
	v_mov_b32_e32 v3, v2
	global_store_b128 v[5:6], v[0:3], off
.LBB23_1597:
	s_and_not1_b32 vcc_lo, exec_lo, s3
	s_cbranch_vccnz .LBB23_1599
; %bb.1598:
	v_cvt_f32_f64_e32 v2, v[0:1]
	v_mov_b32_e32 v3, 0
	global_store_b64 v[5:6], v[2:3], off
.LBB23_1599:
	s_mov_b32 s3, 0
.LBB23_1600:
	s_delay_alu instid0(SALU_CYCLE_1)
	s_and_not1_b32 vcc_lo, exec_lo, s3
	s_cbranch_vccnz .LBB23_1602
; %bb.1601:
	v_cvt_f32_f64_e32 v2, v[0:1]
	s_delay_alu instid0(VALU_DEP_1) | instskip(NEXT) | instid1(VALU_DEP_1)
	v_cvt_f16_f32_e32 v2, v2
	v_and_b32_e32 v2, 0xffff, v2
	global_store_b32 v[5:6], v2, off
.LBB23_1602:
	s_mov_b32 s3, 0
.LBB23_1603:
	s_delay_alu instid0(SALU_CYCLE_1)
	s_and_not1_b32 vcc_lo, exec_lo, s3
	s_cbranch_vccnz .LBB23_1612
; %bb.1604:
	v_cmp_gt_i16_e32 vcc_lo, 6, v10
	s_mov_b32 s3, -1
	s_cbranch_vccnz .LBB23_1610
; %bb.1605:
	v_cmp_lt_i16_e32 vcc_lo, 6, v10
	s_cbranch_vccz .LBB23_1607
; %bb.1606:
	s_mov_b32 s3, 0
	global_store_b64 v[5:6], v[0:1], off
.LBB23_1607:
	s_and_not1_b32 vcc_lo, exec_lo, s3
	s_cbranch_vccnz .LBB23_1609
; %bb.1608:
	v_cvt_f32_f64_e32 v2, v[0:1]
	global_store_b32 v[5:6], v2, off
.LBB23_1609:
	s_mov_b32 s3, 0
.LBB23_1610:
	s_delay_alu instid0(SALU_CYCLE_1)
	s_and_not1_b32 vcc_lo, exec_lo, s3
	s_cbranch_vccnz .LBB23_1612
; %bb.1611:
	v_cvt_f32_f64_e32 v2, v[0:1]
	s_delay_alu instid0(VALU_DEP_1)
	v_cvt_f16_f32_e32 v2, v2
	global_store_b16 v[5:6], v2, off
.LBB23_1612:
	s_mov_b32 s3, 0
.LBB23_1613:
	s_delay_alu instid0(SALU_CYCLE_1)
	s_and_not1_b32 vcc_lo, exec_lo, s3
	s_cbranch_vccnz .LBB23_1629
; %bb.1614:
	v_cmp_gt_i16_e32 vcc_lo, 2, v10
	s_mov_b32 s3, -1
	s_cbranch_vccnz .LBB23_1624
; %bb.1615:
	v_cmp_gt_i16_e32 vcc_lo, 3, v10
	s_cbranch_vccnz .LBB23_1621
; %bb.1616:
	v_cmp_lt_i16_e32 vcc_lo, 3, v10
	s_cbranch_vccz .LBB23_1618
; %bb.1617:
	v_trunc_f64_e32 v[2:3], v[0:1]
	s_mov_b32 s3, 0
	s_delay_alu instid0(VALU_DEP_1) | instskip(NEXT) | instid1(VALU_DEP_1)
	v_ldexp_f64 v[7:8], v[2:3], 0xffffffe0
	v_floor_f64_e32 v[7:8], v[7:8]
	s_delay_alu instid0(VALU_DEP_1) | instskip(SKIP_1) | instid1(VALU_DEP_2)
	v_fma_f64 v[2:3], 0xc1f00000, v[7:8], v[2:3]
	v_cvt_i32_f64_e32 v4, v[7:8]
	v_cvt_u32_f64_e32 v3, v[2:3]
	global_store_b64 v[5:6], v[3:4], off
.LBB23_1618:
	s_and_not1_b32 vcc_lo, exec_lo, s3
	s_cbranch_vccnz .LBB23_1620
; %bb.1619:
	v_cvt_i32_f64_e32 v2, v[0:1]
	global_store_b32 v[5:6], v2, off
.LBB23_1620:
	s_mov_b32 s3, 0
.LBB23_1621:
	s_delay_alu instid0(SALU_CYCLE_1)
	s_and_not1_b32 vcc_lo, exec_lo, s3
	s_cbranch_vccnz .LBB23_1623
; %bb.1622:
	v_cvt_i32_f64_e32 v2, v[0:1]
	global_store_b16 v[5:6], v2, off
.LBB23_1623:
	s_mov_b32 s3, 0
.LBB23_1624:
	s_delay_alu instid0(SALU_CYCLE_1)
	s_and_not1_b32 vcc_lo, exec_lo, s3
	s_cbranch_vccnz .LBB23_1629
; %bb.1625:
	v_cmp_lt_i16_e32 vcc_lo, 0, v10
	s_mov_b32 s3, -1
	s_cbranch_vccz .LBB23_1627
; %bb.1626:
	v_cvt_i32_f64_e32 v2, v[0:1]
	s_mov_b32 s3, 0
	global_store_b8 v[5:6], v2, off
.LBB23_1627:
	s_and_not1_b32 vcc_lo, exec_lo, s3
	s_cbranch_vccnz .LBB23_1629
; %bb.1628:
	v_trunc_f64_e32 v[0:1], v[0:1]
	s_delay_alu instid0(VALU_DEP_1) | instskip(NEXT) | instid1(VALU_DEP_1)
	v_ldexp_f64 v[2:3], v[0:1], 0xffffffe0
	v_floor_f64_e32 v[2:3], v[2:3]
	s_delay_alu instid0(VALU_DEP_1) | instskip(NEXT) | instid1(VALU_DEP_1)
	v_fma_f64 v[0:1], 0xc1f00000, v[2:3], v[0:1]
	v_cvt_u32_f64_e32 v0, v[0:1]
	global_store_b8 v[5:6], v0, off
.LBB23_1629:
	s_or_b32 exec_lo, exec_lo, s2
	s_delay_alu instid0(SALU_CYCLE_1)
	s_and_b32 s8, s6, exec_lo
                                        ; implicit-def: $vgpr15
                                        ; implicit-def: $vgpr11
.LBB23_1630:
	s_or_saveexec_b32 s9, s28
	s_mov_b32 s2, 0
                                        ; implicit-def: $vgpr0_vgpr1
                                        ; implicit-def: $vgpr17
                                        ; implicit-def: $vgpr12_vgpr13
	s_xor_b32 exec_lo, exec_lo, s9
	s_cbranch_execz .LBB23_3220
; %bb.1631:
	s_waitcnt vmcnt(0)
	v_cndmask_b32_e64 v3, 0, 1, s27
	s_and_not1_b32 vcc_lo, exec_lo, s27
	s_cbranch_vccnz .LBB23_1637
; %bb.1632:
	v_dual_mov_b32 v2, 0 :: v_dual_mov_b32 v1, 0
	v_mov_b32_e32 v0, 0
	s_cmp_lg_u32 s24, 0
	s_mov_b32 s4, 0
	s_cbranch_scc0 .LBB23_1638
; %bb.1633:
	s_min_u32 s5, s25, 15
	v_dual_mov_b32 v0, 0 :: v_dual_mov_b32 v1, 0
	s_add_i32 s2, s5, 1
	v_mov_b32_e32 v2, 0
	v_mov_b32_e32 v4, v11
	s_and_b32 s6, s2, 30
	s_add_u32 s2, s16, 0xffffffec
	s_addc_u32 s3, s17, -1
	s_set_inst_prefetch_distance 0x1
	.p2align	6
.LBB23_1634:                            ; =>This Inner Loop Header: Depth=1
	s_clause 0x2
	s_load_b128 s[12:15], s[2:3], 0x18
	s_load_b64 s[10:11], s[2:3], 0x28
	s_load_b128 s[20:23], s[2:3], 0xd8
	s_waitcnt lgkmcnt(0)
	v_mul_hi_u32 v5, s13, v4
	s_delay_alu instid0(VALU_DEP_1) | instskip(NEXT) | instid1(VALU_DEP_1)
	v_add_nc_u32_e32 v5, v4, v5
	v_lshrrev_b32_e32 v5, s14, v5
	s_delay_alu instid0(VALU_DEP_1)
	v_mul_hi_u32 v6, s10, v5
	v_mul_lo_u32 v7, v5, s12
	s_load_b64 s[12:13], s[2:3], 0xe8
	s_add_u32 s2, s2, 24
	s_addc_u32 s3, s3, 0
	s_add_i32 s6, s6, -2
	s_delay_alu instid0(SALU_CYCLE_1) | instskip(NEXT) | instid1(VALU_DEP_2)
	s_cmp_lg_u32 s6, 0
	v_add_nc_u32_e32 v6, v5, v6
	s_delay_alu instid0(VALU_DEP_2) | instskip(NEXT) | instid1(VALU_DEP_2)
	v_sub_nc_u32_e32 v7, v4, v7
	v_lshrrev_b32_e32 v4, s11, v6
	s_delay_alu instid0(VALU_DEP_2) | instskip(NEXT) | instid1(VALU_DEP_2)
	v_mul_lo_u32 v8, v7, s20
	v_mul_lo_u32 v6, v4, s15
	s_delay_alu instid0(VALU_DEP_1) | instskip(SKIP_2) | instid1(VALU_DEP_3)
	v_sub_nc_u32_e32 v5, v5, v6
	v_mul_lo_u32 v6, v7, s21
	v_mul_lo_u32 v7, v7, s22
	;; [unrolled: 1-line block ×3, first 2 shown]
	s_waitcnt lgkmcnt(0)
	v_mul_lo_u32 v10, v5, s12
	v_mul_lo_u32 v5, v5, s13
	s_delay_alu instid0(VALU_DEP_3) | instskip(NEXT) | instid1(VALU_DEP_3)
	v_add3_u32 v2, v8, v2, v9
	v_add3_u32 v1, v6, v1, v10
	s_delay_alu instid0(VALU_DEP_3)
	v_add3_u32 v0, v7, v0, v5
	s_cbranch_scc1 .LBB23_1634
; %bb.1635:
	s_set_inst_prefetch_distance 0x2
	s_bitcmp1_b32 s5, 0
	s_cselect_b32 s5, -1, 0
	s_delay_alu instid0(SALU_CYCLE_1)
	s_and_b32 vcc_lo, exec_lo, s5
	s_cbranch_vccnz .LBB23_1638
; %bb.1636:
	s_clause 0x3
	s_load_b64 s[6:7], s[2:3], 0x18
	s_load_b32 s5, s[2:3], 0x20
	s_load_b64 s[10:11], s[2:3], 0xd8
	s_load_b32 s2, s[2:3], 0xe0
	s_waitcnt lgkmcnt(0)
	v_mul_hi_u32 v5, s7, v4
	s_delay_alu instid0(VALU_DEP_1) | instskip(NEXT) | instid1(VALU_DEP_1)
	v_add_nc_u32_e32 v5, v4, v5
	v_lshrrev_b32_e32 v5, s5, v5
	s_delay_alu instid0(VALU_DEP_1) | instskip(NEXT) | instid1(VALU_DEP_1)
	v_mul_lo_u32 v5, v5, s6
	v_sub_nc_u32_e32 v8, v4, v5
	s_delay_alu instid0(VALU_DEP_1) | instskip(SKIP_2) | instid1(VALU_DEP_2)
	v_mad_u64_u32 v[4:5], null, v8, s10, v[2:3]
	v_mad_u64_u32 v[5:6], null, v8, s11, v[1:2]
	;; [unrolled: 1-line block ×3, first 2 shown]
	v_dual_mov_b32 v2, v4 :: v_dual_mov_b32 v1, v5
	s_delay_alu instid0(VALU_DEP_2)
	v_mov_b32_e32 v0, v6
	s_branch .LBB23_1638
.LBB23_1637:
	s_mov_b32 s4, -1
                                        ; implicit-def: $vgpr2
                                        ; implicit-def: $vgpr1
                                        ; implicit-def: $vgpr0
.LBB23_1638:
	s_delay_alu instid0(SALU_CYCLE_1)
	s_and_not1_b32 vcc_lo, exec_lo, s4
	s_cbranch_vccnz .LBB23_1641
; %bb.1639:
	s_clause 0x1
	s_load_b128 s[4:7], s[16:17], 0x4
	s_load_b128 s[12:15], s[16:17], 0xc4
	s_cmp_lt_u32 s24, 2
	s_waitcnt lgkmcnt(0)
	v_mul_hi_u32 v0, s5, v11
	s_delay_alu instid0(VALU_DEP_1) | instskip(NEXT) | instid1(VALU_DEP_1)
	v_add_nc_u32_e32 v0, v11, v0
	v_lshrrev_b32_e32 v4, s6, v0
	s_delay_alu instid0(VALU_DEP_1) | instskip(NEXT) | instid1(VALU_DEP_1)
	v_mul_lo_u32 v0, v4, s4
	v_sub_nc_u32_e32 v0, v11, v0
	s_delay_alu instid0(VALU_DEP_1)
	v_mul_lo_u32 v2, v0, s12
	v_mul_lo_u32 v1, v0, s13
	;; [unrolled: 1-line block ×3, first 2 shown]
	s_cbranch_scc1 .LBB23_1641
; %bb.1640:
	s_clause 0x1
	s_load_b128 s[4:7], s[16:17], 0x10
	s_load_b128 s[12:15], s[16:17], 0xd0
	s_waitcnt lgkmcnt(0)
	v_mul_hi_u32 v5, s5, v4
	s_delay_alu instid0(VALU_DEP_1) | instskip(NEXT) | instid1(VALU_DEP_1)
	v_add_nc_u32_e32 v5, v4, v5
	v_lshrrev_b32_e32 v5, s6, v5
	s_delay_alu instid0(VALU_DEP_1) | instskip(NEXT) | instid1(VALU_DEP_1)
	v_mul_lo_u32 v5, v5, s4
	v_sub_nc_u32_e32 v8, v4, v5
	s_delay_alu instid0(VALU_DEP_1) | instskip(SKIP_2) | instid1(VALU_DEP_2)
	v_mad_u64_u32 v[4:5], null, v8, s12, v[2:3]
	v_mad_u64_u32 v[5:6], null, v8, s13, v[1:2]
	v_mad_u64_u32 v[6:7], null, v8, s14, v[0:1]
	v_dual_mov_b32 v2, v4 :: v_dual_mov_b32 v1, v5
	s_delay_alu instid0(VALU_DEP_2)
	v_mov_b32_e32 v0, v6
.LBB23_1641:
	v_cmp_ne_u32_e32 vcc_lo, 1, v3
	v_add_nc_u32_e32 v7, 0x80, v11
	s_cbranch_vccnz .LBB23_1647
; %bb.1642:
	v_dual_mov_b32 v6, 0 :: v_dual_mov_b32 v5, 0
	v_mov_b32_e32 v4, 0
	s_cmp_lg_u32 s24, 0
	s_mov_b32 s4, 0
	s_cbranch_scc0 .LBB23_1648
; %bb.1643:
	s_min_u32 s5, s25, 15
	v_dual_mov_b32 v4, 0 :: v_dual_mov_b32 v5, 0
	s_add_i32 s2, s5, 1
	v_mov_b32_e32 v6, 0
	v_mov_b32_e32 v8, v7
	s_and_b32 s6, s2, 30
	s_add_u32 s2, s16, 0xffffffec
	s_addc_u32 s3, s17, -1
	s_set_inst_prefetch_distance 0x1
	.p2align	6
.LBB23_1644:                            ; =>This Inner Loop Header: Depth=1
	s_clause 0x2
	s_load_b128 s[12:15], s[2:3], 0x18
	s_load_b64 s[10:11], s[2:3], 0x28
	s_load_b128 s[20:23], s[2:3], 0xd8
	s_waitcnt lgkmcnt(0)
	v_mul_hi_u32 v9, s13, v8
	s_delay_alu instid0(VALU_DEP_1) | instskip(NEXT) | instid1(VALU_DEP_1)
	v_add_nc_u32_e32 v9, v8, v9
	v_lshrrev_b32_e32 v9, s14, v9
	s_delay_alu instid0(VALU_DEP_1)
	v_mul_hi_u32 v10, s10, v9
	v_mul_lo_u32 v12, v9, s12
	s_load_b64 s[12:13], s[2:3], 0xe8
	s_add_u32 s2, s2, 24
	s_addc_u32 s3, s3, 0
	s_add_i32 s6, s6, -2
	s_delay_alu instid0(SALU_CYCLE_1) | instskip(NEXT) | instid1(VALU_DEP_2)
	s_cmp_lg_u32 s6, 0
	v_add_nc_u32_e32 v10, v9, v10
	s_delay_alu instid0(VALU_DEP_2) | instskip(NEXT) | instid1(VALU_DEP_2)
	v_sub_nc_u32_e32 v12, v8, v12
	v_lshrrev_b32_e32 v8, s11, v10
	s_delay_alu instid0(VALU_DEP_2) | instskip(NEXT) | instid1(VALU_DEP_2)
	v_mul_lo_u32 v13, v12, s20
	v_mul_lo_u32 v10, v8, s15
	s_delay_alu instid0(VALU_DEP_1) | instskip(SKIP_2) | instid1(VALU_DEP_3)
	v_sub_nc_u32_e32 v9, v9, v10
	v_mul_lo_u32 v10, v12, s21
	v_mul_lo_u32 v12, v12, s22
	;; [unrolled: 1-line block ×3, first 2 shown]
	s_waitcnt lgkmcnt(0)
	v_mul_lo_u32 v16, v9, s12
	v_mul_lo_u32 v9, v9, s13
	s_delay_alu instid0(VALU_DEP_3) | instskip(NEXT) | instid1(VALU_DEP_3)
	v_add3_u32 v6, v13, v6, v14
	v_add3_u32 v5, v10, v5, v16
	s_delay_alu instid0(VALU_DEP_3)
	v_add3_u32 v4, v12, v4, v9
	s_cbranch_scc1 .LBB23_1644
; %bb.1645:
	s_set_inst_prefetch_distance 0x2
	s_bitcmp1_b32 s5, 0
	s_cselect_b32 s5, -1, 0
	s_delay_alu instid0(SALU_CYCLE_1)
	s_and_b32 vcc_lo, exec_lo, s5
	s_cbranch_vccnz .LBB23_1648
; %bb.1646:
	s_clause 0x3
	s_load_b64 s[6:7], s[2:3], 0x18
	s_load_b32 s5, s[2:3], 0x20
	s_load_b64 s[10:11], s[2:3], 0xd8
	s_load_b32 s2, s[2:3], 0xe0
	s_waitcnt lgkmcnt(0)
	v_mul_hi_u32 v9, s7, v8
	s_delay_alu instid0(VALU_DEP_1) | instskip(NEXT) | instid1(VALU_DEP_1)
	v_add_nc_u32_e32 v9, v8, v9
	v_lshrrev_b32_e32 v9, s5, v9
	s_delay_alu instid0(VALU_DEP_1) | instskip(NEXT) | instid1(VALU_DEP_1)
	v_mul_lo_u32 v9, v9, s6
	v_sub_nc_u32_e32 v14, v8, v9
	s_delay_alu instid0(VALU_DEP_1) | instskip(SKIP_2) | instid1(VALU_DEP_2)
	v_mad_u64_u32 v[8:9], null, v14, s10, v[6:7]
	v_mad_u64_u32 v[9:10], null, v14, s11, v[5:6]
	;; [unrolled: 1-line block ×3, first 2 shown]
	v_dual_mov_b32 v6, v8 :: v_dual_mov_b32 v5, v9
	s_delay_alu instid0(VALU_DEP_2)
	v_mov_b32_e32 v4, v12
	s_branch .LBB23_1648
.LBB23_1647:
	s_mov_b32 s4, -1
                                        ; implicit-def: $vgpr6
                                        ; implicit-def: $vgpr5
                                        ; implicit-def: $vgpr4
.LBB23_1648:
	s_delay_alu instid0(SALU_CYCLE_1)
	s_and_not1_b32 vcc_lo, exec_lo, s4
	s_cbranch_vccnz .LBB23_1651
; %bb.1649:
	s_clause 0x1
	s_load_b128 s[4:7], s[16:17], 0x4
	s_load_b128 s[12:15], s[16:17], 0xc4
	s_cmp_lt_u32 s24, 2
	s_waitcnt lgkmcnt(0)
	v_mul_hi_u32 v4, s5, v7
	s_delay_alu instid0(VALU_DEP_1) | instskip(NEXT) | instid1(VALU_DEP_1)
	v_add_nc_u32_e32 v4, v7, v4
	v_lshrrev_b32_e32 v8, s6, v4
	s_delay_alu instid0(VALU_DEP_1) | instskip(NEXT) | instid1(VALU_DEP_1)
	v_mul_lo_u32 v4, v8, s4
	v_sub_nc_u32_e32 v4, v7, v4
	s_delay_alu instid0(VALU_DEP_1)
	v_mul_lo_u32 v6, v4, s12
	v_mul_lo_u32 v5, v4, s13
	;; [unrolled: 1-line block ×3, first 2 shown]
	s_cbranch_scc1 .LBB23_1651
; %bb.1650:
	s_clause 0x1
	s_load_b128 s[4:7], s[16:17], 0x10
	s_load_b128 s[12:15], s[16:17], 0xd0
	s_waitcnt lgkmcnt(0)
	v_mul_hi_u32 v7, s5, v8
	s_delay_alu instid0(VALU_DEP_1) | instskip(NEXT) | instid1(VALU_DEP_1)
	v_add_nc_u32_e32 v7, v8, v7
	v_lshrrev_b32_e32 v7, s6, v7
	s_delay_alu instid0(VALU_DEP_1) | instskip(NEXT) | instid1(VALU_DEP_1)
	v_mul_lo_u32 v7, v7, s4
	v_sub_nc_u32_e32 v12, v8, v7
	s_delay_alu instid0(VALU_DEP_1) | instskip(SKIP_2) | instid1(VALU_DEP_2)
	v_mad_u64_u32 v[7:8], null, v12, s12, v[6:7]
	v_mad_u64_u32 v[8:9], null, v12, s13, v[5:6]
	;; [unrolled: 1-line block ×3, first 2 shown]
	v_dual_mov_b32 v6, v7 :: v_dual_mov_b32 v5, v8
	s_delay_alu instid0(VALU_DEP_2)
	v_mov_b32_e32 v4, v9
.LBB23_1651:
	v_cmp_ne_u32_e32 vcc_lo, 1, v3
	v_add_nc_u32_e32 v7, 0x100, v11
	s_cbranch_vccnz .LBB23_1657
; %bb.1652:
	v_dual_mov_b32 v10, 0 :: v_dual_mov_b32 v9, 0
	v_mov_b32_e32 v8, 0
	s_cmp_lg_u32 s24, 0
	s_mov_b32 s4, 0
	s_cbranch_scc0 .LBB23_1658
; %bb.1653:
	s_min_u32 s5, s25, 15
	v_dual_mov_b32 v8, 0 :: v_dual_mov_b32 v9, 0
	s_add_i32 s2, s5, 1
	v_dual_mov_b32 v10, 0 :: v_dual_mov_b32 v11, v7
	s_and_b32 s6, s2, 30
	s_add_u32 s2, s16, 0xffffffec
	s_addc_u32 s3, s17, -1
	s_set_inst_prefetch_distance 0x1
	.p2align	6
.LBB23_1654:                            ; =>This Inner Loop Header: Depth=1
	s_clause 0x2
	s_load_b128 s[12:15], s[2:3], 0x18
	s_load_b64 s[10:11], s[2:3], 0x28
	s_load_b128 s[20:23], s[2:3], 0xd8
	s_waitcnt lgkmcnt(0)
	v_mul_hi_u32 v12, s13, v11
	s_delay_alu instid0(VALU_DEP_1) | instskip(NEXT) | instid1(VALU_DEP_1)
	v_add_nc_u32_e32 v12, v11, v12
	v_lshrrev_b32_e32 v12, s14, v12
	s_delay_alu instid0(VALU_DEP_1)
	v_mul_hi_u32 v13, s10, v12
	v_mul_lo_u32 v14, v12, s12
	s_load_b64 s[12:13], s[2:3], 0xe8
	s_add_u32 s2, s2, 24
	s_addc_u32 s3, s3, 0
	s_add_i32 s6, s6, -2
	s_delay_alu instid0(SALU_CYCLE_1) | instskip(NEXT) | instid1(VALU_DEP_2)
	s_cmp_lg_u32 s6, 0
	v_add_nc_u32_e32 v13, v12, v13
	s_delay_alu instid0(VALU_DEP_2) | instskip(NEXT) | instid1(VALU_DEP_2)
	v_sub_nc_u32_e32 v14, v11, v14
	v_lshrrev_b32_e32 v11, s11, v13
	s_delay_alu instid0(VALU_DEP_2) | instskip(NEXT) | instid1(VALU_DEP_2)
	v_mul_lo_u32 v16, v14, s20
	v_mul_lo_u32 v13, v11, s15
	s_delay_alu instid0(VALU_DEP_1) | instskip(SKIP_2) | instid1(VALU_DEP_3)
	v_sub_nc_u32_e32 v12, v12, v13
	v_mul_lo_u32 v13, v14, s21
	v_mul_lo_u32 v14, v14, s22
	;; [unrolled: 1-line block ×3, first 2 shown]
	s_waitcnt lgkmcnt(0)
	v_mul_lo_u32 v18, v12, s12
	v_mul_lo_u32 v12, v12, s13
	s_delay_alu instid0(VALU_DEP_3) | instskip(NEXT) | instid1(VALU_DEP_3)
	v_add3_u32 v10, v16, v10, v17
	v_add3_u32 v9, v13, v9, v18
	s_delay_alu instid0(VALU_DEP_3)
	v_add3_u32 v8, v14, v8, v12
	s_cbranch_scc1 .LBB23_1654
; %bb.1655:
	s_set_inst_prefetch_distance 0x2
	s_bitcmp1_b32 s5, 0
	s_cselect_b32 s5, -1, 0
	s_delay_alu instid0(SALU_CYCLE_1)
	s_and_b32 vcc_lo, exec_lo, s5
	s_cbranch_vccnz .LBB23_1658
; %bb.1656:
	s_clause 0x3
	s_load_b64 s[6:7], s[2:3], 0x18
	s_load_b32 s5, s[2:3], 0x20
	s_load_b64 s[10:11], s[2:3], 0xd8
	s_load_b32 s2, s[2:3], 0xe0
	s_waitcnt lgkmcnt(0)
	v_mul_hi_u32 v12, s7, v11
	s_delay_alu instid0(VALU_DEP_1) | instskip(NEXT) | instid1(VALU_DEP_1)
	v_add_nc_u32_e32 v12, v11, v12
	v_lshrrev_b32_e32 v12, s5, v12
	s_delay_alu instid0(VALU_DEP_1) | instskip(NEXT) | instid1(VALU_DEP_1)
	v_mul_lo_u32 v12, v12, s6
	v_sub_nc_u32_e32 v16, v11, v12
	s_delay_alu instid0(VALU_DEP_1) | instskip(SKIP_2) | instid1(VALU_DEP_2)
	v_mad_u64_u32 v[11:12], null, v16, s10, v[10:11]
	v_mad_u64_u32 v[12:13], null, v16, s11, v[9:10]
	;; [unrolled: 1-line block ×3, first 2 shown]
	v_dual_mov_b32 v10, v11 :: v_dual_mov_b32 v9, v12
	s_delay_alu instid0(VALU_DEP_2)
	v_mov_b32_e32 v8, v13
	s_branch .LBB23_1658
.LBB23_1657:
	s_mov_b32 s4, -1
                                        ; implicit-def: $vgpr10
                                        ; implicit-def: $vgpr9
                                        ; implicit-def: $vgpr8
.LBB23_1658:
	s_delay_alu instid0(SALU_CYCLE_1)
	s_and_not1_b32 vcc_lo, exec_lo, s4
	s_cbranch_vccnz .LBB23_1661
; %bb.1659:
	s_clause 0x1
	s_load_b128 s[4:7], s[16:17], 0x4
	s_load_b128 s[12:15], s[16:17], 0xc4
	s_cmp_lt_u32 s24, 2
	s_waitcnt lgkmcnt(0)
	v_mul_hi_u32 v8, s5, v7
	s_delay_alu instid0(VALU_DEP_1) | instskip(NEXT) | instid1(VALU_DEP_1)
	v_add_nc_u32_e32 v8, v7, v8
	v_lshrrev_b32_e32 v11, s6, v8
	s_delay_alu instid0(VALU_DEP_1) | instskip(NEXT) | instid1(VALU_DEP_1)
	v_mul_lo_u32 v8, v11, s4
	v_sub_nc_u32_e32 v7, v7, v8
	s_delay_alu instid0(VALU_DEP_1)
	v_mul_lo_u32 v10, v7, s12
	v_mul_lo_u32 v9, v7, s13
	;; [unrolled: 1-line block ×3, first 2 shown]
	s_cbranch_scc1 .LBB23_1661
; %bb.1660:
	s_clause 0x1
	s_load_b128 s[4:7], s[16:17], 0x10
	s_load_b128 s[12:15], s[16:17], 0xd0
	s_waitcnt lgkmcnt(0)
	v_mul_hi_u32 v7, s5, v11
	s_delay_alu instid0(VALU_DEP_1) | instskip(NEXT) | instid1(VALU_DEP_1)
	v_add_nc_u32_e32 v7, v11, v7
	v_lshrrev_b32_e32 v7, s6, v7
	s_delay_alu instid0(VALU_DEP_1) | instskip(NEXT) | instid1(VALU_DEP_1)
	v_mul_lo_u32 v7, v7, s4
	v_sub_nc_u32_e32 v7, v11, v7
	s_delay_alu instid0(VALU_DEP_1) | instskip(SKIP_2) | instid1(VALU_DEP_2)
	v_mad_u64_u32 v[11:12], null, v7, s12, v[10:11]
	v_mad_u64_u32 v[12:13], null, v7, s13, v[9:10]
	;; [unrolled: 1-line block ×3, first 2 shown]
	v_dual_mov_b32 v10, v11 :: v_dual_mov_b32 v9, v12
	s_delay_alu instid0(VALU_DEP_2)
	v_mov_b32_e32 v8, v13
.LBB23_1661:
	v_cmp_ne_u32_e32 vcc_lo, 1, v3
	s_cbranch_vccnz .LBB23_1667
; %bb.1662:
	v_dual_mov_b32 v14, 0 :: v_dual_mov_b32 v7, 0
	v_mov_b32_e32 v3, 0
	s_cmp_lg_u32 s24, 0
	s_mov_b32 s4, 0
	s_cbranch_scc0 .LBB23_1668
; %bb.1663:
	s_min_u32 s5, s25, 15
	v_dual_mov_b32 v3, 0 :: v_dual_mov_b32 v14, 0
	s_add_i32 s2, s5, 1
	v_mov_b32_e32 v7, 0
	v_mov_b32_e32 v11, v15
	s_and_b32 s6, s2, 30
	s_add_u32 s2, s16, 0xffffffec
	s_addc_u32 s3, s17, -1
	s_set_inst_prefetch_distance 0x1
	.p2align	6
.LBB23_1664:                            ; =>This Inner Loop Header: Depth=1
	s_clause 0x2
	s_load_b128 s[12:15], s[2:3], 0x18
	s_load_b64 s[10:11], s[2:3], 0x28
	s_load_b128 s[20:23], s[2:3], 0xd8
	s_waitcnt lgkmcnt(0)
	v_mul_hi_u32 v12, s13, v11
	s_delay_alu instid0(VALU_DEP_1) | instskip(NEXT) | instid1(VALU_DEP_1)
	v_add_nc_u32_e32 v12, v11, v12
	v_lshrrev_b32_e32 v12, s14, v12
	s_delay_alu instid0(VALU_DEP_1)
	v_mul_hi_u32 v13, s10, v12
	v_mul_lo_u32 v16, v12, s12
	s_load_b64 s[12:13], s[2:3], 0xe8
	s_add_u32 s2, s2, 24
	s_addc_u32 s3, s3, 0
	s_add_i32 s6, s6, -2
	s_delay_alu instid0(SALU_CYCLE_1) | instskip(NEXT) | instid1(VALU_DEP_2)
	s_cmp_lg_u32 s6, 0
	v_add_nc_u32_e32 v13, v12, v13
	s_delay_alu instid0(VALU_DEP_2) | instskip(NEXT) | instid1(VALU_DEP_2)
	v_sub_nc_u32_e32 v16, v11, v16
	v_lshrrev_b32_e32 v11, s11, v13
	s_delay_alu instid0(VALU_DEP_2) | instskip(NEXT) | instid1(VALU_DEP_2)
	v_mul_lo_u32 v17, v16, s20
	v_mul_lo_u32 v13, v11, s15
	s_delay_alu instid0(VALU_DEP_1) | instskip(SKIP_2) | instid1(VALU_DEP_3)
	v_sub_nc_u32_e32 v12, v12, v13
	v_mul_lo_u32 v13, v16, s21
	v_mul_lo_u32 v16, v16, s22
	;; [unrolled: 1-line block ×3, first 2 shown]
	s_waitcnt lgkmcnt(0)
	v_mul_lo_u32 v19, v12, s12
	v_mul_lo_u32 v12, v12, s13
	s_delay_alu instid0(VALU_DEP_3) | instskip(NEXT) | instid1(VALU_DEP_3)
	v_add3_u32 v14, v17, v14, v18
	v_add3_u32 v7, v13, v7, v19
	s_delay_alu instid0(VALU_DEP_3)
	v_add3_u32 v3, v16, v3, v12
	s_cbranch_scc1 .LBB23_1664
; %bb.1665:
	s_set_inst_prefetch_distance 0x2
	s_bitcmp1_b32 s5, 0
	s_cselect_b32 s5, -1, 0
	s_delay_alu instid0(SALU_CYCLE_1)
	s_and_b32 vcc_lo, exec_lo, s5
	s_cbranch_vccnz .LBB23_1668
; %bb.1666:
	s_clause 0x3
	s_load_b64 s[6:7], s[2:3], 0x18
	s_load_b32 s5, s[2:3], 0x20
	s_load_b64 s[10:11], s[2:3], 0xd8
	s_load_b32 s2, s[2:3], 0xe0
	s_waitcnt lgkmcnt(0)
	v_mul_hi_u32 v12, s7, v11
	s_delay_alu instid0(VALU_DEP_1) | instskip(NEXT) | instid1(VALU_DEP_1)
	v_add_nc_u32_e32 v12, v11, v12
	v_lshrrev_b32_e32 v12, s5, v12
	s_delay_alu instid0(VALU_DEP_1) | instskip(NEXT) | instid1(VALU_DEP_1)
	v_mul_lo_u32 v12, v12, s6
	v_sub_nc_u32_e32 v16, v11, v12
	s_delay_alu instid0(VALU_DEP_1) | instskip(SKIP_2) | instid1(VALU_DEP_2)
	v_mad_u64_u32 v[11:12], null, v16, s10, v[14:15]
	v_mad_u64_u32 v[12:13], null, v16, s11, v[7:8]
	;; [unrolled: 1-line block ×3, first 2 shown]
	v_dual_mov_b32 v14, v11 :: v_dual_mov_b32 v7, v12
	s_delay_alu instid0(VALU_DEP_2)
	v_mov_b32_e32 v3, v13
	s_branch .LBB23_1668
.LBB23_1667:
	s_mov_b32 s4, -1
                                        ; implicit-def: $vgpr14
                                        ; implicit-def: $vgpr7
                                        ; implicit-def: $vgpr3
.LBB23_1668:
	s_delay_alu instid0(SALU_CYCLE_1)
	s_and_not1_b32 vcc_lo, exec_lo, s4
	s_cbranch_vccnz .LBB23_1671
; %bb.1669:
	s_clause 0x1
	s_load_b128 s[4:7], s[16:17], 0x4
	s_load_b128 s[12:15], s[16:17], 0xc4
	s_cmp_lt_u32 s24, 2
	s_waitcnt lgkmcnt(0)
	v_mul_hi_u32 v3, s5, v15
	s_delay_alu instid0(VALU_DEP_1) | instskip(NEXT) | instid1(VALU_DEP_1)
	v_add_nc_u32_e32 v3, v15, v3
	v_lshrrev_b32_e32 v11, s6, v3
	s_delay_alu instid0(VALU_DEP_1) | instskip(NEXT) | instid1(VALU_DEP_1)
	v_mul_lo_u32 v3, v11, s4
	v_sub_nc_u32_e32 v3, v15, v3
	s_delay_alu instid0(VALU_DEP_1)
	v_mul_lo_u32 v14, v3, s12
	v_mul_lo_u32 v7, v3, s13
	v_mul_lo_u32 v3, v3, s14
	s_cbranch_scc1 .LBB23_1671
; %bb.1670:
	s_clause 0x1
	s_load_b128 s[4:7], s[16:17], 0x10
	s_load_b128 s[12:15], s[16:17], 0xd0
	s_waitcnt lgkmcnt(0)
	v_mul_hi_u32 v12, s5, v11
	s_delay_alu instid0(VALU_DEP_1) | instskip(NEXT) | instid1(VALU_DEP_1)
	v_add_nc_u32_e32 v12, v11, v12
	v_lshrrev_b32_e32 v12, s6, v12
	s_delay_alu instid0(VALU_DEP_1) | instskip(NEXT) | instid1(VALU_DEP_1)
	v_mul_lo_u32 v12, v12, s4
	v_sub_nc_u32_e32 v15, v11, v12
	s_delay_alu instid0(VALU_DEP_1) | instskip(SKIP_2) | instid1(VALU_DEP_2)
	v_mad_u64_u32 v[11:12], null, v15, s12, v[14:15]
	v_mad_u64_u32 v[12:13], null, v15, s13, v[7:8]
	;; [unrolled: 1-line block ×3, first 2 shown]
	v_dual_mov_b32 v14, v11 :: v_dual_mov_b32 v7, v12
	s_delay_alu instid0(VALU_DEP_2)
	v_mov_b32_e32 v3, v13
.LBB23_1671:
	s_clause 0x1
	s_load_b32 s11, s[0:1], 0x1a8
	s_load_b128 s[4:7], s[16:17], 0x188
	s_waitcnt lgkmcnt(0)
	s_lshr_b32 s0, s11, 16
	s_delay_alu instid0(SALU_CYCLE_1) | instskip(SKIP_1) | instid1(VALU_DEP_1)
	v_and_b32_e64 v13, 0xff, s0
	v_add_co_u32 v15, s0, s6, v1
	v_add_co_ci_u32_e64 v16, null, s7, 0, s0
	s_delay_alu instid0(VALU_DEP_3)
	v_cmp_gt_i16_e32 vcc_lo, 11, v13
	s_mov_b32 s0, 0
	s_cbranch_vccnz .LBB23_1678
; %bb.1672:
	v_cmp_lt_i16_e32 vcc_lo, 25, v13
	s_mov_b32 s3, 0
	s_cbranch_vccz .LBB23_1684
; %bb.1673:
	v_cmp_lt_i16_e32 vcc_lo, 28, v13
	s_cbranch_vccz .LBB23_1686
; %bb.1674:
	v_cmp_lt_i16_e32 vcc_lo, 43, v13
	;; [unrolled: 3-line block ×3, first 2 shown]
	s_cbranch_vccz .LBB23_1692
; %bb.1676:
	v_cmp_eq_u16_e32 vcc_lo, 46, v13
	s_mov_b32 s1, 0
	s_cbranch_vccz .LBB23_1734
; %bb.1677:
	global_load_b32 v1, v[15:16], off
	s_mov_b32 s2, 0
	s_mov_b32 s0, -1
	s_waitcnt vmcnt(0)
	v_lshlrev_b32_e32 v1, 16, v1
	s_delay_alu instid0(VALU_DEP_1)
	v_cvt_f64_f32_e32 v[11:12], v1
	s_branch .LBB23_1736
.LBB23_1678:
	s_mov_b32 s10, s8
                                        ; implicit-def: $vgpr11_vgpr12
	s_cbranch_execz .LBB23_1799
; %bb.1679:
	v_cmp_gt_i16_e32 vcc_lo, 5, v13
	s_cbranch_vccnz .LBB23_1685
; %bb.1680:
	v_cmp_gt_i16_e32 vcc_lo, 8, v13
	s_cbranch_vccnz .LBB23_1687
	;; [unrolled: 3-line block ×3, first 2 shown]
; %bb.1682:
	v_cmp_lt_i16_e32 vcc_lo, 9, v13
	s_cbranch_vccz .LBB23_1693
; %bb.1683:
	global_load_b64 v[11:12], v[15:16], off
	s_mov_b32 s0, 0
	s_branch .LBB23_1694
.LBB23_1684:
	s_mov_b32 s2, 0
                                        ; implicit-def: $vgpr11_vgpr12
	s_cbranch_execnz .LBB23_1766
	s_branch .LBB23_1795
.LBB23_1685:
                                        ; implicit-def: $vgpr11_vgpr12
	s_branch .LBB23_1711
.LBB23_1686:
	s_mov_b32 s1, -1
	s_mov_b32 s2, 0
                                        ; implicit-def: $vgpr11_vgpr12
	s_branch .LBB23_1745
.LBB23_1687:
                                        ; implicit-def: $vgpr11_vgpr12
	s_branch .LBB23_1700
.LBB23_1688:
	s_mov_b32 s2, 0
                                        ; implicit-def: $vgpr11_vgpr12
	s_cbranch_execnz .LBB23_1741
	s_branch .LBB23_1744
.LBB23_1689:
	s_mov_b32 s0, -1
                                        ; implicit-def: $vgpr11_vgpr12
	s_branch .LBB23_1697
.LBB23_1690:
	s_cbranch_execnz .LBB23_1732
; %bb.1691:
	s_or_b32 s6, s6, exec_lo
	s_and_not1_b32 s2, s2, exec_lo
	s_or_b32 exec_lo, exec_lo, s3
	s_and_saveexec_b32 s3, s2
	s_delay_alu instid0(SALU_CYCLE_1)
	s_xor_b32 s2, exec_lo, s3
	s_cbranch_execnz .LBB23_1590
	s_branch .LBB23_1591
.LBB23_1692:
	s_mov_b32 s1, -1
	s_mov_b32 s2, 0
	s_branch .LBB23_1735
.LBB23_1693:
	s_mov_b32 s0, -1
                                        ; implicit-def: $vgpr11_vgpr12
.LBB23_1694:
	s_delay_alu instid0(SALU_CYCLE_1)
	s_and_not1_b32 vcc_lo, exec_lo, s0
	s_cbranch_vccnz .LBB23_1696
; %bb.1695:
	global_load_b32 v1, v[15:16], off
	s_waitcnt vmcnt(0)
	v_cvt_f64_f32_e32 v[11:12], v1
.LBB23_1696:
	s_mov_b32 s0, 0
.LBB23_1697:
	s_delay_alu instid0(SALU_CYCLE_1)
	s_and_not1_b32 vcc_lo, exec_lo, s0
	s_cbranch_vccnz .LBB23_1699
; %bb.1698:
	global_load_b32 v1, v[15:16], off
	s_waitcnt vmcnt(0)
	v_cvt_f32_f16_e32 v1, v1
	s_delay_alu instid0(VALU_DEP_1)
	v_cvt_f64_f32_e32 v[11:12], v1
.LBB23_1699:
	s_cbranch_execnz .LBB23_1710
.LBB23_1700:
	v_cmp_gt_i16_e32 vcc_lo, 6, v13
	s_cbranch_vccnz .LBB23_1703
; %bb.1701:
	v_cmp_lt_i16_e32 vcc_lo, 6, v13
	s_cbranch_vccz .LBB23_1704
; %bb.1702:
	global_load_b64 v[11:12], v[15:16], off
	s_mov_b32 s0, 0
	s_branch .LBB23_1705
.LBB23_1703:
	s_mov_b32 s0, -1
                                        ; implicit-def: $vgpr11_vgpr12
	s_branch .LBB23_1708
.LBB23_1704:
	s_mov_b32 s0, -1
                                        ; implicit-def: $vgpr11_vgpr12
.LBB23_1705:
	s_delay_alu instid0(SALU_CYCLE_1)
	s_and_not1_b32 vcc_lo, exec_lo, s0
	s_cbranch_vccnz .LBB23_1707
; %bb.1706:
	global_load_b32 v1, v[15:16], off
	s_waitcnt vmcnt(0)
	v_cvt_f64_f32_e32 v[11:12], v1
.LBB23_1707:
	s_mov_b32 s0, 0
.LBB23_1708:
	s_delay_alu instid0(SALU_CYCLE_1)
	s_and_not1_b32 vcc_lo, exec_lo, s0
	s_cbranch_vccnz .LBB23_1710
; %bb.1709:
	global_load_u16 v1, v[15:16], off
	s_waitcnt vmcnt(0)
	v_cvt_f32_f16_e32 v1, v1
	s_delay_alu instid0(VALU_DEP_1)
	v_cvt_f64_f32_e32 v[11:12], v1
.LBB23_1710:
	s_cbranch_execnz .LBB23_1729
.LBB23_1711:
	v_cmp_gt_i16_e32 vcc_lo, 2, v13
	s_cbranch_vccnz .LBB23_1715
; %bb.1712:
	v_cmp_gt_i16_e32 vcc_lo, 3, v13
	s_cbranch_vccnz .LBB23_1716
; %bb.1713:
	v_cmp_lt_i16_e32 vcc_lo, 3, v13
	s_cbranch_vccz .LBB23_1717
; %bb.1714:
	global_load_b64 v[11:12], v[15:16], off
	s_mov_b32 s0, 0
	s_waitcnt vmcnt(0)
	v_cvt_f64_i32_e32 v[17:18], v12
	v_cvt_f64_u32_e32 v[11:12], v11
	s_delay_alu instid0(VALU_DEP_2) | instskip(NEXT) | instid1(VALU_DEP_1)
	v_ldexp_f64 v[17:18], v[17:18], 32
	v_add_f64 v[11:12], v[17:18], v[11:12]
	s_branch .LBB23_1718
.LBB23_1715:
                                        ; implicit-def: $vgpr11_vgpr12
	s_branch .LBB23_1724
.LBB23_1716:
	s_mov_b32 s0, -1
                                        ; implicit-def: $vgpr11_vgpr12
	s_branch .LBB23_1721
.LBB23_1717:
	s_mov_b32 s0, -1
                                        ; implicit-def: $vgpr11_vgpr12
.LBB23_1718:
	s_delay_alu instid0(SALU_CYCLE_1)
	s_and_not1_b32 vcc_lo, exec_lo, s0
	s_cbranch_vccnz .LBB23_1720
; %bb.1719:
	global_load_b32 v1, v[15:16], off
	s_waitcnt vmcnt(0)
	v_cvt_f64_i32_e32 v[11:12], v1
.LBB23_1720:
	s_mov_b32 s0, 0
.LBB23_1721:
	s_delay_alu instid0(SALU_CYCLE_1)
	s_and_not1_b32 vcc_lo, exec_lo, s0
	s_cbranch_vccnz .LBB23_1723
; %bb.1722:
	global_load_i16 v1, v[15:16], off
	s_waitcnt vmcnt(0)
	v_cvt_f64_i32_e32 v[11:12], v1
.LBB23_1723:
	s_cbranch_execnz .LBB23_1729
.LBB23_1724:
	v_cmp_lt_i16_e32 vcc_lo, 0, v13
	s_mov_b32 s0, 0
	s_cbranch_vccz .LBB23_1726
; %bb.1725:
	global_load_i8 v1, v[15:16], off
	s_waitcnt vmcnt(0)
	v_cvt_f64_i32_e32 v[11:12], v1
	s_branch .LBB23_1727
.LBB23_1726:
	s_mov_b32 s0, -1
                                        ; implicit-def: $vgpr11_vgpr12
.LBB23_1727:
	s_delay_alu instid0(SALU_CYCLE_1)
	s_and_not1_b32 vcc_lo, exec_lo, s0
	s_cbranch_vccnz .LBB23_1729
; %bb.1728:
	global_load_u8 v1, v[15:16], off
	s_waitcnt vmcnt(0)
	v_cvt_f64_u32_e32 v[11:12], v1
.LBB23_1729:
	s_branch .LBB23_1800
.LBB23_1730:
	s_trap 2
	s_sendmsg_rtn_b32 s0, sendmsg(MSG_RTN_GET_DOORBELL)
	s_mov_b32 ttmp2, m0
	s_waitcnt lgkmcnt(0)
	s_and_b32 s0, s0, 0x3ff
	s_delay_alu instid0(SALU_CYCLE_1) | instskip(NEXT) | instid1(SALU_CYCLE_1)
	s_bitset1_b32 s0, 10
	s_mov_b32 m0, s0
	s_sendmsg sendmsg(MSG_INTERRUPT)
	s_mov_b32 m0, ttmp2
.LBB23_1731:                            ; =>This Inner Loop Header: Depth=1
	s_sethalt 5
	s_branch .LBB23_1731
.LBB23_1732:
	s_trap 2
	s_sendmsg_rtn_b32 s0, sendmsg(MSG_RTN_GET_DOORBELL)
	s_mov_b32 ttmp2, m0
	s_waitcnt lgkmcnt(0)
	s_and_b32 s0, s0, 0x3ff
	s_delay_alu instid0(SALU_CYCLE_1) | instskip(NEXT) | instid1(SALU_CYCLE_1)
	s_bitset1_b32 s0, 10
	s_mov_b32 m0, s0
	s_sendmsg sendmsg(MSG_INTERRUPT)
	s_mov_b32 m0, ttmp2
.LBB23_1733:                            ; =>This Inner Loop Header: Depth=1
	s_sethalt 5
	s_branch .LBB23_1733
.LBB23_1734:
	s_mov_b32 s2, -1
.LBB23_1735:
                                        ; implicit-def: $vgpr11_vgpr12
.LBB23_1736:
	s_and_b32 vcc_lo, exec_lo, s1
	s_cbranch_vccz .LBB23_1739
; %bb.1737:
	v_cmp_eq_u16_e32 vcc_lo, 44, v13
	s_cbranch_vccz .LBB23_1740
; %bb.1738:
	global_load_u8 v1, v[15:16], off
	s_mov_b32 s2, 0
	s_mov_b32 s0, -1
	s_waitcnt vmcnt(0)
	v_cmp_ne_u32_e32 vcc_lo, 0xff, v1
	v_lshlrev_b32_e32 v11, 23, v1
	s_delay_alu instid0(VALU_DEP_1) | instskip(NEXT) | instid1(VALU_DEP_1)
	v_cvt_f64_f32_e32 v[11:12], v11
	v_cndmask_b32_e32 v12, 0x7ff80000, v12, vcc_lo
	s_delay_alu instid0(VALU_DEP_2) | instskip(SKIP_1) | instid1(VALU_DEP_3)
	v_cndmask_b32_e32 v11, 0x20000000, v11, vcc_lo
	v_cmp_ne_u32_e32 vcc_lo, 0, v1
	v_cndmask_b32_e32 v12, 0x38000000, v12, vcc_lo
	s_delay_alu instid0(VALU_DEP_3)
	v_cndmask_b32_e32 v11, 0, v11, vcc_lo
.LBB23_1739:
	s_branch .LBB23_1744
.LBB23_1740:
	s_mov_b32 s2, -1
                                        ; implicit-def: $vgpr11_vgpr12
	s_branch .LBB23_1744
.LBB23_1741:
	v_cmp_eq_u16_e32 vcc_lo, 29, v13
	s_cbranch_vccz .LBB23_1743
; %bb.1742:
	global_load_b64 v[11:12], v[15:16], off
	s_mov_b32 s2, 0
	s_mov_b32 s0, -1
	s_mov_b32 s1, 0
	s_waitcnt vmcnt(0)
	v_cvt_f64_u32_e32 v[17:18], v12
	v_cvt_f64_u32_e32 v[11:12], v11
	s_delay_alu instid0(VALU_DEP_2) | instskip(NEXT) | instid1(VALU_DEP_1)
	v_ldexp_f64 v[17:18], v[17:18], 32
	v_add_f64 v[11:12], v[17:18], v[11:12]
	s_branch .LBB23_1745
.LBB23_1743:
	s_mov_b32 s2, -1
                                        ; implicit-def: $vgpr11_vgpr12
.LBB23_1744:
	s_mov_b32 s1, 0
.LBB23_1745:
	s_delay_alu instid0(SALU_CYCLE_1)
	s_and_b32 vcc_lo, exec_lo, s1
	s_cbranch_vccz .LBB23_1765
; %bb.1746:
	v_cmp_gt_i16_e32 vcc_lo, 27, v13
	s_cbranch_vccnz .LBB23_1749
; %bb.1747:
	v_cmp_lt_i16_e32 vcc_lo, 27, v13
	s_cbranch_vccz .LBB23_1750
; %bb.1748:
	global_load_b32 v1, v[15:16], off
	s_mov_b32 s0, 0
	s_waitcnt vmcnt(0)
	v_cvt_f64_u32_e32 v[11:12], v1
	s_branch .LBB23_1751
.LBB23_1749:
	s_mov_b32 s0, -1
                                        ; implicit-def: $vgpr11_vgpr12
	s_branch .LBB23_1754
.LBB23_1750:
	s_mov_b32 s0, -1
                                        ; implicit-def: $vgpr11_vgpr12
.LBB23_1751:
	s_delay_alu instid0(SALU_CYCLE_1)
	s_and_not1_b32 vcc_lo, exec_lo, s0
	s_cbranch_vccnz .LBB23_1753
; %bb.1752:
	global_load_u16 v1, v[15:16], off
	s_waitcnt vmcnt(0)
	v_cvt_f64_u32_e32 v[11:12], v1
.LBB23_1753:
	s_mov_b32 s0, 0
.LBB23_1754:
	s_delay_alu instid0(SALU_CYCLE_1)
	s_and_not1_b32 vcc_lo, exec_lo, s0
	s_cbranch_vccnz .LBB23_1764
; %bb.1755:
	global_load_u8 v1, v[15:16], off
	s_mov_b32 s10, 0
	s_mov_b32 s12, exec_lo
                                        ; implicit-def: $sgpr0_sgpr1
	s_waitcnt vmcnt(0)
	v_cmpx_lt_i16_e32 0x7f, v1
	s_xor_b32 s12, exec_lo, s12
	s_cbranch_execz .LBB23_1759
; %bb.1756:
	s_mov_b32 s13, -1
	s_mov_b32 s10, exec_lo
                                        ; implicit-def: $sgpr0_sgpr1
	v_cmpx_eq_u16_e32 0x80, v1
; %bb.1757:
	s_mov_b32 s1, 0x7ff80000
	s_brev_b32 s0, 4
	s_xor_b32 s13, exec_lo, -1
; %bb.1758:
	s_or_b32 exec_lo, exec_lo, s10
	s_delay_alu instid0(SALU_CYCLE_1)
	s_and_b32 s10, s13, exec_lo
.LBB23_1759:
	s_or_saveexec_b32 s12, s12
	v_dual_mov_b32 v12, s1 :: v_dual_mov_b32 v11, s0
	s_xor_b32 exec_lo, exec_lo, s12
; %bb.1760:
	v_cmp_ne_u16_e32 vcc_lo, 0, v1
	v_mov_b32_e32 v11, 0
	v_mov_b32_e32 v12, 0
	s_and_not1_b32 s0, s10, exec_lo
	s_and_b32 s1, vcc_lo, exec_lo
	s_delay_alu instid0(SALU_CYCLE_1)
	s_or_b32 s10, s0, s1
; %bb.1761:
	s_or_b32 exec_lo, exec_lo, s12
	s_and_saveexec_b32 s0, s10
	s_cbranch_execz .LBB23_1763
; %bb.1762:
	v_and_b32_e32 v11, 0xffff, v1
	v_lshlrev_b32_e32 v1, 24, v1
	s_delay_alu instid0(VALU_DEP_2) | instskip(NEXT) | instid1(VALU_DEP_2)
	v_and_b32_e32 v12, 7, v11
	v_and_b32_e32 v1, 0x80000000, v1
	s_delay_alu instid0(VALU_DEP_2) | instskip(NEXT) | instid1(VALU_DEP_1)
	v_clz_i32_u32_e32 v17, v12
	v_min_u32_e32 v17, 32, v17
	s_delay_alu instid0(VALU_DEP_1) | instskip(SKIP_1) | instid1(VALU_DEP_2)
	v_subrev_nc_u32_e32 v18, 28, v17
	v_sub_nc_u32_e32 v17, 29, v17
	v_lshlrev_b32_e32 v18, v18, v11
	v_bfe_u32 v11, v11, 3, 4
	s_delay_alu instid0(VALU_DEP_2) | instskip(NEXT) | instid1(VALU_DEP_2)
	v_and_b32_e32 v18, 7, v18
	v_cmp_eq_u32_e32 vcc_lo, 0, v11
	s_delay_alu instid0(VALU_DEP_2) | instskip(NEXT) | instid1(VALU_DEP_1)
	v_dual_cndmask_b32 v11, v11, v17 :: v_dual_cndmask_b32 v12, v12, v18
	v_lshl_add_u32 v11, v11, 23, 0x3b800000
	s_delay_alu instid0(VALU_DEP_2) | instskip(NEXT) | instid1(VALU_DEP_1)
	v_lshlrev_b32_e32 v12, 20, v12
	v_or3_b32 v1, v1, v11, v12
	s_delay_alu instid0(VALU_DEP_1)
	v_cvt_f64_f32_e32 v[11:12], v1
.LBB23_1763:
	s_or_b32 exec_lo, exec_lo, s0
.LBB23_1764:
	s_mov_b32 s0, -1
.LBB23_1765:
	s_branch .LBB23_1795
.LBB23_1766:
	v_cmp_lt_i16_e32 vcc_lo, 22, v13
	s_cbranch_vccz .LBB23_1778
; %bb.1767:
	v_cmp_gt_i16_e32 vcc_lo, 24, v13
	s_cbranch_vccnz .LBB23_1779
; %bb.1768:
	v_cmp_lt_i16_e32 vcc_lo, 24, v13
	s_cbranch_vccz .LBB23_1780
; %bb.1769:
	global_load_u8 v1, v[15:16], off
	s_mov_b32 s10, exec_lo
                                        ; implicit-def: $sgpr0_sgpr1
	s_waitcnt vmcnt(0)
	v_cmpx_lt_i16_e32 0x7f, v1
	s_xor_b32 s10, exec_lo, s10
	s_cbranch_execz .LBB23_1773
; %bb.1770:
	s_mov_b32 s12, -1
	s_mov_b32 s3, exec_lo
                                        ; implicit-def: $sgpr0_sgpr1
	v_cmpx_eq_u16_e32 0x80, v1
; %bb.1771:
	s_mov_b32 s1, 0x7ff80000
	s_brev_b32 s0, 4
	s_xor_b32 s12, exec_lo, -1
; %bb.1772:
	s_or_b32 exec_lo, exec_lo, s3
	s_delay_alu instid0(SALU_CYCLE_1)
	s_and_b32 s3, s12, exec_lo
.LBB23_1773:
	s_or_saveexec_b32 s10, s10
	v_dual_mov_b32 v12, s1 :: v_dual_mov_b32 v11, s0
	s_xor_b32 exec_lo, exec_lo, s10
; %bb.1774:
	v_cmp_ne_u16_e32 vcc_lo, 0, v1
	v_mov_b32_e32 v11, 0
	v_mov_b32_e32 v12, 0
	s_and_not1_b32 s0, s3, exec_lo
	s_and_b32 s1, vcc_lo, exec_lo
	s_delay_alu instid0(SALU_CYCLE_1)
	s_or_b32 s3, s0, s1
; %bb.1775:
	s_or_b32 exec_lo, exec_lo, s10
	s_and_saveexec_b32 s0, s3
	s_cbranch_execz .LBB23_1777
; %bb.1776:
	v_and_b32_e32 v11, 0xffff, v1
	v_lshlrev_b32_e32 v1, 24, v1
	s_delay_alu instid0(VALU_DEP_2) | instskip(NEXT) | instid1(VALU_DEP_2)
	v_and_b32_e32 v12, 3, v11
	v_and_b32_e32 v1, 0x80000000, v1
	s_delay_alu instid0(VALU_DEP_2) | instskip(NEXT) | instid1(VALU_DEP_1)
	v_clz_i32_u32_e32 v17, v12
	v_min_u32_e32 v17, 32, v17
	s_delay_alu instid0(VALU_DEP_1) | instskip(SKIP_1) | instid1(VALU_DEP_2)
	v_subrev_nc_u32_e32 v18, 29, v17
	v_sub_nc_u32_e32 v17, 30, v17
	v_lshlrev_b32_e32 v18, v18, v11
	v_bfe_u32 v11, v11, 2, 5
	s_delay_alu instid0(VALU_DEP_2) | instskip(NEXT) | instid1(VALU_DEP_2)
	v_and_b32_e32 v18, 3, v18
	v_cmp_eq_u32_e32 vcc_lo, 0, v11
	s_delay_alu instid0(VALU_DEP_2) | instskip(NEXT) | instid1(VALU_DEP_1)
	v_dual_cndmask_b32 v11, v11, v17 :: v_dual_cndmask_b32 v12, v12, v18
	v_lshl_add_u32 v11, v11, 23, 0x37800000
	s_delay_alu instid0(VALU_DEP_2) | instskip(NEXT) | instid1(VALU_DEP_1)
	v_lshlrev_b32_e32 v12, 21, v12
	v_or3_b32 v1, v1, v11, v12
	s_delay_alu instid0(VALU_DEP_1)
	v_cvt_f64_f32_e32 v[11:12], v1
.LBB23_1777:
	s_or_b32 exec_lo, exec_lo, s0
	s_mov_b32 s0, 0
	s_branch .LBB23_1781
.LBB23_1778:
                                        ; implicit-def: $vgpr11_vgpr12
	s_mov_b32 s3, 0
	s_branch .LBB23_1787
.LBB23_1779:
	s_mov_b32 s0, -1
                                        ; implicit-def: $vgpr11_vgpr12
	s_branch .LBB23_1784
.LBB23_1780:
	s_mov_b32 s0, -1
                                        ; implicit-def: $vgpr11_vgpr12
.LBB23_1781:
	s_delay_alu instid0(SALU_CYCLE_1)
	s_and_b32 vcc_lo, exec_lo, s0
	s_cbranch_vccz .LBB23_1783
; %bb.1782:
	global_load_u8 v1, v[15:16], off
	s_waitcnt vmcnt(0)
	v_lshlrev_b32_e32 v1, 24, v1
	s_delay_alu instid0(VALU_DEP_1) | instskip(NEXT) | instid1(VALU_DEP_1)
	v_and_b32_e32 v11, 0x7f000000, v1
	v_clz_i32_u32_e32 v12, v11
	v_cmp_ne_u32_e32 vcc_lo, 0, v11
	v_add_nc_u32_e32 v18, 0x1000000, v11
	s_delay_alu instid0(VALU_DEP_3) | instskip(NEXT) | instid1(VALU_DEP_1)
	v_min_u32_e32 v12, 32, v12
	v_sub_nc_u32_e64 v12, v12, 4 clamp
	s_delay_alu instid0(VALU_DEP_1) | instskip(SKIP_1) | instid1(VALU_DEP_2)
	v_lshlrev_b32_e32 v17, v12, v11
	v_lshlrev_b32_e32 v12, 23, v12
	v_lshrrev_b32_e32 v17, 4, v17
	s_delay_alu instid0(VALU_DEP_1) | instskip(SKIP_1) | instid1(VALU_DEP_2)
	v_sub_nc_u32_e32 v12, v17, v12
	v_ashrrev_i32_e32 v17, 8, v18
	v_add_nc_u32_e32 v12, 0x3c000000, v12
	s_delay_alu instid0(VALU_DEP_1) | instskip(NEXT) | instid1(VALU_DEP_1)
	v_and_or_b32 v12, 0x7f800000, v17, v12
	v_cndmask_b32_e32 v11, 0, v12, vcc_lo
	s_delay_alu instid0(VALU_DEP_1) | instskip(NEXT) | instid1(VALU_DEP_1)
	v_and_or_b32 v1, 0x80000000, v1, v11
	v_cvt_f64_f32_e32 v[11:12], v1
.LBB23_1783:
	s_mov_b32 s0, 0
.LBB23_1784:
	s_delay_alu instid0(SALU_CYCLE_1)
	s_and_not1_b32 vcc_lo, exec_lo, s0
	s_cbranch_vccnz .LBB23_1786
; %bb.1785:
	global_load_u8 v1, v[15:16], off
	s_waitcnt vmcnt(0)
	v_lshlrev_b32_e32 v11, 25, v1
	v_lshlrev_b16 v1, 8, v1
	s_delay_alu instid0(VALU_DEP_2) | instskip(NEXT) | instid1(VALU_DEP_2)
	v_lshrrev_b32_e32 v12, 4, v11
	v_and_or_b32 v17, 0x7f00, v1, 0.5
	v_bfe_i32 v1, v1, 0, 16
	s_delay_alu instid0(VALU_DEP_3) | instskip(NEXT) | instid1(VALU_DEP_1)
	v_or_b32_e32 v12, 0x70000000, v12
	v_dual_add_f32 v17, -0.5, v17 :: v_dual_mul_f32 v12, 0x7800000, v12
	v_cmp_gt_u32_e32 vcc_lo, 0x8000000, v11
	s_delay_alu instid0(VALU_DEP_2) | instskip(NEXT) | instid1(VALU_DEP_1)
	v_cndmask_b32_e32 v11, v12, v17, vcc_lo
	v_and_or_b32 v1, 0x80000000, v1, v11
	s_delay_alu instid0(VALU_DEP_1)
	v_cvt_f64_f32_e32 v[11:12], v1
.LBB23_1786:
	s_mov_b32 s0, -1
	s_mov_b32 s3, 0
	s_cbranch_execnz .LBB23_1795
.LBB23_1787:
	v_cmp_lt_i16_e32 vcc_lo, 14, v13
	s_cbranch_vccz .LBB23_1790
; %bb.1788:
	v_cmp_eq_u16_e32 vcc_lo, 15, v13
	s_cbranch_vccz .LBB23_1791
; %bb.1789:
	global_load_u16 v1, v[15:16], off
	s_mov_b32 s2, 0
	s_mov_b32 s0, -1
	s_waitcnt vmcnt(0)
	v_lshlrev_b32_e32 v1, 16, v1
	s_delay_alu instid0(VALU_DEP_1)
	v_cvt_f64_f32_e32 v[11:12], v1
	s_branch .LBB23_1792
.LBB23_1790:
	s_mov_b32 s1, -1
                                        ; implicit-def: $vgpr11_vgpr12
	s_branch .LBB23_1793
.LBB23_1791:
	s_mov_b32 s2, -1
                                        ; implicit-def: $vgpr11_vgpr12
.LBB23_1792:
	s_mov_b32 s1, 0
.LBB23_1793:
	s_delay_alu instid0(SALU_CYCLE_1)
	s_and_b32 vcc_lo, exec_lo, s1
	s_cbranch_vccz .LBB23_1795
; %bb.1794:
	v_cmp_ne_u16_e64 s2, 11, v13
	s_mov_b32 s3, -1
                                        ; implicit-def: $vgpr11_vgpr12
.LBB23_1795:
	s_delay_alu instid0(VALU_DEP_1)
	s_and_b32 vcc_lo, exec_lo, s2
	s_mov_b32 s10, s8
	s_cbranch_vccnz .LBB23_1819
; %bb.1796:
	s_and_not1_b32 vcc_lo, exec_lo, s3
	s_cbranch_vccnz .LBB23_1798
.LBB23_1797:
	global_load_u8 v1, v[15:16], off
	v_mov_b32_e32 v11, 0
	s_mov_b32 s0, -1
	s_waitcnt vmcnt(0)
	v_cmp_ne_u16_e32 vcc_lo, 0, v1
	v_cndmask_b32_e64 v12, 0, 0x3ff00000, vcc_lo
.LBB23_1798:
.LBB23_1799:
	s_and_not1_b32 vcc_lo, exec_lo, s0
	s_cbranch_vccnz .LBB23_3218
.LBB23_1800:
	s_load_b64 s[0:1], s[16:17], 0x198
	s_lshr_b32 s12, s11, 24
	s_delay_alu instid0(SALU_CYCLE_1) | instskip(NEXT) | instid1(VALU_DEP_1)
	v_cmp_lt_i16_e64 s2, s12, 11
	s_and_b32 vcc_lo, exec_lo, s2
	s_mov_b32 s2, 0
	s_waitcnt lgkmcnt(0)
	v_add_co_u32 v0, s3, s0, v0
	s_delay_alu instid0(VALU_DEP_1)
	v_add_co_ci_u32_e64 v1, null, s1, 0, s3
	s_cbranch_vccnz .LBB23_1807
; %bb.1801:
	v_cmp_gt_i16_e64 s2, s12, 25
	s_mov_b32 s14, 0
	s_delay_alu instid0(VALU_DEP_1)
	s_and_b32 vcc_lo, exec_lo, s2
	s_cbranch_vccz .LBB23_1813
; %bb.1802:
	v_cmp_gt_i16_e64 s2, s12, 28
	s_delay_alu instid0(VALU_DEP_1)
	s_and_b32 vcc_lo, exec_lo, s2
	s_cbranch_vccz .LBB23_1815
; %bb.1803:
	v_cmp_gt_i16_e64 s2, s12, 43
	;; [unrolled: 5-line block ×3, first 2 shown]
	s_delay_alu instid0(VALU_DEP_1)
	s_and_b32 vcc_lo, exec_lo, s2
	s_cbranch_vccz .LBB23_1821
; %bb.1805:
	v_cmp_eq_u16_e64 s2, s12, 46
	s_mov_b32 s3, 0
	s_delay_alu instid0(VALU_DEP_1)
	s_and_b32 vcc_lo, exec_lo, s2
	s_cbranch_vccz .LBB23_1865
; %bb.1806:
	global_load_b32 v15, v[0:1], off
	s_mov_b32 s13, 0
	s_mov_b32 s2, -1
	s_waitcnt vmcnt(0)
	v_lshlrev_b32_e32 v15, 16, v15
	s_delay_alu instid0(VALU_DEP_1)
	v_cvt_f64_f32_e32 v[15:16], v15
	s_branch .LBB23_1867
.LBB23_1807:
                                        ; implicit-def: $vgpr15_vgpr16
	s_cbranch_execz .LBB23_1932
; %bb.1808:
	v_cmp_lt_i16_e64 s2, s12, 5
	s_delay_alu instid0(VALU_DEP_1)
	s_and_b32 vcc_lo, exec_lo, s2
	s_cbranch_vccnz .LBB23_1814
; %bb.1809:
	v_cmp_lt_i16_e64 s2, s12, 8
	s_delay_alu instid0(VALU_DEP_1)
	s_and_b32 vcc_lo, exec_lo, s2
	s_cbranch_vccnz .LBB23_1816
; %bb.1810:
	v_cmp_lt_i16_e64 s2, s12, 9
	s_delay_alu instid0(VALU_DEP_1)
	s_and_b32 vcc_lo, exec_lo, s2
	s_cbranch_vccnz .LBB23_1818
; %bb.1811:
	v_cmp_gt_i16_e64 s2, s12, 9
	s_delay_alu instid0(VALU_DEP_1)
	s_and_b32 vcc_lo, exec_lo, s2
	s_cbranch_vccz .LBB23_1824
; %bb.1812:
	global_load_b64 v[15:16], v[0:1], off
	s_mov_b32 s2, 0
	s_branch .LBB23_1825
.LBB23_1813:
	s_mov_b32 s2, 0
	s_mov_b32 s13, 0
                                        ; implicit-def: $vgpr15_vgpr16
	s_cbranch_execnz .LBB23_1898
	s_branch .LBB23_1928
.LBB23_1814:
                                        ; implicit-def: $vgpr15_vgpr16
	s_branch .LBB23_1843
.LBB23_1815:
	s_mov_b32 s3, -1
	s_mov_b32 s2, 0
	s_mov_b32 s13, 0
                                        ; implicit-def: $vgpr15_vgpr16
	s_branch .LBB23_1877
.LBB23_1816:
	s_mov_b32 s2, -1
                                        ; implicit-def: $vgpr15_vgpr16
	s_branch .LBB23_1831
.LBB23_1817:
	s_mov_b32 s3, -1
	s_mov_b32 s2, 0
	s_mov_b32 s13, 0
                                        ; implicit-def: $vgpr15_vgpr16
	s_branch .LBB23_1872
.LBB23_1818:
	s_mov_b32 s2, -1
                                        ; implicit-def: $vgpr15_vgpr16
	s_branch .LBB23_1828
.LBB23_1819:
	s_cbranch_execnz .LBB23_1863
; %bb.1820:
	s_or_b32 s10, s8, exec_lo
                                        ; implicit-def: $vgpr11_vgpr12
	s_cbranch_execz .LBB23_1797
	s_branch .LBB23_1798
.LBB23_1821:
	s_mov_b32 s3, -1
	s_mov_b32 s2, 0
	s_mov_b32 s13, 0
	s_branch .LBB23_1866
.LBB23_1822:
	s_or_saveexec_b32 s5, s5
                                        ; implicit-def: $sgpr8
	s_delay_alu instid0(SALU_CYCLE_1)
	s_xor_b32 exec_lo, exec_lo, s5
	s_cbranch_execz .LBB23_1541
.LBB23_1823:
	v_add_f32_e64 v3, 0x46000000, |v2|
	s_and_not1_b32 s4, s4, exec_lo
	s_mov_b32 s8, 0
	s_delay_alu instid0(VALU_DEP_1) | instskip(NEXT) | instid1(VALU_DEP_1)
	v_and_b32_e32 v3, 0xff, v3
	v_cmp_ne_u32_e32 vcc_lo, 0, v3
	s_and_b32 s9, vcc_lo, exec_lo
	s_delay_alu instid0(SALU_CYCLE_1)
	s_or_b32 s4, s4, s9
	s_or_b32 exec_lo, exec_lo, s5
	v_mov_b32_e32 v4, s8
	s_and_saveexec_b32 s5, s4
	s_cbranch_execnz .LBB23_1542
	s_branch .LBB23_1543
.LBB23_1824:
	s_mov_b32 s2, -1
                                        ; implicit-def: $vgpr15_vgpr16
.LBB23_1825:
	s_delay_alu instid0(SALU_CYCLE_1)
	s_and_not1_b32 vcc_lo, exec_lo, s2
	s_cbranch_vccnz .LBB23_1827
; %bb.1826:
	global_load_b32 v15, v[0:1], off
	s_waitcnt vmcnt(0)
	v_cvt_f64_f32_e32 v[15:16], v15
.LBB23_1827:
	s_mov_b32 s2, 0
.LBB23_1828:
	s_delay_alu instid0(SALU_CYCLE_1)
	s_and_not1_b32 vcc_lo, exec_lo, s2
	s_cbranch_vccnz .LBB23_1830
; %bb.1829:
	global_load_b32 v15, v[0:1], off
	s_waitcnt vmcnt(0)
	v_cvt_f32_f16_e32 v15, v15
	s_delay_alu instid0(VALU_DEP_1)
	v_cvt_f64_f32_e32 v[15:16], v15
.LBB23_1830:
	s_mov_b32 s2, 0
.LBB23_1831:
	s_delay_alu instid0(SALU_CYCLE_1)
	s_and_not1_b32 vcc_lo, exec_lo, s2
	s_cbranch_vccnz .LBB23_1842
; %bb.1832:
	v_cmp_lt_i16_e64 s2, s12, 6
	s_delay_alu instid0(VALU_DEP_1)
	s_and_b32 vcc_lo, exec_lo, s2
	s_cbranch_vccnz .LBB23_1835
; %bb.1833:
	v_cmp_gt_i16_e64 s2, s12, 6
	s_delay_alu instid0(VALU_DEP_1)
	s_and_b32 vcc_lo, exec_lo, s2
	s_cbranch_vccz .LBB23_1836
; %bb.1834:
	global_load_b64 v[15:16], v[0:1], off
	s_mov_b32 s2, 0
	s_branch .LBB23_1837
.LBB23_1835:
	s_mov_b32 s2, -1
                                        ; implicit-def: $vgpr15_vgpr16
	s_branch .LBB23_1840
.LBB23_1836:
	s_mov_b32 s2, -1
                                        ; implicit-def: $vgpr15_vgpr16
.LBB23_1837:
	s_delay_alu instid0(SALU_CYCLE_1)
	s_and_not1_b32 vcc_lo, exec_lo, s2
	s_cbranch_vccnz .LBB23_1839
; %bb.1838:
	global_load_b32 v15, v[0:1], off
	s_waitcnt vmcnt(0)
	v_cvt_f64_f32_e32 v[15:16], v15
.LBB23_1839:
	s_mov_b32 s2, 0
.LBB23_1840:
	s_delay_alu instid0(SALU_CYCLE_1)
	s_and_not1_b32 vcc_lo, exec_lo, s2
	s_cbranch_vccnz .LBB23_1842
; %bb.1841:
	global_load_u16 v15, v[0:1], off
	s_waitcnt vmcnt(0)
	v_cvt_f32_f16_e32 v15, v15
	s_delay_alu instid0(VALU_DEP_1)
	v_cvt_f64_f32_e32 v[15:16], v15
.LBB23_1842:
	s_cbranch_execnz .LBB23_1862
.LBB23_1843:
	v_cmp_lt_i16_e64 s2, s12, 2
	s_delay_alu instid0(VALU_DEP_1)
	s_and_b32 vcc_lo, exec_lo, s2
	s_cbranch_vccnz .LBB23_1847
; %bb.1844:
	v_cmp_lt_i16_e64 s2, s12, 3
	s_delay_alu instid0(VALU_DEP_1)
	s_and_b32 vcc_lo, exec_lo, s2
	s_cbranch_vccnz .LBB23_1848
; %bb.1845:
	v_cmp_gt_i16_e64 s2, s12, 3
	s_delay_alu instid0(VALU_DEP_1)
	s_and_b32 vcc_lo, exec_lo, s2
	s_cbranch_vccz .LBB23_1849
; %bb.1846:
	global_load_b64 v[15:16], v[0:1], off
	s_mov_b32 s2, 0
	s_waitcnt vmcnt(0)
	v_cvt_f64_i32_e32 v[16:17], v16
	v_cvt_f64_u32_e32 v[18:19], v15
	s_delay_alu instid0(VALU_DEP_2) | instskip(NEXT) | instid1(VALU_DEP_1)
	v_ldexp_f64 v[16:17], v[16:17], 32
	v_add_f64 v[15:16], v[16:17], v[18:19]
	s_branch .LBB23_1850
.LBB23_1847:
	s_mov_b32 s2, -1
                                        ; implicit-def: $vgpr15_vgpr16
	s_branch .LBB23_1856
.LBB23_1848:
	s_mov_b32 s2, -1
                                        ; implicit-def: $vgpr15_vgpr16
	s_branch .LBB23_1853
.LBB23_1849:
	s_mov_b32 s2, -1
                                        ; implicit-def: $vgpr15_vgpr16
.LBB23_1850:
	s_delay_alu instid0(SALU_CYCLE_1)
	s_and_not1_b32 vcc_lo, exec_lo, s2
	s_cbranch_vccnz .LBB23_1852
; %bb.1851:
	global_load_b32 v15, v[0:1], off
	s_waitcnt vmcnt(0)
	v_cvt_f64_i32_e32 v[15:16], v15
.LBB23_1852:
	s_mov_b32 s2, 0
.LBB23_1853:
	s_delay_alu instid0(SALU_CYCLE_1)
	s_and_not1_b32 vcc_lo, exec_lo, s2
	s_cbranch_vccnz .LBB23_1855
; %bb.1854:
	global_load_i16 v15, v[0:1], off
	s_waitcnt vmcnt(0)
	v_cvt_f64_i32_e32 v[15:16], v15
.LBB23_1855:
	s_mov_b32 s2, 0
.LBB23_1856:
	s_delay_alu instid0(SALU_CYCLE_1)
	s_and_not1_b32 vcc_lo, exec_lo, s2
	s_cbranch_vccnz .LBB23_1862
; %bb.1857:
	v_cmp_gt_i16_e64 s2, s12, 0
	s_delay_alu instid0(VALU_DEP_1)
	s_and_b32 vcc_lo, exec_lo, s2
	s_mov_b32 s2, 0
	s_cbranch_vccz .LBB23_1859
; %bb.1858:
	global_load_i8 v15, v[0:1], off
	s_waitcnt vmcnt(0)
	v_cvt_f64_i32_e32 v[15:16], v15
	s_branch .LBB23_1860
.LBB23_1859:
	s_mov_b32 s2, -1
                                        ; implicit-def: $vgpr15_vgpr16
.LBB23_1860:
	s_delay_alu instid0(SALU_CYCLE_1)
	s_and_not1_b32 vcc_lo, exec_lo, s2
	s_cbranch_vccnz .LBB23_1862
; %bb.1861:
	global_load_u8 v0, v[0:1], off
	s_waitcnt vmcnt(0)
	v_cvt_f64_u32_e32 v[15:16], v0
.LBB23_1862:
	s_branch .LBB23_1933
.LBB23_1863:
	s_trap 2
	s_sendmsg_rtn_b32 s0, sendmsg(MSG_RTN_GET_DOORBELL)
	s_mov_b32 ttmp2, m0
	s_waitcnt lgkmcnt(0)
	s_and_b32 s0, s0, 0x3ff
	s_delay_alu instid0(SALU_CYCLE_1) | instskip(NEXT) | instid1(SALU_CYCLE_1)
	s_bitset1_b32 s0, 10
	s_mov_b32 m0, s0
	s_sendmsg sendmsg(MSG_INTERRUPT)
	s_mov_b32 m0, ttmp2
.LBB23_1864:                            ; =>This Inner Loop Header: Depth=1
	s_sethalt 5
	s_branch .LBB23_1864
.LBB23_1865:
	s_mov_b32 s13, -1
	s_mov_b32 s2, 0
.LBB23_1866:
                                        ; implicit-def: $vgpr15_vgpr16
.LBB23_1867:
	s_and_b32 vcc_lo, exec_lo, s3
	s_cbranch_vccz .LBB23_1871
; %bb.1868:
	v_cmp_eq_u16_e64 s3, s12, 44
	s_delay_alu instid0(VALU_DEP_1)
	s_and_b32 vcc_lo, exec_lo, s3
	s_cbranch_vccz .LBB23_1870
; %bb.1869:
	global_load_u8 v17, v[0:1], off
	s_mov_b32 s13, 0
	s_mov_b32 s2, -1
	s_waitcnt vmcnt(0)
	v_cmp_ne_u32_e32 vcc_lo, 0xff, v17
	v_lshlrev_b32_e32 v15, 23, v17
	s_delay_alu instid0(VALU_DEP_1) | instskip(NEXT) | instid1(VALU_DEP_1)
	v_cvt_f64_f32_e32 v[15:16], v15
	v_cndmask_b32_e32 v16, 0x7ff80000, v16, vcc_lo
	s_delay_alu instid0(VALU_DEP_2) | instskip(SKIP_1) | instid1(VALU_DEP_3)
	v_cndmask_b32_e32 v15, 0x20000000, v15, vcc_lo
	v_cmp_ne_u32_e32 vcc_lo, 0, v17
	v_cndmask_b32_e32 v16, 0x38000000, v16, vcc_lo
	s_delay_alu instid0(VALU_DEP_3)
	v_cndmask_b32_e32 v15, 0, v15, vcc_lo
	s_branch .LBB23_1871
.LBB23_1870:
	s_mov_b32 s13, -1
                                        ; implicit-def: $vgpr15_vgpr16
.LBB23_1871:
	s_mov_b32 s3, 0
.LBB23_1872:
	s_delay_alu instid0(SALU_CYCLE_1)
	s_and_b32 vcc_lo, exec_lo, s3
	s_cbranch_vccz .LBB23_1876
; %bb.1873:
	v_cmp_eq_u16_e64 s3, s12, 29
	s_delay_alu instid0(VALU_DEP_1)
	s_and_b32 vcc_lo, exec_lo, s3
	s_cbranch_vccz .LBB23_1875
; %bb.1874:
	global_load_b64 v[15:16], v[0:1], off
	s_mov_b32 s13, 0
	s_mov_b32 s2, -1
	s_mov_b32 s3, 0
	s_waitcnt vmcnt(0)
	v_cvt_f64_u32_e32 v[16:17], v16
	v_cvt_f64_u32_e32 v[18:19], v15
	s_delay_alu instid0(VALU_DEP_2) | instskip(NEXT) | instid1(VALU_DEP_1)
	v_ldexp_f64 v[16:17], v[16:17], 32
	v_add_f64 v[15:16], v[16:17], v[18:19]
	s_branch .LBB23_1877
.LBB23_1875:
	s_mov_b32 s13, -1
                                        ; implicit-def: $vgpr15_vgpr16
.LBB23_1876:
	s_mov_b32 s3, 0
.LBB23_1877:
	s_delay_alu instid0(SALU_CYCLE_1)
	s_and_b32 vcc_lo, exec_lo, s3
	s_cbranch_vccz .LBB23_1897
; %bb.1878:
	v_cmp_lt_i16_e64 s2, s12, 27
	s_delay_alu instid0(VALU_DEP_1)
	s_and_b32 vcc_lo, exec_lo, s2
	s_cbranch_vccnz .LBB23_1881
; %bb.1879:
	v_cmp_gt_i16_e64 s2, s12, 27
	s_delay_alu instid0(VALU_DEP_1)
	s_and_b32 vcc_lo, exec_lo, s2
	s_cbranch_vccz .LBB23_1882
; %bb.1880:
	global_load_b32 v15, v[0:1], off
	s_mov_b32 s2, 0
	s_waitcnt vmcnt(0)
	v_cvt_f64_u32_e32 v[15:16], v15
	s_branch .LBB23_1883
.LBB23_1881:
	s_mov_b32 s2, -1
                                        ; implicit-def: $vgpr15_vgpr16
	s_branch .LBB23_1886
.LBB23_1882:
	s_mov_b32 s2, -1
                                        ; implicit-def: $vgpr15_vgpr16
.LBB23_1883:
	s_delay_alu instid0(SALU_CYCLE_1)
	s_and_not1_b32 vcc_lo, exec_lo, s2
	s_cbranch_vccnz .LBB23_1885
; %bb.1884:
	global_load_u16 v15, v[0:1], off
	s_waitcnt vmcnt(0)
	v_cvt_f64_u32_e32 v[15:16], v15
.LBB23_1885:
	s_mov_b32 s2, 0
.LBB23_1886:
	s_delay_alu instid0(SALU_CYCLE_1)
	s_and_not1_b32 vcc_lo, exec_lo, s2
	s_cbranch_vccnz .LBB23_1896
; %bb.1887:
	global_load_u8 v17, v[0:1], off
	s_mov_b32 s15, 0
	s_mov_b32 s16, exec_lo
                                        ; implicit-def: $sgpr2_sgpr3
	s_waitcnt vmcnt(0)
	v_cmpx_lt_i16_e32 0x7f, v17
	s_xor_b32 s16, exec_lo, s16
	s_cbranch_execz .LBB23_1891
; %bb.1888:
	s_mov_b32 s17, -1
	s_mov_b32 s15, exec_lo
                                        ; implicit-def: $sgpr2_sgpr3
	v_cmpx_eq_u16_e32 0x80, v17
; %bb.1889:
	s_mov_b32 s3, 0x7ff80000
	s_brev_b32 s2, 4
	s_xor_b32 s17, exec_lo, -1
; %bb.1890:
	s_or_b32 exec_lo, exec_lo, s15
	s_delay_alu instid0(SALU_CYCLE_1)
	s_and_b32 s15, s17, exec_lo
.LBB23_1891:
	s_or_saveexec_b32 s16, s16
	v_dual_mov_b32 v16, s3 :: v_dual_mov_b32 v15, s2
	s_xor_b32 exec_lo, exec_lo, s16
; %bb.1892:
	v_cmp_ne_u16_e32 vcc_lo, 0, v17
	v_mov_b32_e32 v15, 0
	v_mov_b32_e32 v16, 0
	s_and_not1_b32 s2, s15, exec_lo
	s_and_b32 s3, vcc_lo, exec_lo
	s_delay_alu instid0(SALU_CYCLE_1)
	s_or_b32 s15, s2, s3
; %bb.1893:
	s_or_b32 exec_lo, exec_lo, s16
	s_and_saveexec_b32 s2, s15
	s_cbranch_execz .LBB23_1895
; %bb.1894:
	v_and_b32_e32 v15, 0xffff, v17
	v_lshlrev_b32_e32 v17, 24, v17
	s_delay_alu instid0(VALU_DEP_2) | instskip(NEXT) | instid1(VALU_DEP_2)
	v_and_b32_e32 v16, 7, v15
	v_and_b32_e32 v17, 0x80000000, v17
	s_delay_alu instid0(VALU_DEP_2) | instskip(NEXT) | instid1(VALU_DEP_1)
	v_clz_i32_u32_e32 v18, v16
	v_min_u32_e32 v18, 32, v18
	s_delay_alu instid0(VALU_DEP_1) | instskip(SKIP_1) | instid1(VALU_DEP_2)
	v_subrev_nc_u32_e32 v19, 28, v18
	v_sub_nc_u32_e32 v18, 29, v18
	v_lshlrev_b32_e32 v19, v19, v15
	v_bfe_u32 v15, v15, 3, 4
	s_delay_alu instid0(VALU_DEP_2) | instskip(NEXT) | instid1(VALU_DEP_2)
	v_and_b32_e32 v19, 7, v19
	v_cmp_eq_u32_e32 vcc_lo, 0, v15
	s_delay_alu instid0(VALU_DEP_2) | instskip(NEXT) | instid1(VALU_DEP_1)
	v_dual_cndmask_b32 v15, v15, v18 :: v_dual_cndmask_b32 v16, v16, v19
	v_lshl_add_u32 v15, v15, 23, 0x3b800000
	s_delay_alu instid0(VALU_DEP_2) | instskip(NEXT) | instid1(VALU_DEP_1)
	v_lshlrev_b32_e32 v16, 20, v16
	v_or3_b32 v15, v17, v15, v16
	s_delay_alu instid0(VALU_DEP_1)
	v_cvt_f64_f32_e32 v[15:16], v15
.LBB23_1895:
	s_or_b32 exec_lo, exec_lo, s2
.LBB23_1896:
	s_mov_b32 s2, -1
.LBB23_1897:
	s_branch .LBB23_1928
.LBB23_1898:
	v_cmp_gt_i16_e64 s3, s12, 22
	s_delay_alu instid0(VALU_DEP_1)
	s_and_b32 vcc_lo, exec_lo, s3
	s_cbranch_vccz .LBB23_1910
; %bb.1899:
	v_cmp_lt_i16_e64 s2, s12, 24
	s_delay_alu instid0(VALU_DEP_1)
	s_and_b32 vcc_lo, exec_lo, s2
	s_cbranch_vccnz .LBB23_1911
; %bb.1900:
	v_cmp_gt_i16_e64 s2, s12, 24
	s_delay_alu instid0(VALU_DEP_1)
	s_and_b32 vcc_lo, exec_lo, s2
	s_cbranch_vccz .LBB23_1912
; %bb.1901:
	global_load_u8 v17, v[0:1], off
	s_mov_b32 s15, exec_lo
                                        ; implicit-def: $sgpr2_sgpr3
	s_waitcnt vmcnt(0)
	v_cmpx_lt_i16_e32 0x7f, v17
	s_xor_b32 s15, exec_lo, s15
	s_cbranch_execz .LBB23_1905
; %bb.1902:
	s_mov_b32 s16, -1
	s_mov_b32 s14, exec_lo
                                        ; implicit-def: $sgpr2_sgpr3
	v_cmpx_eq_u16_e32 0x80, v17
; %bb.1903:
	s_mov_b32 s3, 0x7ff80000
	s_brev_b32 s2, 4
	s_xor_b32 s16, exec_lo, -1
; %bb.1904:
	s_or_b32 exec_lo, exec_lo, s14
	s_delay_alu instid0(SALU_CYCLE_1)
	s_and_b32 s14, s16, exec_lo
.LBB23_1905:
	s_or_saveexec_b32 s15, s15
	v_dual_mov_b32 v16, s3 :: v_dual_mov_b32 v15, s2
	s_xor_b32 exec_lo, exec_lo, s15
; %bb.1906:
	v_cmp_ne_u16_e32 vcc_lo, 0, v17
	v_mov_b32_e32 v15, 0
	v_mov_b32_e32 v16, 0
	s_and_not1_b32 s2, s14, exec_lo
	s_and_b32 s3, vcc_lo, exec_lo
	s_delay_alu instid0(SALU_CYCLE_1)
	s_or_b32 s14, s2, s3
; %bb.1907:
	s_or_b32 exec_lo, exec_lo, s15
	s_and_saveexec_b32 s2, s14
	s_cbranch_execz .LBB23_1909
; %bb.1908:
	v_and_b32_e32 v15, 0xffff, v17
	v_lshlrev_b32_e32 v17, 24, v17
	s_delay_alu instid0(VALU_DEP_2) | instskip(NEXT) | instid1(VALU_DEP_2)
	v_and_b32_e32 v16, 3, v15
	v_and_b32_e32 v17, 0x80000000, v17
	s_delay_alu instid0(VALU_DEP_2) | instskip(NEXT) | instid1(VALU_DEP_1)
	v_clz_i32_u32_e32 v18, v16
	v_min_u32_e32 v18, 32, v18
	s_delay_alu instid0(VALU_DEP_1) | instskip(SKIP_1) | instid1(VALU_DEP_2)
	v_subrev_nc_u32_e32 v19, 29, v18
	v_sub_nc_u32_e32 v18, 30, v18
	v_lshlrev_b32_e32 v19, v19, v15
	v_bfe_u32 v15, v15, 2, 5
	s_delay_alu instid0(VALU_DEP_2) | instskip(NEXT) | instid1(VALU_DEP_2)
	v_and_b32_e32 v19, 3, v19
	v_cmp_eq_u32_e32 vcc_lo, 0, v15
	s_delay_alu instid0(VALU_DEP_2) | instskip(NEXT) | instid1(VALU_DEP_1)
	v_dual_cndmask_b32 v15, v15, v18 :: v_dual_cndmask_b32 v16, v16, v19
	v_lshl_add_u32 v15, v15, 23, 0x37800000
	s_delay_alu instid0(VALU_DEP_2) | instskip(NEXT) | instid1(VALU_DEP_1)
	v_lshlrev_b32_e32 v16, 21, v16
	v_or3_b32 v15, v17, v15, v16
	s_delay_alu instid0(VALU_DEP_1)
	v_cvt_f64_f32_e32 v[15:16], v15
.LBB23_1909:
	s_or_b32 exec_lo, exec_lo, s2
	s_mov_b32 s2, 0
	s_branch .LBB23_1913
.LBB23_1910:
	s_mov_b32 s3, -1
                                        ; implicit-def: $vgpr15_vgpr16
	s_branch .LBB23_1919
.LBB23_1911:
	s_mov_b32 s2, -1
                                        ; implicit-def: $vgpr15_vgpr16
	s_branch .LBB23_1916
.LBB23_1912:
	s_mov_b32 s2, -1
                                        ; implicit-def: $vgpr15_vgpr16
.LBB23_1913:
	s_delay_alu instid0(SALU_CYCLE_1)
	s_and_b32 vcc_lo, exec_lo, s2
	s_cbranch_vccz .LBB23_1915
; %bb.1914:
	global_load_u8 v15, v[0:1], off
	s_waitcnt vmcnt(0)
	v_lshlrev_b32_e32 v15, 24, v15
	s_delay_alu instid0(VALU_DEP_1) | instskip(NEXT) | instid1(VALU_DEP_1)
	v_and_b32_e32 v16, 0x7f000000, v15
	v_clz_i32_u32_e32 v17, v16
	v_add_nc_u32_e32 v19, 0x1000000, v16
	v_cmp_ne_u32_e32 vcc_lo, 0, v16
	s_delay_alu instid0(VALU_DEP_3) | instskip(NEXT) | instid1(VALU_DEP_1)
	v_min_u32_e32 v17, 32, v17
	v_sub_nc_u32_e64 v17, v17, 4 clamp
	s_delay_alu instid0(VALU_DEP_1) | instskip(SKIP_1) | instid1(VALU_DEP_2)
	v_lshlrev_b32_e32 v18, v17, v16
	v_lshlrev_b32_e32 v17, 23, v17
	v_lshrrev_b32_e32 v18, 4, v18
	s_delay_alu instid0(VALU_DEP_1) | instskip(SKIP_1) | instid1(VALU_DEP_2)
	v_sub_nc_u32_e32 v17, v18, v17
	v_ashrrev_i32_e32 v18, 8, v19
	v_add_nc_u32_e32 v17, 0x3c000000, v17
	s_delay_alu instid0(VALU_DEP_1) | instskip(NEXT) | instid1(VALU_DEP_1)
	v_and_or_b32 v17, 0x7f800000, v18, v17
	v_cndmask_b32_e32 v16, 0, v17, vcc_lo
	s_delay_alu instid0(VALU_DEP_1) | instskip(NEXT) | instid1(VALU_DEP_1)
	v_and_or_b32 v15, 0x80000000, v15, v16
	v_cvt_f64_f32_e32 v[15:16], v15
.LBB23_1915:
	s_mov_b32 s2, 0
.LBB23_1916:
	s_delay_alu instid0(SALU_CYCLE_1)
	s_and_not1_b32 vcc_lo, exec_lo, s2
	s_cbranch_vccnz .LBB23_1918
; %bb.1917:
	global_load_u8 v15, v[0:1], off
	s_waitcnt vmcnt(0)
	v_lshlrev_b32_e32 v16, 25, v15
	v_lshlrev_b16 v15, 8, v15
	s_delay_alu instid0(VALU_DEP_2) | instskip(NEXT) | instid1(VALU_DEP_2)
	v_lshrrev_b32_e32 v17, 4, v16
	v_and_or_b32 v18, 0x7f00, v15, 0.5
	v_bfe_i32 v15, v15, 0, 16
	s_delay_alu instid0(VALU_DEP_3) | instskip(NEXT) | instid1(VALU_DEP_1)
	v_or_b32_e32 v17, 0x70000000, v17
	v_dual_add_f32 v18, -0.5, v18 :: v_dual_mul_f32 v17, 0x7800000, v17
	v_cmp_gt_u32_e32 vcc_lo, 0x8000000, v16
	s_delay_alu instid0(VALU_DEP_2) | instskip(NEXT) | instid1(VALU_DEP_1)
	v_cndmask_b32_e32 v16, v17, v18, vcc_lo
	v_and_or_b32 v15, 0x80000000, v15, v16
	s_delay_alu instid0(VALU_DEP_1)
	v_cvt_f64_f32_e32 v[15:16], v15
.LBB23_1918:
	s_mov_b32 s3, 0
	s_mov_b32 s2, -1
.LBB23_1919:
	s_and_not1_b32 vcc_lo, exec_lo, s3
	s_mov_b32 s14, 0
	s_cbranch_vccnz .LBB23_1928
; %bb.1920:
	v_cmp_gt_i16_e64 s3, s12, 14
	s_delay_alu instid0(VALU_DEP_1)
	s_and_b32 vcc_lo, exec_lo, s3
	s_cbranch_vccz .LBB23_1923
; %bb.1921:
	v_cmp_eq_u16_e64 s3, s12, 15
	s_delay_alu instid0(VALU_DEP_1)
	s_and_b32 vcc_lo, exec_lo, s3
	s_cbranch_vccz .LBB23_1924
; %bb.1922:
	global_load_u16 v15, v[0:1], off
	s_mov_b32 s13, 0
	s_mov_b32 s2, -1
	s_waitcnt vmcnt(0)
	v_lshlrev_b32_e32 v15, 16, v15
	s_delay_alu instid0(VALU_DEP_1)
	v_cvt_f64_f32_e32 v[15:16], v15
	s_branch .LBB23_1925
.LBB23_1923:
	s_mov_b32 s3, -1
                                        ; implicit-def: $vgpr15_vgpr16
	s_branch .LBB23_1926
.LBB23_1924:
	s_mov_b32 s13, -1
                                        ; implicit-def: $vgpr15_vgpr16
.LBB23_1925:
	s_mov_b32 s3, 0
.LBB23_1926:
	s_delay_alu instid0(SALU_CYCLE_1)
	s_and_b32 vcc_lo, exec_lo, s3
	s_cbranch_vccz .LBB23_1928
; %bb.1927:
	v_cmp_ne_u16_e64 s13, s12, 11
	s_mov_b32 s14, -1
                                        ; implicit-def: $vgpr15_vgpr16
.LBB23_1928:
	s_delay_alu instid0(VALU_DEP_1)
	s_and_b32 vcc_lo, exec_lo, s13
	s_cbranch_vccnz .LBB23_1964
; %bb.1929:
	s_and_not1_b32 vcc_lo, exec_lo, s14
	s_cbranch_vccnz .LBB23_1931
.LBB23_1930:
	global_load_u8 v15, v[0:1], off
	s_mov_b32 s2, -1
	s_waitcnt vmcnt(0)
	v_cmp_ne_u16_e32 vcc_lo, 0, v15
	v_mov_b32_e32 v15, 0
	v_cndmask_b32_e64 v16, 0, 0x3ff00000, vcc_lo
.LBB23_1931:
.LBB23_1932:
	s_and_not1_b32 vcc_lo, exec_lo, s2
	s_cbranch_vccnz .LBB23_3218
.LBB23_1933:
	s_waitcnt vmcnt(0)
	s_delay_alu instid0(VALU_DEP_1) | instskip(SKIP_2) | instid1(VALU_DEP_2)
	v_trunc_f64_e32 v[0:1], v[15:16]
	v_cmp_class_f64_e64 vcc_lo, v[15:16], 0x1f8
	s_mov_b32 s13, exec_lo
	v_ldexp_f64 v[17:18], v[0:1], 0xffffffe0
	s_delay_alu instid0(VALU_DEP_1) | instskip(NEXT) | instid1(VALU_DEP_1)
	v_floor_f64_e32 v[17:18], v[17:18]
	v_fma_f64 v[0:1], 0xc1f00000, v[17:18], v[0:1]
	v_cvt_i32_f64_e32 v17, v[17:18]
	s_delay_alu instid0(VALU_DEP_2) | instskip(NEXT) | instid1(VALU_DEP_1)
	v_cvt_u32_f64_e32 v0, v[0:1]
	v_dual_cndmask_b32 v16, -1, v17 :: v_dual_cndmask_b32 v15, -1, v0
	v_mov_b32_e32 v0, 0
	v_mov_b32_e32 v1, 0
	s_delay_alu instid0(VALU_DEP_3)
	v_cmpx_lt_i64_e32 -1, v[15:16]
	s_cbranch_execz .LBB23_1945
; %bb.1934:
	v_mov_b32_e32 v0, 0
	v_mov_b32_e32 v1, 0x3ff00000
	s_mov_b32 s14, exec_lo
	v_cmpx_lt_i64_e32 0, v[15:16]
	s_cbranch_execz .LBB23_1944
; %bb.1935:
                                        ; implicit-def: $vgpr0_vgpr1
	s_mov_b32 s2, exec_lo
	v_cmpx_ne_u64_e32 1, v[15:16]
	s_xor_b32 s15, exec_lo, s2
	s_cbranch_execz .LBB23_1941
; %bb.1936:
	v_mov_b32_e32 v0, 0
	v_mov_b32_e32 v1, 0x7ff80000
	s_mov_b32 s16, exec_lo
	v_cmpx_gt_u64_e32 0x201, v[15:16]
	s_cbranch_execz .LBB23_1940
; %bb.1937:
	v_add_f64 v[11:12], v[11:12], v[11:12]
	v_lshlrev_b64 v[15:16], 1, v[15:16]
	v_mov_b32_e32 v17, 0
	v_mov_b32_e32 v18, 0x3ff00000
	s_mov_b64 s[2:3], 2
	s_mov_b32 s17, 0
	s_delay_alu instid0(VALU_DEP_4)
	v_dual_mov_b32 v0, v11 :: v_dual_mov_b32 v1, v12
	.p2align	6
.LBB23_1938:                            ; =>This Inner Loop Header: Depth=1
	v_cvt_f64_u32_e32 v[19:20], s3
	v_cvt_f64_u32_e32 v[21:22], s2
	s_add_u32 s2, s2, 2
	s_addc_u32 s3, s3, 0
	s_delay_alu instid0(SALU_CYCLE_1) | instskip(SKIP_1) | instid1(VALU_DEP_3)
	v_cmp_ge_u64_e32 vcc_lo, s[2:3], v[15:16]
	s_or_b32 s17, vcc_lo, s17
	v_ldexp_f64 v[19:20], v[19:20], 32
	s_delay_alu instid0(VALU_DEP_1) | instskip(NEXT) | instid1(VALU_DEP_1)
	v_add_f64 v[19:20], v[19:20], v[21:22]
	v_mul_f64 v[17:18], v[17:18], v[19:20]
	v_dual_mov_b32 v20, v1 :: v_dual_mov_b32 v19, v0
	s_delay_alu instid0(VALU_DEP_1)
	v_fma_f64 v[0:1], v[11:12], v[19:20], -v[17:18]
	v_dual_mov_b32 v17, v19 :: v_dual_mov_b32 v18, v20
	s_and_not1_b32 exec_lo, exec_lo, s17
	s_cbranch_execnz .LBB23_1938
; %bb.1939:
	s_or_b32 exec_lo, exec_lo, s17
.LBB23_1940:
	s_delay_alu instid0(SALU_CYCLE_1)
	s_or_b32 exec_lo, exec_lo, s16
                                        ; implicit-def: $vgpr11_vgpr12
.LBB23_1941:
	s_and_not1_saveexec_b32 s2, s15
; %bb.1942:
	v_add_f64 v[0:1], v[11:12], v[11:12]
; %bb.1943:
	s_or_b32 exec_lo, exec_lo, s2
.LBB23_1944:
	s_delay_alu instid0(SALU_CYCLE_1)
	s_or_b32 exec_lo, exec_lo, s14
.LBB23_1945:
	s_delay_alu instid0(SALU_CYCLE_1) | instskip(SKIP_2) | instid1(VALU_DEP_1)
	s_or_b32 exec_lo, exec_lo, s13
	v_cmp_gt_i16_e32 vcc_lo, 11, v13
	v_add_co_u32 v15, s2, s6, v5
	v_add_co_ci_u32_e64 v16, null, s7, 0, s2
	s_mov_b32 s2, 0
	s_cbranch_vccnz .LBB23_1952
; %bb.1946:
	v_cmp_lt_i16_e32 vcc_lo, 25, v13
	s_mov_b32 s14, 0
	s_cbranch_vccz .LBB23_1958
; %bb.1947:
	v_cmp_lt_i16_e32 vcc_lo, 28, v13
	s_cbranch_vccz .LBB23_1960
; %bb.1948:
	v_cmp_lt_i16_e32 vcc_lo, 43, v13
	;; [unrolled: 3-line block ×3, first 2 shown]
	s_cbranch_vccz .LBB23_1968
; %bb.1950:
	v_cmp_eq_u16_e32 vcc_lo, 46, v13
	s_mov_b32 s3, 0
	s_cbranch_vccz .LBB23_2011
; %bb.1951:
	global_load_b32 v5, v[15:16], off
	s_mov_b32 s13, 0
	s_mov_b32 s2, -1
	s_waitcnt vmcnt(0)
	v_lshlrev_b32_e32 v5, 16, v5
	s_delay_alu instid0(VALU_DEP_1)
	v_cvt_f64_f32_e32 v[11:12], v5
	s_branch .LBB23_2013
.LBB23_1952:
                                        ; implicit-def: $vgpr11_vgpr12
	s_cbranch_execz .LBB23_2079
; %bb.1953:
	v_cmp_gt_i16_e32 vcc_lo, 5, v13
	s_cbranch_vccnz .LBB23_1959
; %bb.1954:
	v_cmp_gt_i16_e32 vcc_lo, 8, v13
	s_cbranch_vccnz .LBB23_1961
	;; [unrolled: 3-line block ×3, first 2 shown]
; %bb.1956:
	v_cmp_lt_i16_e32 vcc_lo, 9, v13
	s_cbranch_vccz .LBB23_1969
; %bb.1957:
	global_load_b64 v[11:12], v[15:16], off
	s_mov_b32 s2, 0
	s_branch .LBB23_1970
.LBB23_1958:
	s_mov_b32 s3, -1
	s_mov_b32 s13, 0
                                        ; implicit-def: $vgpr11_vgpr12
	s_branch .LBB23_2044
.LBB23_1959:
	s_mov_b32 s2, -1
                                        ; implicit-def: $vgpr11_vgpr12
	s_branch .LBB23_1988
.LBB23_1960:
	s_mov_b32 s3, -1
	s_mov_b32 s13, 0
                                        ; implicit-def: $vgpr11_vgpr12
	s_branch .LBB23_2023
.LBB23_1961:
	s_mov_b32 s2, -1
                                        ; implicit-def: $vgpr11_vgpr12
	s_branch .LBB23_1976
.LBB23_1962:
	s_mov_b32 s3, -1
	s_mov_b32 s13, 0
                                        ; implicit-def: $vgpr11_vgpr12
	s_branch .LBB23_2018
.LBB23_1963:
	s_mov_b32 s2, -1
                                        ; implicit-def: $vgpr11_vgpr12
	s_branch .LBB23_1973
.LBB23_1964:
	s_cbranch_execnz .LBB23_2009
; %bb.1965:
	s_or_b32 s10, s10, exec_lo
                                        ; implicit-def: $vgpr15_vgpr16
	s_cbranch_execz .LBB23_1930
	s_branch .LBB23_1931
.LBB23_1966:
	s_or_saveexec_b32 s8, s8
                                        ; implicit-def: $sgpr9
	s_delay_alu instid0(SALU_CYCLE_1)
	s_xor_b32 exec_lo, exec_lo, s8
	s_cbranch_execz .LBB23_1553
.LBB23_1967:
	v_add_f32_e64 v3, 0x42800000, |v2|
	s_and_not1_b32 s5, s5, exec_lo
	s_mov_b32 s9, 0
	s_delay_alu instid0(VALU_DEP_1) | instskip(NEXT) | instid1(VALU_DEP_1)
	v_and_b32_e32 v3, 0xff, v3
	v_cmp_ne_u32_e32 vcc_lo, 0, v3
	s_and_b32 s10, vcc_lo, exec_lo
	s_delay_alu instid0(SALU_CYCLE_1)
	s_or_b32 s5, s5, s10
	s_or_b32 exec_lo, exec_lo, s8
	v_mov_b32_e32 v4, s9
	s_and_saveexec_b32 s8, s5
	s_cbranch_execnz .LBB23_1554
	s_branch .LBB23_1555
.LBB23_1968:
	s_mov_b32 s3, -1
	s_mov_b32 s13, 0
	s_branch .LBB23_2012
.LBB23_1969:
	s_mov_b32 s2, -1
                                        ; implicit-def: $vgpr11_vgpr12
.LBB23_1970:
	s_delay_alu instid0(SALU_CYCLE_1)
	s_and_not1_b32 vcc_lo, exec_lo, s2
	s_cbranch_vccnz .LBB23_1972
; %bb.1971:
	global_load_b32 v5, v[15:16], off
	s_waitcnt vmcnt(0)
	v_cvt_f64_f32_e32 v[11:12], v5
.LBB23_1972:
	s_mov_b32 s2, 0
.LBB23_1973:
	s_delay_alu instid0(SALU_CYCLE_1)
	s_and_not1_b32 vcc_lo, exec_lo, s2
	s_cbranch_vccnz .LBB23_1975
; %bb.1974:
	global_load_b32 v5, v[15:16], off
	s_waitcnt vmcnt(0)
	v_cvt_f32_f16_e32 v5, v5
	s_delay_alu instid0(VALU_DEP_1)
	v_cvt_f64_f32_e32 v[11:12], v5
.LBB23_1975:
	s_mov_b32 s2, 0
.LBB23_1976:
	s_delay_alu instid0(SALU_CYCLE_1)
	s_and_not1_b32 vcc_lo, exec_lo, s2
	s_cbranch_vccnz .LBB23_1987
; %bb.1977:
	v_cmp_gt_i16_e32 vcc_lo, 6, v13
	s_cbranch_vccnz .LBB23_1980
; %bb.1978:
	v_cmp_lt_i16_e32 vcc_lo, 6, v13
	s_cbranch_vccz .LBB23_1981
; %bb.1979:
	global_load_b64 v[11:12], v[15:16], off
	s_mov_b32 s2, 0
	s_branch .LBB23_1982
.LBB23_1980:
	s_mov_b32 s2, -1
                                        ; implicit-def: $vgpr11_vgpr12
	s_branch .LBB23_1985
.LBB23_1981:
	s_mov_b32 s2, -1
                                        ; implicit-def: $vgpr11_vgpr12
.LBB23_1982:
	s_delay_alu instid0(SALU_CYCLE_1)
	s_and_not1_b32 vcc_lo, exec_lo, s2
	s_cbranch_vccnz .LBB23_1984
; %bb.1983:
	global_load_b32 v5, v[15:16], off
	s_waitcnt vmcnt(0)
	v_cvt_f64_f32_e32 v[11:12], v5
.LBB23_1984:
	s_mov_b32 s2, 0
.LBB23_1985:
	s_delay_alu instid0(SALU_CYCLE_1)
	s_and_not1_b32 vcc_lo, exec_lo, s2
	s_cbranch_vccnz .LBB23_1987
; %bb.1986:
	global_load_u16 v5, v[15:16], off
	s_waitcnt vmcnt(0)
	v_cvt_f32_f16_e32 v5, v5
	s_delay_alu instid0(VALU_DEP_1)
	v_cvt_f64_f32_e32 v[11:12], v5
.LBB23_1987:
	s_mov_b32 s2, 0
.LBB23_1988:
	s_delay_alu instid0(SALU_CYCLE_1)
	s_and_not1_b32 vcc_lo, exec_lo, s2
	s_cbranch_vccnz .LBB23_2008
; %bb.1989:
	v_cmp_gt_i16_e32 vcc_lo, 2, v13
	s_cbranch_vccnz .LBB23_1993
; %bb.1990:
	v_cmp_gt_i16_e32 vcc_lo, 3, v13
	s_cbranch_vccnz .LBB23_1994
; %bb.1991:
	v_cmp_lt_i16_e32 vcc_lo, 3, v13
	s_cbranch_vccz .LBB23_1995
; %bb.1992:
	global_load_b64 v[11:12], v[15:16], off
	s_mov_b32 s2, 0
	s_waitcnt vmcnt(0)
	v_cvt_f64_i32_e32 v[17:18], v12
	v_cvt_f64_u32_e32 v[11:12], v11
	s_delay_alu instid0(VALU_DEP_2) | instskip(NEXT) | instid1(VALU_DEP_1)
	v_ldexp_f64 v[17:18], v[17:18], 32
	v_add_f64 v[11:12], v[17:18], v[11:12]
	s_branch .LBB23_1996
.LBB23_1993:
	s_mov_b32 s2, -1
                                        ; implicit-def: $vgpr11_vgpr12
	s_branch .LBB23_2002
.LBB23_1994:
	s_mov_b32 s2, -1
                                        ; implicit-def: $vgpr11_vgpr12
	s_branch .LBB23_1999
.LBB23_1995:
	s_mov_b32 s2, -1
                                        ; implicit-def: $vgpr11_vgpr12
.LBB23_1996:
	s_delay_alu instid0(SALU_CYCLE_1)
	s_and_not1_b32 vcc_lo, exec_lo, s2
	s_cbranch_vccnz .LBB23_1998
; %bb.1997:
	global_load_b32 v5, v[15:16], off
	s_waitcnt vmcnt(0)
	v_cvt_f64_i32_e32 v[11:12], v5
.LBB23_1998:
	s_mov_b32 s2, 0
.LBB23_1999:
	s_delay_alu instid0(SALU_CYCLE_1)
	s_and_not1_b32 vcc_lo, exec_lo, s2
	s_cbranch_vccnz .LBB23_2001
; %bb.2000:
	global_load_i16 v5, v[15:16], off
	s_waitcnt vmcnt(0)
	v_cvt_f64_i32_e32 v[11:12], v5
.LBB23_2001:
	s_mov_b32 s2, 0
.LBB23_2002:
	s_delay_alu instid0(SALU_CYCLE_1)
	s_and_not1_b32 vcc_lo, exec_lo, s2
	s_cbranch_vccnz .LBB23_2008
; %bb.2003:
	v_cmp_lt_i16_e32 vcc_lo, 0, v13
	s_mov_b32 s2, 0
	s_cbranch_vccz .LBB23_2005
; %bb.2004:
	global_load_i8 v5, v[15:16], off
	s_waitcnt vmcnt(0)
	v_cvt_f64_i32_e32 v[11:12], v5
	s_branch .LBB23_2006
.LBB23_2005:
	s_mov_b32 s2, -1
                                        ; implicit-def: $vgpr11_vgpr12
.LBB23_2006:
	s_delay_alu instid0(SALU_CYCLE_1)
	s_and_not1_b32 vcc_lo, exec_lo, s2
	s_cbranch_vccnz .LBB23_2008
; %bb.2007:
	global_load_u8 v5, v[15:16], off
	s_waitcnt vmcnt(0)
	v_cvt_f64_u32_e32 v[11:12], v5
.LBB23_2008:
	s_branch .LBB23_2080
.LBB23_2009:
	s_trap 2
	s_sendmsg_rtn_b32 s0, sendmsg(MSG_RTN_GET_DOORBELL)
	s_mov_b32 ttmp2, m0
	s_waitcnt lgkmcnt(0)
	s_and_b32 s0, s0, 0x3ff
	s_delay_alu instid0(SALU_CYCLE_1) | instskip(NEXT) | instid1(SALU_CYCLE_1)
	s_bitset1_b32 s0, 10
	s_mov_b32 m0, s0
	s_sendmsg sendmsg(MSG_INTERRUPT)
	s_mov_b32 m0, ttmp2
.LBB23_2010:                            ; =>This Inner Loop Header: Depth=1
	s_sethalt 5
	s_branch .LBB23_2010
.LBB23_2011:
	s_mov_b32 s13, -1
.LBB23_2012:
                                        ; implicit-def: $vgpr11_vgpr12
.LBB23_2013:
	s_and_b32 vcc_lo, exec_lo, s3
	s_cbranch_vccz .LBB23_2017
; %bb.2014:
	v_cmp_eq_u16_e32 vcc_lo, 44, v13
	s_cbranch_vccz .LBB23_2016
; %bb.2015:
	global_load_u8 v5, v[15:16], off
	s_mov_b32 s13, 0
	s_mov_b32 s2, -1
	s_waitcnt vmcnt(0)
	v_cmp_ne_u32_e32 vcc_lo, 0xff, v5
	v_lshlrev_b32_e32 v11, 23, v5
	s_delay_alu instid0(VALU_DEP_1) | instskip(NEXT) | instid1(VALU_DEP_1)
	v_cvt_f64_f32_e32 v[11:12], v11
	v_cndmask_b32_e32 v12, 0x7ff80000, v12, vcc_lo
	s_delay_alu instid0(VALU_DEP_2) | instskip(SKIP_1) | instid1(VALU_DEP_3)
	v_cndmask_b32_e32 v11, 0x20000000, v11, vcc_lo
	v_cmp_ne_u32_e32 vcc_lo, 0, v5
	v_cndmask_b32_e32 v12, 0x38000000, v12, vcc_lo
	s_delay_alu instid0(VALU_DEP_3)
	v_cndmask_b32_e32 v11, 0, v11, vcc_lo
	s_branch .LBB23_2017
.LBB23_2016:
	s_mov_b32 s13, -1
                                        ; implicit-def: $vgpr11_vgpr12
.LBB23_2017:
	s_mov_b32 s3, 0
.LBB23_2018:
	s_delay_alu instid0(SALU_CYCLE_1)
	s_and_b32 vcc_lo, exec_lo, s3
	s_cbranch_vccz .LBB23_2022
; %bb.2019:
	v_cmp_eq_u16_e32 vcc_lo, 29, v13
	s_cbranch_vccz .LBB23_2021
; %bb.2020:
	global_load_b64 v[11:12], v[15:16], off
	s_mov_b32 s13, 0
	s_mov_b32 s2, -1
	s_mov_b32 s3, 0
	s_waitcnt vmcnt(0)
	v_cvt_f64_u32_e32 v[17:18], v12
	v_cvt_f64_u32_e32 v[11:12], v11
	s_delay_alu instid0(VALU_DEP_2) | instskip(NEXT) | instid1(VALU_DEP_1)
	v_ldexp_f64 v[17:18], v[17:18], 32
	v_add_f64 v[11:12], v[17:18], v[11:12]
	s_branch .LBB23_2023
.LBB23_2021:
	s_mov_b32 s13, -1
                                        ; implicit-def: $vgpr11_vgpr12
.LBB23_2022:
	s_mov_b32 s3, 0
.LBB23_2023:
	s_delay_alu instid0(SALU_CYCLE_1)
	s_and_b32 vcc_lo, exec_lo, s3
	s_cbranch_vccz .LBB23_2043
; %bb.2024:
	v_cmp_gt_i16_e32 vcc_lo, 27, v13
	s_cbranch_vccnz .LBB23_2027
; %bb.2025:
	v_cmp_lt_i16_e32 vcc_lo, 27, v13
	s_cbranch_vccz .LBB23_2028
; %bb.2026:
	global_load_b32 v5, v[15:16], off
	s_mov_b32 s2, 0
	s_waitcnt vmcnt(0)
	v_cvt_f64_u32_e32 v[11:12], v5
	s_branch .LBB23_2029
.LBB23_2027:
	s_mov_b32 s2, -1
                                        ; implicit-def: $vgpr11_vgpr12
	s_branch .LBB23_2032
.LBB23_2028:
	s_mov_b32 s2, -1
                                        ; implicit-def: $vgpr11_vgpr12
.LBB23_2029:
	s_delay_alu instid0(SALU_CYCLE_1)
	s_and_not1_b32 vcc_lo, exec_lo, s2
	s_cbranch_vccnz .LBB23_2031
; %bb.2030:
	global_load_u16 v5, v[15:16], off
	s_waitcnt vmcnt(0)
	v_cvt_f64_u32_e32 v[11:12], v5
.LBB23_2031:
	s_mov_b32 s2, 0
.LBB23_2032:
	s_delay_alu instid0(SALU_CYCLE_1)
	s_and_not1_b32 vcc_lo, exec_lo, s2
	s_cbranch_vccnz .LBB23_2042
; %bb.2033:
	global_load_u8 v5, v[15:16], off
	s_mov_b32 s15, 0
	s_mov_b32 s16, exec_lo
                                        ; implicit-def: $sgpr2_sgpr3
	s_waitcnt vmcnt(0)
	v_cmpx_lt_i16_e32 0x7f, v5
	s_xor_b32 s16, exec_lo, s16
	s_cbranch_execz .LBB23_2037
; %bb.2034:
	s_mov_b32 s17, -1
	s_mov_b32 s15, exec_lo
                                        ; implicit-def: $sgpr2_sgpr3
	v_cmpx_eq_u16_e32 0x80, v5
; %bb.2035:
	s_mov_b32 s3, 0x7ff80000
	s_brev_b32 s2, 4
	s_xor_b32 s17, exec_lo, -1
; %bb.2036:
	s_or_b32 exec_lo, exec_lo, s15
	s_delay_alu instid0(SALU_CYCLE_1)
	s_and_b32 s15, s17, exec_lo
.LBB23_2037:
	s_or_saveexec_b32 s16, s16
	v_dual_mov_b32 v12, s3 :: v_dual_mov_b32 v11, s2
	s_xor_b32 exec_lo, exec_lo, s16
; %bb.2038:
	v_cmp_ne_u16_e32 vcc_lo, 0, v5
	v_mov_b32_e32 v11, 0
	v_mov_b32_e32 v12, 0
	s_and_not1_b32 s2, s15, exec_lo
	s_and_b32 s3, vcc_lo, exec_lo
	s_delay_alu instid0(SALU_CYCLE_1)
	s_or_b32 s15, s2, s3
; %bb.2039:
	s_or_b32 exec_lo, exec_lo, s16
	s_and_saveexec_b32 s2, s15
	s_cbranch_execz .LBB23_2041
; %bb.2040:
	v_and_b32_e32 v11, 0xffff, v5
	v_lshlrev_b32_e32 v5, 24, v5
	s_delay_alu instid0(VALU_DEP_2) | instskip(NEXT) | instid1(VALU_DEP_2)
	v_and_b32_e32 v12, 7, v11
	v_and_b32_e32 v5, 0x80000000, v5
	s_delay_alu instid0(VALU_DEP_2) | instskip(NEXT) | instid1(VALU_DEP_1)
	v_clz_i32_u32_e32 v17, v12
	v_min_u32_e32 v17, 32, v17
	s_delay_alu instid0(VALU_DEP_1) | instskip(SKIP_1) | instid1(VALU_DEP_2)
	v_subrev_nc_u32_e32 v18, 28, v17
	v_sub_nc_u32_e32 v17, 29, v17
	v_lshlrev_b32_e32 v18, v18, v11
	v_bfe_u32 v11, v11, 3, 4
	s_delay_alu instid0(VALU_DEP_2) | instskip(NEXT) | instid1(VALU_DEP_2)
	v_and_b32_e32 v18, 7, v18
	v_cmp_eq_u32_e32 vcc_lo, 0, v11
	s_delay_alu instid0(VALU_DEP_2) | instskip(NEXT) | instid1(VALU_DEP_1)
	v_dual_cndmask_b32 v11, v11, v17 :: v_dual_cndmask_b32 v12, v12, v18
	v_lshl_add_u32 v11, v11, 23, 0x3b800000
	s_delay_alu instid0(VALU_DEP_2) | instskip(NEXT) | instid1(VALU_DEP_1)
	v_lshlrev_b32_e32 v12, 20, v12
	v_or3_b32 v5, v5, v11, v12
	s_delay_alu instid0(VALU_DEP_1)
	v_cvt_f64_f32_e32 v[11:12], v5
.LBB23_2041:
	s_or_b32 exec_lo, exec_lo, s2
.LBB23_2042:
	s_mov_b32 s2, -1
.LBB23_2043:
	s_mov_b32 s3, 0
.LBB23_2044:
	s_delay_alu instid0(SALU_CYCLE_1)
	s_and_b32 vcc_lo, exec_lo, s3
	s_cbranch_vccz .LBB23_2075
; %bb.2045:
	v_cmp_lt_i16_e32 vcc_lo, 22, v13
	s_cbranch_vccz .LBB23_2057
; %bb.2046:
	v_cmp_gt_i16_e32 vcc_lo, 24, v13
	s_cbranch_vccnz .LBB23_2058
; %bb.2047:
	v_cmp_lt_i16_e32 vcc_lo, 24, v13
	s_cbranch_vccz .LBB23_2059
; %bb.2048:
	global_load_u8 v5, v[15:16], off
	s_mov_b32 s15, exec_lo
                                        ; implicit-def: $sgpr2_sgpr3
	s_waitcnt vmcnt(0)
	v_cmpx_lt_i16_e32 0x7f, v5
	s_xor_b32 s15, exec_lo, s15
	s_cbranch_execz .LBB23_2052
; %bb.2049:
	s_mov_b32 s16, -1
	s_mov_b32 s14, exec_lo
                                        ; implicit-def: $sgpr2_sgpr3
	v_cmpx_eq_u16_e32 0x80, v5
; %bb.2050:
	s_mov_b32 s3, 0x7ff80000
	s_brev_b32 s2, 4
	s_xor_b32 s16, exec_lo, -1
; %bb.2051:
	s_or_b32 exec_lo, exec_lo, s14
	s_delay_alu instid0(SALU_CYCLE_1)
	s_and_b32 s14, s16, exec_lo
.LBB23_2052:
	s_or_saveexec_b32 s15, s15
	v_dual_mov_b32 v12, s3 :: v_dual_mov_b32 v11, s2
	s_xor_b32 exec_lo, exec_lo, s15
; %bb.2053:
	v_cmp_ne_u16_e32 vcc_lo, 0, v5
	v_mov_b32_e32 v11, 0
	v_mov_b32_e32 v12, 0
	s_and_not1_b32 s2, s14, exec_lo
	s_and_b32 s3, vcc_lo, exec_lo
	s_delay_alu instid0(SALU_CYCLE_1)
	s_or_b32 s14, s2, s3
; %bb.2054:
	s_or_b32 exec_lo, exec_lo, s15
	s_and_saveexec_b32 s2, s14
	s_cbranch_execz .LBB23_2056
; %bb.2055:
	v_and_b32_e32 v11, 0xffff, v5
	v_lshlrev_b32_e32 v5, 24, v5
	s_delay_alu instid0(VALU_DEP_2) | instskip(NEXT) | instid1(VALU_DEP_2)
	v_and_b32_e32 v12, 3, v11
	v_and_b32_e32 v5, 0x80000000, v5
	s_delay_alu instid0(VALU_DEP_2) | instskip(NEXT) | instid1(VALU_DEP_1)
	v_clz_i32_u32_e32 v17, v12
	v_min_u32_e32 v17, 32, v17
	s_delay_alu instid0(VALU_DEP_1) | instskip(SKIP_1) | instid1(VALU_DEP_2)
	v_subrev_nc_u32_e32 v18, 29, v17
	v_sub_nc_u32_e32 v17, 30, v17
	v_lshlrev_b32_e32 v18, v18, v11
	v_bfe_u32 v11, v11, 2, 5
	s_delay_alu instid0(VALU_DEP_2) | instskip(NEXT) | instid1(VALU_DEP_2)
	v_and_b32_e32 v18, 3, v18
	v_cmp_eq_u32_e32 vcc_lo, 0, v11
	s_delay_alu instid0(VALU_DEP_2) | instskip(NEXT) | instid1(VALU_DEP_1)
	v_dual_cndmask_b32 v11, v11, v17 :: v_dual_cndmask_b32 v12, v12, v18
	v_lshl_add_u32 v11, v11, 23, 0x37800000
	s_delay_alu instid0(VALU_DEP_2) | instskip(NEXT) | instid1(VALU_DEP_1)
	v_lshlrev_b32_e32 v12, 21, v12
	v_or3_b32 v5, v5, v11, v12
	s_delay_alu instid0(VALU_DEP_1)
	v_cvt_f64_f32_e32 v[11:12], v5
.LBB23_2056:
	s_or_b32 exec_lo, exec_lo, s2
	s_mov_b32 s2, 0
	s_branch .LBB23_2060
.LBB23_2057:
	s_mov_b32 s3, -1
                                        ; implicit-def: $vgpr11_vgpr12
	s_branch .LBB23_2066
.LBB23_2058:
	s_mov_b32 s2, -1
                                        ; implicit-def: $vgpr11_vgpr12
	s_branch .LBB23_2063
.LBB23_2059:
	s_mov_b32 s2, -1
                                        ; implicit-def: $vgpr11_vgpr12
.LBB23_2060:
	s_delay_alu instid0(SALU_CYCLE_1)
	s_and_b32 vcc_lo, exec_lo, s2
	s_cbranch_vccz .LBB23_2062
; %bb.2061:
	global_load_u8 v5, v[15:16], off
	s_waitcnt vmcnt(0)
	v_lshlrev_b32_e32 v5, 24, v5
	s_delay_alu instid0(VALU_DEP_1) | instskip(NEXT) | instid1(VALU_DEP_1)
	v_and_b32_e32 v11, 0x7f000000, v5
	v_clz_i32_u32_e32 v12, v11
	v_cmp_ne_u32_e32 vcc_lo, 0, v11
	v_add_nc_u32_e32 v18, 0x1000000, v11
	s_delay_alu instid0(VALU_DEP_3) | instskip(NEXT) | instid1(VALU_DEP_1)
	v_min_u32_e32 v12, 32, v12
	v_sub_nc_u32_e64 v12, v12, 4 clamp
	s_delay_alu instid0(VALU_DEP_1) | instskip(SKIP_1) | instid1(VALU_DEP_2)
	v_lshlrev_b32_e32 v17, v12, v11
	v_lshlrev_b32_e32 v12, 23, v12
	v_lshrrev_b32_e32 v17, 4, v17
	s_delay_alu instid0(VALU_DEP_1) | instskip(SKIP_1) | instid1(VALU_DEP_2)
	v_sub_nc_u32_e32 v12, v17, v12
	v_ashrrev_i32_e32 v17, 8, v18
	v_add_nc_u32_e32 v12, 0x3c000000, v12
	s_delay_alu instid0(VALU_DEP_1) | instskip(NEXT) | instid1(VALU_DEP_1)
	v_and_or_b32 v12, 0x7f800000, v17, v12
	v_cndmask_b32_e32 v11, 0, v12, vcc_lo
	s_delay_alu instid0(VALU_DEP_1) | instskip(NEXT) | instid1(VALU_DEP_1)
	v_and_or_b32 v5, 0x80000000, v5, v11
	v_cvt_f64_f32_e32 v[11:12], v5
.LBB23_2062:
	s_mov_b32 s2, 0
.LBB23_2063:
	s_delay_alu instid0(SALU_CYCLE_1)
	s_and_not1_b32 vcc_lo, exec_lo, s2
	s_cbranch_vccnz .LBB23_2065
; %bb.2064:
	global_load_u8 v5, v[15:16], off
	s_waitcnt vmcnt(0)
	v_lshlrev_b32_e32 v11, 25, v5
	v_lshlrev_b16 v5, 8, v5
	s_delay_alu instid0(VALU_DEP_2) | instskip(NEXT) | instid1(VALU_DEP_2)
	v_lshrrev_b32_e32 v12, 4, v11
	v_and_or_b32 v17, 0x7f00, v5, 0.5
	v_bfe_i32 v5, v5, 0, 16
	s_delay_alu instid0(VALU_DEP_3) | instskip(NEXT) | instid1(VALU_DEP_1)
	v_or_b32_e32 v12, 0x70000000, v12
	v_dual_add_f32 v17, -0.5, v17 :: v_dual_mul_f32 v12, 0x7800000, v12
	v_cmp_gt_u32_e32 vcc_lo, 0x8000000, v11
	s_delay_alu instid0(VALU_DEP_2) | instskip(NEXT) | instid1(VALU_DEP_1)
	v_cndmask_b32_e32 v11, v12, v17, vcc_lo
	v_and_or_b32 v5, 0x80000000, v5, v11
	s_delay_alu instid0(VALU_DEP_1)
	v_cvt_f64_f32_e32 v[11:12], v5
.LBB23_2065:
	s_mov_b32 s3, 0
	s_mov_b32 s2, -1
.LBB23_2066:
	s_and_not1_b32 vcc_lo, exec_lo, s3
	s_mov_b32 s14, 0
	s_cbranch_vccnz .LBB23_2075
; %bb.2067:
	v_cmp_lt_i16_e32 vcc_lo, 14, v13
	s_cbranch_vccz .LBB23_2070
; %bb.2068:
	v_cmp_eq_u16_e32 vcc_lo, 15, v13
	s_cbranch_vccz .LBB23_2071
; %bb.2069:
	global_load_u16 v5, v[15:16], off
	s_mov_b32 s13, 0
	s_mov_b32 s2, -1
	s_waitcnt vmcnt(0)
	v_lshlrev_b32_e32 v5, 16, v5
	s_delay_alu instid0(VALU_DEP_1)
	v_cvt_f64_f32_e32 v[11:12], v5
	s_branch .LBB23_2072
.LBB23_2070:
	s_mov_b32 s3, -1
                                        ; implicit-def: $vgpr11_vgpr12
	s_branch .LBB23_2073
.LBB23_2071:
	s_mov_b32 s13, -1
                                        ; implicit-def: $vgpr11_vgpr12
.LBB23_2072:
	s_mov_b32 s3, 0
.LBB23_2073:
	s_delay_alu instid0(SALU_CYCLE_1)
	s_and_b32 vcc_lo, exec_lo, s3
	s_cbranch_vccz .LBB23_2075
; %bb.2074:
	v_cmp_ne_u16_e64 s13, 11, v13
	s_mov_b32 s14, -1
                                        ; implicit-def: $vgpr11_vgpr12
.LBB23_2075:
	s_delay_alu instid0(VALU_DEP_1)
	s_and_b32 vcc_lo, exec_lo, s13
	s_cbranch_vccnz .LBB23_2091
; %bb.2076:
	s_and_not1_b32 vcc_lo, exec_lo, s14
	s_cbranch_vccnz .LBB23_2078
.LBB23_2077:
	global_load_u8 v5, v[15:16], off
	v_mov_b32_e32 v11, 0
	s_mov_b32 s2, -1
	s_waitcnt vmcnt(0)
	v_cmp_ne_u16_e32 vcc_lo, 0, v5
	v_cndmask_b32_e64 v12, 0, 0x3ff00000, vcc_lo
.LBB23_2078:
.LBB23_2079:
	s_and_not1_b32 vcc_lo, exec_lo, s2
	s_cbranch_vccnz .LBB23_3218
.LBB23_2080:
	v_cmp_lt_i16_e64 s2, s12, 11
	v_add_co_u32 v4, s3, s0, v4
	s_delay_alu instid0(VALU_DEP_1) | instskip(NEXT) | instid1(VALU_DEP_3)
	v_add_co_ci_u32_e64 v5, null, s1, 0, s3
	s_and_b32 vcc_lo, exec_lo, s2
	s_mov_b32 s2, 0
	s_cbranch_vccnz .LBB23_2087
; %bb.2081:
	v_cmp_gt_i16_e64 s2, s12, 25
	s_mov_b32 s14, 0
	s_delay_alu instid0(VALU_DEP_1)
	s_and_b32 vcc_lo, exec_lo, s2
	s_cbranch_vccz .LBB23_2088
; %bb.2082:
	v_cmp_gt_i16_e64 s2, s12, 28
	s_delay_alu instid0(VALU_DEP_1)
	s_and_b32 vcc_lo, exec_lo, s2
	s_cbranch_vccz .LBB23_2089
; %bb.2083:
	v_cmp_gt_i16_e64 s2, s12, 43
	;; [unrolled: 5-line block ×3, first 2 shown]
	s_delay_alu instid0(VALU_DEP_1)
	s_and_b32 vcc_lo, exec_lo, s2
	s_cbranch_vccz .LBB23_2093
; %bb.2085:
	v_cmp_eq_u16_e64 s2, s12, 46
	s_mov_b32 s3, 0
	s_delay_alu instid0(VALU_DEP_1)
	s_and_b32 vcc_lo, exec_lo, s2
	s_cbranch_vccz .LBB23_2096
; %bb.2086:
	global_load_b32 v15, v[4:5], off
	s_mov_b32 s13, 0
	s_mov_b32 s2, -1
	s_waitcnt vmcnt(0)
	v_lshlrev_b32_e32 v15, 16, v15
	s_delay_alu instid0(VALU_DEP_1)
	v_cvt_f64_f32_e32 v[15:16], v15
	s_branch .LBB23_2098
.LBB23_2087:
	s_mov_b32 s3, -1
                                        ; implicit-def: $vgpr15_vgpr16
	s_branch .LBB23_2164
.LBB23_2088:
	s_mov_b32 s3, -1
	s_mov_b32 s2, 0
	s_mov_b32 s13, 0
                                        ; implicit-def: $vgpr15_vgpr16
	s_branch .LBB23_2129
.LBB23_2089:
	s_mov_b32 s3, -1
	s_mov_b32 s2, 0
	s_mov_b32 s13, 0
                                        ; implicit-def: $vgpr15_vgpr16
	s_branch .LBB23_2108
.LBB23_2090:
	s_mov_b32 s3, -1
	s_mov_b32 s2, 0
	s_mov_b32 s13, 0
                                        ; implicit-def: $vgpr15_vgpr16
	s_branch .LBB23_2103
.LBB23_2091:
	s_cbranch_execnz .LBB23_2094
; %bb.2092:
	s_or_b32 s10, s10, exec_lo
                                        ; implicit-def: $vgpr11_vgpr12
	s_cbranch_execz .LBB23_2077
	s_branch .LBB23_2078
.LBB23_2093:
	s_mov_b32 s3, -1
	s_mov_b32 s2, 0
	s_mov_b32 s13, 0
	s_branch .LBB23_2097
.LBB23_2094:
	s_trap 2
	s_sendmsg_rtn_b32 s0, sendmsg(MSG_RTN_GET_DOORBELL)
	s_mov_b32 ttmp2, m0
	s_waitcnt lgkmcnt(0)
	s_and_b32 s0, s0, 0x3ff
	s_delay_alu instid0(SALU_CYCLE_1) | instskip(NEXT) | instid1(SALU_CYCLE_1)
	s_bitset1_b32 s0, 10
	s_mov_b32 m0, s0
	s_sendmsg sendmsg(MSG_INTERRUPT)
	s_mov_b32 m0, ttmp2
.LBB23_2095:                            ; =>This Inner Loop Header: Depth=1
	s_sethalt 5
	s_branch .LBB23_2095
.LBB23_2096:
	s_mov_b32 s13, -1
	s_mov_b32 s2, 0
.LBB23_2097:
                                        ; implicit-def: $vgpr15_vgpr16
.LBB23_2098:
	s_and_b32 vcc_lo, exec_lo, s3
	s_cbranch_vccz .LBB23_2102
; %bb.2099:
	v_cmp_eq_u16_e64 s3, s12, 44
	s_delay_alu instid0(VALU_DEP_1)
	s_and_b32 vcc_lo, exec_lo, s3
	s_cbranch_vccz .LBB23_2101
; %bb.2100:
	global_load_u8 v17, v[4:5], off
	s_mov_b32 s13, 0
	s_mov_b32 s2, -1
	s_waitcnt vmcnt(0)
	v_cmp_ne_u32_e32 vcc_lo, 0xff, v17
	v_lshlrev_b32_e32 v15, 23, v17
	s_delay_alu instid0(VALU_DEP_1) | instskip(NEXT) | instid1(VALU_DEP_1)
	v_cvt_f64_f32_e32 v[15:16], v15
	v_cndmask_b32_e32 v16, 0x7ff80000, v16, vcc_lo
	s_delay_alu instid0(VALU_DEP_2) | instskip(SKIP_1) | instid1(VALU_DEP_3)
	v_cndmask_b32_e32 v15, 0x20000000, v15, vcc_lo
	v_cmp_ne_u32_e32 vcc_lo, 0, v17
	v_cndmask_b32_e32 v16, 0x38000000, v16, vcc_lo
	s_delay_alu instid0(VALU_DEP_3)
	v_cndmask_b32_e32 v15, 0, v15, vcc_lo
	s_branch .LBB23_2102
.LBB23_2101:
	s_mov_b32 s13, -1
                                        ; implicit-def: $vgpr15_vgpr16
.LBB23_2102:
	s_mov_b32 s3, 0
.LBB23_2103:
	s_delay_alu instid0(SALU_CYCLE_1)
	s_and_b32 vcc_lo, exec_lo, s3
	s_cbranch_vccz .LBB23_2107
; %bb.2104:
	v_cmp_eq_u16_e64 s3, s12, 29
	s_delay_alu instid0(VALU_DEP_1)
	s_and_b32 vcc_lo, exec_lo, s3
	s_cbranch_vccz .LBB23_2106
; %bb.2105:
	global_load_b64 v[15:16], v[4:5], off
	s_mov_b32 s13, 0
	s_mov_b32 s2, -1
	s_mov_b32 s3, 0
	s_waitcnt vmcnt(0)
	v_cvt_f64_u32_e32 v[16:17], v16
	v_cvt_f64_u32_e32 v[18:19], v15
	s_delay_alu instid0(VALU_DEP_2) | instskip(NEXT) | instid1(VALU_DEP_1)
	v_ldexp_f64 v[16:17], v[16:17], 32
	v_add_f64 v[15:16], v[16:17], v[18:19]
	s_branch .LBB23_2108
.LBB23_2106:
	s_mov_b32 s13, -1
                                        ; implicit-def: $vgpr15_vgpr16
.LBB23_2107:
	s_mov_b32 s3, 0
.LBB23_2108:
	s_delay_alu instid0(SALU_CYCLE_1)
	s_and_b32 vcc_lo, exec_lo, s3
	s_cbranch_vccz .LBB23_2128
; %bb.2109:
	v_cmp_lt_i16_e64 s2, s12, 27
	s_delay_alu instid0(VALU_DEP_1)
	s_and_b32 vcc_lo, exec_lo, s2
	s_cbranch_vccnz .LBB23_2112
; %bb.2110:
	v_cmp_gt_i16_e64 s2, s12, 27
	s_delay_alu instid0(VALU_DEP_1)
	s_and_b32 vcc_lo, exec_lo, s2
	s_cbranch_vccz .LBB23_2113
; %bb.2111:
	global_load_b32 v15, v[4:5], off
	s_mov_b32 s2, 0
	s_waitcnt vmcnt(0)
	v_cvt_f64_u32_e32 v[15:16], v15
	s_branch .LBB23_2114
.LBB23_2112:
	s_mov_b32 s2, -1
                                        ; implicit-def: $vgpr15_vgpr16
	s_branch .LBB23_2117
.LBB23_2113:
	s_mov_b32 s2, -1
                                        ; implicit-def: $vgpr15_vgpr16
.LBB23_2114:
	s_delay_alu instid0(SALU_CYCLE_1)
	s_and_not1_b32 vcc_lo, exec_lo, s2
	s_cbranch_vccnz .LBB23_2116
; %bb.2115:
	global_load_u16 v15, v[4:5], off
	s_waitcnt vmcnt(0)
	v_cvt_f64_u32_e32 v[15:16], v15
.LBB23_2116:
	s_mov_b32 s2, 0
.LBB23_2117:
	s_delay_alu instid0(SALU_CYCLE_1)
	s_and_not1_b32 vcc_lo, exec_lo, s2
	s_cbranch_vccnz .LBB23_2127
; %bb.2118:
	global_load_u8 v17, v[4:5], off
	s_mov_b32 s15, 0
	s_mov_b32 s16, exec_lo
                                        ; implicit-def: $sgpr2_sgpr3
	s_waitcnt vmcnt(0)
	v_cmpx_lt_i16_e32 0x7f, v17
	s_xor_b32 s16, exec_lo, s16
	s_cbranch_execz .LBB23_2122
; %bb.2119:
	s_mov_b32 s17, -1
	s_mov_b32 s15, exec_lo
                                        ; implicit-def: $sgpr2_sgpr3
	v_cmpx_eq_u16_e32 0x80, v17
; %bb.2120:
	s_mov_b32 s3, 0x7ff80000
	s_brev_b32 s2, 4
	s_xor_b32 s17, exec_lo, -1
; %bb.2121:
	s_or_b32 exec_lo, exec_lo, s15
	s_delay_alu instid0(SALU_CYCLE_1)
	s_and_b32 s15, s17, exec_lo
.LBB23_2122:
	s_or_saveexec_b32 s16, s16
	v_dual_mov_b32 v16, s3 :: v_dual_mov_b32 v15, s2
	s_xor_b32 exec_lo, exec_lo, s16
; %bb.2123:
	v_cmp_ne_u16_e32 vcc_lo, 0, v17
	v_mov_b32_e32 v15, 0
	v_mov_b32_e32 v16, 0
	s_and_not1_b32 s2, s15, exec_lo
	s_and_b32 s3, vcc_lo, exec_lo
	s_delay_alu instid0(SALU_CYCLE_1)
	s_or_b32 s15, s2, s3
; %bb.2124:
	s_or_b32 exec_lo, exec_lo, s16
	s_and_saveexec_b32 s2, s15
	s_cbranch_execz .LBB23_2126
; %bb.2125:
	v_and_b32_e32 v15, 0xffff, v17
	v_lshlrev_b32_e32 v17, 24, v17
	s_delay_alu instid0(VALU_DEP_2) | instskip(NEXT) | instid1(VALU_DEP_2)
	v_and_b32_e32 v16, 7, v15
	v_and_b32_e32 v17, 0x80000000, v17
	s_delay_alu instid0(VALU_DEP_2) | instskip(NEXT) | instid1(VALU_DEP_1)
	v_clz_i32_u32_e32 v18, v16
	v_min_u32_e32 v18, 32, v18
	s_delay_alu instid0(VALU_DEP_1) | instskip(SKIP_1) | instid1(VALU_DEP_2)
	v_subrev_nc_u32_e32 v19, 28, v18
	v_sub_nc_u32_e32 v18, 29, v18
	v_lshlrev_b32_e32 v19, v19, v15
	v_bfe_u32 v15, v15, 3, 4
	s_delay_alu instid0(VALU_DEP_2) | instskip(NEXT) | instid1(VALU_DEP_2)
	v_and_b32_e32 v19, 7, v19
	v_cmp_eq_u32_e32 vcc_lo, 0, v15
	s_delay_alu instid0(VALU_DEP_2) | instskip(NEXT) | instid1(VALU_DEP_1)
	v_dual_cndmask_b32 v15, v15, v18 :: v_dual_cndmask_b32 v16, v16, v19
	v_lshl_add_u32 v15, v15, 23, 0x3b800000
	s_delay_alu instid0(VALU_DEP_2) | instskip(NEXT) | instid1(VALU_DEP_1)
	v_lshlrev_b32_e32 v16, 20, v16
	v_or3_b32 v15, v17, v15, v16
	s_delay_alu instid0(VALU_DEP_1)
	v_cvt_f64_f32_e32 v[15:16], v15
.LBB23_2126:
	s_or_b32 exec_lo, exec_lo, s2
.LBB23_2127:
	s_mov_b32 s2, -1
.LBB23_2128:
	s_mov_b32 s3, 0
.LBB23_2129:
	s_delay_alu instid0(SALU_CYCLE_1)
	s_and_b32 vcc_lo, exec_lo, s3
	s_cbranch_vccz .LBB23_2160
; %bb.2130:
	v_cmp_gt_i16_e64 s3, s12, 22
	s_delay_alu instid0(VALU_DEP_1)
	s_and_b32 vcc_lo, exec_lo, s3
	s_cbranch_vccz .LBB23_2142
; %bb.2131:
	v_cmp_lt_i16_e64 s2, s12, 24
	s_delay_alu instid0(VALU_DEP_1)
	s_and_b32 vcc_lo, exec_lo, s2
	s_cbranch_vccnz .LBB23_2143
; %bb.2132:
	v_cmp_gt_i16_e64 s2, s12, 24
	s_delay_alu instid0(VALU_DEP_1)
	s_and_b32 vcc_lo, exec_lo, s2
	s_cbranch_vccz .LBB23_2144
; %bb.2133:
	global_load_u8 v17, v[4:5], off
	s_mov_b32 s15, exec_lo
                                        ; implicit-def: $sgpr2_sgpr3
	s_waitcnt vmcnt(0)
	v_cmpx_lt_i16_e32 0x7f, v17
	s_xor_b32 s15, exec_lo, s15
	s_cbranch_execz .LBB23_2137
; %bb.2134:
	s_mov_b32 s16, -1
	s_mov_b32 s14, exec_lo
                                        ; implicit-def: $sgpr2_sgpr3
	v_cmpx_eq_u16_e32 0x80, v17
; %bb.2135:
	s_mov_b32 s3, 0x7ff80000
	s_brev_b32 s2, 4
	s_xor_b32 s16, exec_lo, -1
; %bb.2136:
	s_or_b32 exec_lo, exec_lo, s14
	s_delay_alu instid0(SALU_CYCLE_1)
	s_and_b32 s14, s16, exec_lo
.LBB23_2137:
	s_or_saveexec_b32 s15, s15
	v_dual_mov_b32 v16, s3 :: v_dual_mov_b32 v15, s2
	s_xor_b32 exec_lo, exec_lo, s15
; %bb.2138:
	v_cmp_ne_u16_e32 vcc_lo, 0, v17
	v_mov_b32_e32 v15, 0
	v_mov_b32_e32 v16, 0
	s_and_not1_b32 s2, s14, exec_lo
	s_and_b32 s3, vcc_lo, exec_lo
	s_delay_alu instid0(SALU_CYCLE_1)
	s_or_b32 s14, s2, s3
; %bb.2139:
	s_or_b32 exec_lo, exec_lo, s15
	s_and_saveexec_b32 s2, s14
	s_cbranch_execz .LBB23_2141
; %bb.2140:
	v_and_b32_e32 v15, 0xffff, v17
	v_lshlrev_b32_e32 v17, 24, v17
	s_delay_alu instid0(VALU_DEP_2) | instskip(NEXT) | instid1(VALU_DEP_2)
	v_and_b32_e32 v16, 3, v15
	v_and_b32_e32 v17, 0x80000000, v17
	s_delay_alu instid0(VALU_DEP_2) | instskip(NEXT) | instid1(VALU_DEP_1)
	v_clz_i32_u32_e32 v18, v16
	v_min_u32_e32 v18, 32, v18
	s_delay_alu instid0(VALU_DEP_1) | instskip(SKIP_1) | instid1(VALU_DEP_2)
	v_subrev_nc_u32_e32 v19, 29, v18
	v_sub_nc_u32_e32 v18, 30, v18
	v_lshlrev_b32_e32 v19, v19, v15
	v_bfe_u32 v15, v15, 2, 5
	s_delay_alu instid0(VALU_DEP_2) | instskip(NEXT) | instid1(VALU_DEP_2)
	v_and_b32_e32 v19, 3, v19
	v_cmp_eq_u32_e32 vcc_lo, 0, v15
	s_delay_alu instid0(VALU_DEP_2) | instskip(NEXT) | instid1(VALU_DEP_1)
	v_dual_cndmask_b32 v15, v15, v18 :: v_dual_cndmask_b32 v16, v16, v19
	v_lshl_add_u32 v15, v15, 23, 0x37800000
	s_delay_alu instid0(VALU_DEP_2) | instskip(NEXT) | instid1(VALU_DEP_1)
	v_lshlrev_b32_e32 v16, 21, v16
	v_or3_b32 v15, v17, v15, v16
	s_delay_alu instid0(VALU_DEP_1)
	v_cvt_f64_f32_e32 v[15:16], v15
.LBB23_2141:
	s_or_b32 exec_lo, exec_lo, s2
	s_mov_b32 s2, 0
	s_branch .LBB23_2145
.LBB23_2142:
	s_mov_b32 s3, -1
                                        ; implicit-def: $vgpr15_vgpr16
	s_branch .LBB23_2151
.LBB23_2143:
	s_mov_b32 s2, -1
                                        ; implicit-def: $vgpr15_vgpr16
	s_branch .LBB23_2148
.LBB23_2144:
	s_mov_b32 s2, -1
                                        ; implicit-def: $vgpr15_vgpr16
.LBB23_2145:
	s_delay_alu instid0(SALU_CYCLE_1)
	s_and_b32 vcc_lo, exec_lo, s2
	s_cbranch_vccz .LBB23_2147
; %bb.2146:
	global_load_u8 v15, v[4:5], off
	s_waitcnt vmcnt(0)
	v_lshlrev_b32_e32 v15, 24, v15
	s_delay_alu instid0(VALU_DEP_1) | instskip(NEXT) | instid1(VALU_DEP_1)
	v_and_b32_e32 v16, 0x7f000000, v15
	v_clz_i32_u32_e32 v17, v16
	v_add_nc_u32_e32 v19, 0x1000000, v16
	v_cmp_ne_u32_e32 vcc_lo, 0, v16
	s_delay_alu instid0(VALU_DEP_3) | instskip(NEXT) | instid1(VALU_DEP_1)
	v_min_u32_e32 v17, 32, v17
	v_sub_nc_u32_e64 v17, v17, 4 clamp
	s_delay_alu instid0(VALU_DEP_1) | instskip(SKIP_1) | instid1(VALU_DEP_2)
	v_lshlrev_b32_e32 v18, v17, v16
	v_lshlrev_b32_e32 v17, 23, v17
	v_lshrrev_b32_e32 v18, 4, v18
	s_delay_alu instid0(VALU_DEP_1) | instskip(SKIP_1) | instid1(VALU_DEP_2)
	v_sub_nc_u32_e32 v17, v18, v17
	v_ashrrev_i32_e32 v18, 8, v19
	v_add_nc_u32_e32 v17, 0x3c000000, v17
	s_delay_alu instid0(VALU_DEP_1) | instskip(NEXT) | instid1(VALU_DEP_1)
	v_and_or_b32 v17, 0x7f800000, v18, v17
	v_cndmask_b32_e32 v16, 0, v17, vcc_lo
	s_delay_alu instid0(VALU_DEP_1) | instskip(NEXT) | instid1(VALU_DEP_1)
	v_and_or_b32 v15, 0x80000000, v15, v16
	v_cvt_f64_f32_e32 v[15:16], v15
.LBB23_2147:
	s_mov_b32 s2, 0
.LBB23_2148:
	s_delay_alu instid0(SALU_CYCLE_1)
	s_and_not1_b32 vcc_lo, exec_lo, s2
	s_cbranch_vccnz .LBB23_2150
; %bb.2149:
	global_load_u8 v15, v[4:5], off
	s_waitcnt vmcnt(0)
	v_lshlrev_b32_e32 v16, 25, v15
	v_lshlrev_b16 v15, 8, v15
	s_delay_alu instid0(VALU_DEP_2) | instskip(NEXT) | instid1(VALU_DEP_2)
	v_lshrrev_b32_e32 v17, 4, v16
	v_and_or_b32 v18, 0x7f00, v15, 0.5
	v_bfe_i32 v15, v15, 0, 16
	s_delay_alu instid0(VALU_DEP_3) | instskip(NEXT) | instid1(VALU_DEP_1)
	v_or_b32_e32 v17, 0x70000000, v17
	v_dual_add_f32 v18, -0.5, v18 :: v_dual_mul_f32 v17, 0x7800000, v17
	v_cmp_gt_u32_e32 vcc_lo, 0x8000000, v16
	s_delay_alu instid0(VALU_DEP_2) | instskip(NEXT) | instid1(VALU_DEP_1)
	v_cndmask_b32_e32 v16, v17, v18, vcc_lo
	v_and_or_b32 v15, 0x80000000, v15, v16
	s_delay_alu instid0(VALU_DEP_1)
	v_cvt_f64_f32_e32 v[15:16], v15
.LBB23_2150:
	s_mov_b32 s3, 0
	s_mov_b32 s2, -1
.LBB23_2151:
	s_and_not1_b32 vcc_lo, exec_lo, s3
	s_mov_b32 s14, 0
	s_cbranch_vccnz .LBB23_2160
; %bb.2152:
	v_cmp_gt_i16_e64 s3, s12, 14
	s_delay_alu instid0(VALU_DEP_1)
	s_and_b32 vcc_lo, exec_lo, s3
	s_cbranch_vccz .LBB23_2155
; %bb.2153:
	v_cmp_eq_u16_e64 s3, s12, 15
	s_delay_alu instid0(VALU_DEP_1)
	s_and_b32 vcc_lo, exec_lo, s3
	s_cbranch_vccz .LBB23_2156
; %bb.2154:
	global_load_u16 v15, v[4:5], off
	s_mov_b32 s13, 0
	s_mov_b32 s2, -1
	s_waitcnt vmcnt(0)
	v_lshlrev_b32_e32 v15, 16, v15
	s_delay_alu instid0(VALU_DEP_1)
	v_cvt_f64_f32_e32 v[15:16], v15
	s_branch .LBB23_2157
.LBB23_2155:
	s_mov_b32 s3, -1
                                        ; implicit-def: $vgpr15_vgpr16
	s_branch .LBB23_2158
.LBB23_2156:
	s_mov_b32 s13, -1
                                        ; implicit-def: $vgpr15_vgpr16
.LBB23_2157:
	s_mov_b32 s3, 0
.LBB23_2158:
	s_delay_alu instid0(SALU_CYCLE_1)
	s_and_b32 vcc_lo, exec_lo, s3
	s_cbranch_vccz .LBB23_2160
; %bb.2159:
	v_cmp_ne_u16_e64 s13, s12, 11
	s_mov_b32 s14, -1
                                        ; implicit-def: $vgpr15_vgpr16
.LBB23_2160:
	s_delay_alu instid0(VALU_DEP_1)
	s_and_b32 vcc_lo, exec_lo, s13
	s_cbranch_vccnz .LBB23_2237
; %bb.2161:
	s_and_not1_b32 vcc_lo, exec_lo, s14
	s_cbranch_vccnz .LBB23_2163
.LBB23_2162:
	global_load_u8 v15, v[4:5], off
	s_mov_b32 s2, -1
	s_waitcnt vmcnt(0)
	v_cmp_ne_u16_e32 vcc_lo, 0, v15
	v_mov_b32_e32 v15, 0
	v_cndmask_b32_e64 v16, 0, 0x3ff00000, vcc_lo
.LBB23_2163:
	s_mov_b32 s3, 0
.LBB23_2164:
	s_delay_alu instid0(SALU_CYCLE_1)
	s_and_b32 vcc_lo, exec_lo, s3
	s_cbranch_vccz .LBB23_2213
; %bb.2165:
	v_cmp_lt_i16_e64 s2, s12, 5
	s_delay_alu instid0(VALU_DEP_1)
	s_and_b32 vcc_lo, exec_lo, s2
	s_cbranch_vccnz .LBB23_2170
; %bb.2166:
	v_cmp_lt_i16_e64 s2, s12, 8
	s_delay_alu instid0(VALU_DEP_1)
	s_and_b32 vcc_lo, exec_lo, s2
	s_cbranch_vccnz .LBB23_2171
	;; [unrolled: 5-line block ×3, first 2 shown]
; %bb.2168:
	v_cmp_gt_i16_e64 s2, s12, 9
	s_delay_alu instid0(VALU_DEP_1)
	s_and_b32 vcc_lo, exec_lo, s2
	s_cbranch_vccz .LBB23_2173
; %bb.2169:
	global_load_b64 v[15:16], v[4:5], off
	s_mov_b32 s2, 0
	s_branch .LBB23_2174
.LBB23_2170:
	s_mov_b32 s2, -1
                                        ; implicit-def: $vgpr15_vgpr16
	s_branch .LBB23_2192
.LBB23_2171:
	s_mov_b32 s2, -1
                                        ; implicit-def: $vgpr15_vgpr16
	s_branch .LBB23_2180
.LBB23_2172:
	s_mov_b32 s2, -1
                                        ; implicit-def: $vgpr15_vgpr16
	s_branch .LBB23_2177
.LBB23_2173:
	s_mov_b32 s2, -1
                                        ; implicit-def: $vgpr15_vgpr16
.LBB23_2174:
	s_delay_alu instid0(SALU_CYCLE_1)
	s_and_not1_b32 vcc_lo, exec_lo, s2
	s_cbranch_vccnz .LBB23_2176
; %bb.2175:
	global_load_b32 v15, v[4:5], off
	s_waitcnt vmcnt(0)
	v_cvt_f64_f32_e32 v[15:16], v15
.LBB23_2176:
	s_mov_b32 s2, 0
.LBB23_2177:
	s_delay_alu instid0(SALU_CYCLE_1)
	s_and_not1_b32 vcc_lo, exec_lo, s2
	s_cbranch_vccnz .LBB23_2179
; %bb.2178:
	global_load_b32 v15, v[4:5], off
	s_waitcnt vmcnt(0)
	v_cvt_f32_f16_e32 v15, v15
	s_delay_alu instid0(VALU_DEP_1)
	v_cvt_f64_f32_e32 v[15:16], v15
.LBB23_2179:
	s_mov_b32 s2, 0
.LBB23_2180:
	s_delay_alu instid0(SALU_CYCLE_1)
	s_and_not1_b32 vcc_lo, exec_lo, s2
	s_cbranch_vccnz .LBB23_2191
; %bb.2181:
	v_cmp_lt_i16_e64 s2, s12, 6
	s_delay_alu instid0(VALU_DEP_1)
	s_and_b32 vcc_lo, exec_lo, s2
	s_cbranch_vccnz .LBB23_2184
; %bb.2182:
	v_cmp_gt_i16_e64 s2, s12, 6
	s_delay_alu instid0(VALU_DEP_1)
	s_and_b32 vcc_lo, exec_lo, s2
	s_cbranch_vccz .LBB23_2185
; %bb.2183:
	global_load_b64 v[15:16], v[4:5], off
	s_mov_b32 s2, 0
	s_branch .LBB23_2186
.LBB23_2184:
	s_mov_b32 s2, -1
                                        ; implicit-def: $vgpr15_vgpr16
	s_branch .LBB23_2189
.LBB23_2185:
	s_mov_b32 s2, -1
                                        ; implicit-def: $vgpr15_vgpr16
.LBB23_2186:
	s_delay_alu instid0(SALU_CYCLE_1)
	s_and_not1_b32 vcc_lo, exec_lo, s2
	s_cbranch_vccnz .LBB23_2188
; %bb.2187:
	global_load_b32 v15, v[4:5], off
	s_waitcnt vmcnt(0)
	v_cvt_f64_f32_e32 v[15:16], v15
.LBB23_2188:
	s_mov_b32 s2, 0
.LBB23_2189:
	s_delay_alu instid0(SALU_CYCLE_1)
	s_and_not1_b32 vcc_lo, exec_lo, s2
	s_cbranch_vccnz .LBB23_2191
; %bb.2190:
	global_load_u16 v15, v[4:5], off
	s_waitcnt vmcnt(0)
	v_cvt_f32_f16_e32 v15, v15
	s_delay_alu instid0(VALU_DEP_1)
	v_cvt_f64_f32_e32 v[15:16], v15
.LBB23_2191:
	s_mov_b32 s2, 0
.LBB23_2192:
	s_delay_alu instid0(SALU_CYCLE_1)
	s_and_not1_b32 vcc_lo, exec_lo, s2
	s_cbranch_vccnz .LBB23_2212
; %bb.2193:
	v_cmp_lt_i16_e64 s2, s12, 2
	s_delay_alu instid0(VALU_DEP_1)
	s_and_b32 vcc_lo, exec_lo, s2
	s_cbranch_vccnz .LBB23_2197
; %bb.2194:
	v_cmp_lt_i16_e64 s2, s12, 3
	s_delay_alu instid0(VALU_DEP_1)
	s_and_b32 vcc_lo, exec_lo, s2
	s_cbranch_vccnz .LBB23_2198
; %bb.2195:
	v_cmp_gt_i16_e64 s2, s12, 3
	s_delay_alu instid0(VALU_DEP_1)
	s_and_b32 vcc_lo, exec_lo, s2
	s_cbranch_vccz .LBB23_2199
; %bb.2196:
	global_load_b64 v[15:16], v[4:5], off
	s_mov_b32 s2, 0
	s_waitcnt vmcnt(0)
	v_cvt_f64_i32_e32 v[16:17], v16
	v_cvt_f64_u32_e32 v[18:19], v15
	s_delay_alu instid0(VALU_DEP_2) | instskip(NEXT) | instid1(VALU_DEP_1)
	v_ldexp_f64 v[16:17], v[16:17], 32
	v_add_f64 v[15:16], v[16:17], v[18:19]
	s_branch .LBB23_2200
.LBB23_2197:
	s_mov_b32 s2, -1
                                        ; implicit-def: $vgpr15_vgpr16
	s_branch .LBB23_2206
.LBB23_2198:
	s_mov_b32 s2, -1
                                        ; implicit-def: $vgpr15_vgpr16
	s_branch .LBB23_2203
.LBB23_2199:
	s_mov_b32 s2, -1
                                        ; implicit-def: $vgpr15_vgpr16
.LBB23_2200:
	s_delay_alu instid0(SALU_CYCLE_1)
	s_and_not1_b32 vcc_lo, exec_lo, s2
	s_cbranch_vccnz .LBB23_2202
; %bb.2201:
	global_load_b32 v15, v[4:5], off
	s_waitcnt vmcnt(0)
	v_cvt_f64_i32_e32 v[15:16], v15
.LBB23_2202:
	s_mov_b32 s2, 0
.LBB23_2203:
	s_delay_alu instid0(SALU_CYCLE_1)
	s_and_not1_b32 vcc_lo, exec_lo, s2
	s_cbranch_vccnz .LBB23_2205
; %bb.2204:
	global_load_i16 v15, v[4:5], off
	s_waitcnt vmcnt(0)
	v_cvt_f64_i32_e32 v[15:16], v15
.LBB23_2205:
	s_mov_b32 s2, 0
.LBB23_2206:
	s_delay_alu instid0(SALU_CYCLE_1)
	s_and_not1_b32 vcc_lo, exec_lo, s2
	s_cbranch_vccnz .LBB23_2212
; %bb.2207:
	v_cmp_gt_i16_e64 s2, s12, 0
	s_delay_alu instid0(VALU_DEP_1)
	s_and_b32 vcc_lo, exec_lo, s2
	s_mov_b32 s2, 0
	s_cbranch_vccz .LBB23_2209
; %bb.2208:
	global_load_i8 v15, v[4:5], off
	s_waitcnt vmcnt(0)
	v_cvt_f64_i32_e32 v[15:16], v15
	s_branch .LBB23_2210
.LBB23_2209:
	s_mov_b32 s2, -1
                                        ; implicit-def: $vgpr15_vgpr16
.LBB23_2210:
	s_delay_alu instid0(SALU_CYCLE_1)
	s_and_not1_b32 vcc_lo, exec_lo, s2
	s_cbranch_vccnz .LBB23_2212
; %bb.2211:
	global_load_u8 v4, v[4:5], off
	s_waitcnt vmcnt(0)
	v_cvt_f64_u32_e32 v[15:16], v4
.LBB23_2212:
	s_mov_b32 s2, -1
.LBB23_2213:
	s_delay_alu instid0(SALU_CYCLE_1)
	s_and_not1_b32 vcc_lo, exec_lo, s2
	s_cbranch_vccnz .LBB23_3218
; %bb.2214:
	s_waitcnt vmcnt(0)
	s_delay_alu instid0(VALU_DEP_1) | instskip(SKIP_2) | instid1(VALU_DEP_2)
	v_trunc_f64_e32 v[4:5], v[15:16]
	v_cmp_class_f64_e64 vcc_lo, v[15:16], 0x1f8
	s_mov_b32 s13, exec_lo
	v_ldexp_f64 v[17:18], v[4:5], 0xffffffe0
	s_delay_alu instid0(VALU_DEP_1) | instskip(NEXT) | instid1(VALU_DEP_1)
	v_floor_f64_e32 v[17:18], v[17:18]
	v_fma_f64 v[4:5], 0xc1f00000, v[17:18], v[4:5]
	v_cvt_i32_f64_e32 v17, v[17:18]
	s_delay_alu instid0(VALU_DEP_2) | instskip(NEXT) | instid1(VALU_DEP_1)
	v_cvt_u32_f64_e32 v4, v[4:5]
	v_dual_cndmask_b32 v16, -1, v17 :: v_dual_cndmask_b32 v15, -1, v4
	v_mov_b32_e32 v4, 0
	v_mov_b32_e32 v5, 0
	s_delay_alu instid0(VALU_DEP_3)
	v_cmpx_lt_i64_e32 -1, v[15:16]
	s_cbranch_execz .LBB23_2226
; %bb.2215:
	v_mov_b32_e32 v4, 0
	v_mov_b32_e32 v5, 0x3ff00000
	s_mov_b32 s14, exec_lo
	v_cmpx_lt_i64_e32 0, v[15:16]
	s_cbranch_execz .LBB23_2225
; %bb.2216:
                                        ; implicit-def: $vgpr4_vgpr5
	s_mov_b32 s2, exec_lo
	v_cmpx_ne_u64_e32 1, v[15:16]
	s_xor_b32 s15, exec_lo, s2
	s_cbranch_execz .LBB23_2222
; %bb.2217:
	v_mov_b32_e32 v4, 0
	v_mov_b32_e32 v5, 0x7ff80000
	s_mov_b32 s16, exec_lo
	v_cmpx_gt_u64_e32 0x201, v[15:16]
	s_cbranch_execz .LBB23_2221
; %bb.2218:
	v_add_f64 v[11:12], v[11:12], v[11:12]
	v_lshlrev_b64 v[15:16], 1, v[15:16]
	v_mov_b32_e32 v17, 0
	v_mov_b32_e32 v18, 0x3ff00000
	s_mov_b64 s[2:3], 2
	s_mov_b32 s17, 0
	s_delay_alu instid0(VALU_DEP_4)
	v_dual_mov_b32 v4, v11 :: v_dual_mov_b32 v5, v12
.LBB23_2219:                            ; =>This Inner Loop Header: Depth=1
	v_cvt_f64_u32_e32 v[19:20], s3
	v_cvt_f64_u32_e32 v[21:22], s2
	s_add_u32 s2, s2, 2
	s_addc_u32 s3, s3, 0
	s_delay_alu instid0(SALU_CYCLE_1) | instskip(SKIP_1) | instid1(VALU_DEP_3)
	v_cmp_ge_u64_e32 vcc_lo, s[2:3], v[15:16]
	s_or_b32 s17, vcc_lo, s17
	v_ldexp_f64 v[19:20], v[19:20], 32
	s_delay_alu instid0(VALU_DEP_1) | instskip(NEXT) | instid1(VALU_DEP_1)
	v_add_f64 v[19:20], v[19:20], v[21:22]
	v_mul_f64 v[17:18], v[17:18], v[19:20]
	v_dual_mov_b32 v20, v5 :: v_dual_mov_b32 v19, v4
	s_delay_alu instid0(VALU_DEP_1)
	v_fma_f64 v[4:5], v[11:12], v[19:20], -v[17:18]
	v_dual_mov_b32 v17, v19 :: v_dual_mov_b32 v18, v20
	s_and_not1_b32 exec_lo, exec_lo, s17
	s_cbranch_execnz .LBB23_2219
; %bb.2220:
	s_or_b32 exec_lo, exec_lo, s17
.LBB23_2221:
	s_delay_alu instid0(SALU_CYCLE_1)
	s_or_b32 exec_lo, exec_lo, s16
                                        ; implicit-def: $vgpr11_vgpr12
.LBB23_2222:
	s_and_not1_saveexec_b32 s2, s15
; %bb.2223:
	v_add_f64 v[4:5], v[11:12], v[11:12]
; %bb.2224:
	s_or_b32 exec_lo, exec_lo, s2
.LBB23_2225:
	s_delay_alu instid0(SALU_CYCLE_1)
	s_or_b32 exec_lo, exec_lo, s14
.LBB23_2226:
	s_delay_alu instid0(SALU_CYCLE_1) | instskip(SKIP_2) | instid1(VALU_DEP_1)
	s_or_b32 exec_lo, exec_lo, s13
	v_cmp_gt_i16_e32 vcc_lo, 11, v13
	v_add_co_u32 v15, s2, s6, v9
	v_add_co_ci_u32_e64 v16, null, s7, 0, s2
	s_mov_b32 s2, 0
	s_cbranch_vccnz .LBB23_2233
; %bb.2227:
	v_cmp_lt_i16_e32 vcc_lo, 25, v13
	s_mov_b32 s14, 0
	s_cbranch_vccz .LBB23_2234
; %bb.2228:
	v_cmp_lt_i16_e32 vcc_lo, 28, v13
	s_cbranch_vccz .LBB23_2235
; %bb.2229:
	v_cmp_lt_i16_e32 vcc_lo, 43, v13
	;; [unrolled: 3-line block ×3, first 2 shown]
	s_cbranch_vccz .LBB23_2239
; %bb.2231:
	v_cmp_eq_u16_e32 vcc_lo, 46, v13
	s_mov_b32 s3, 0
	s_cbranch_vccz .LBB23_2242
; %bb.2232:
	global_load_b32 v9, v[15:16], off
	s_mov_b32 s13, 0
	s_mov_b32 s2, -1
	s_waitcnt vmcnt(0)
	v_lshlrev_b32_e32 v9, 16, v9
	s_delay_alu instid0(VALU_DEP_1)
	v_cvt_f64_f32_e32 v[11:12], v9
	s_branch .LBB23_2244
.LBB23_2233:
	s_mov_b32 s3, -1
                                        ; implicit-def: $vgpr11_vgpr12
	s_branch .LBB23_2310
.LBB23_2234:
	s_mov_b32 s3, -1
	s_mov_b32 s13, 0
                                        ; implicit-def: $vgpr11_vgpr12
	s_branch .LBB23_2275
.LBB23_2235:
	s_mov_b32 s3, -1
	s_mov_b32 s13, 0
                                        ; implicit-def: $vgpr11_vgpr12
	s_branch .LBB23_2254
.LBB23_2236:
	s_mov_b32 s3, -1
	s_mov_b32 s13, 0
                                        ; implicit-def: $vgpr11_vgpr12
	s_branch .LBB23_2249
.LBB23_2237:
	s_cbranch_execnz .LBB23_2240
; %bb.2238:
	s_or_b32 s10, s10, exec_lo
                                        ; implicit-def: $vgpr15_vgpr16
	s_cbranch_execz .LBB23_2162
	s_branch .LBB23_2163
.LBB23_2239:
	s_mov_b32 s3, -1
	s_mov_b32 s13, 0
	s_branch .LBB23_2243
.LBB23_2240:
	s_trap 2
	s_sendmsg_rtn_b32 s0, sendmsg(MSG_RTN_GET_DOORBELL)
	s_mov_b32 ttmp2, m0
	s_waitcnt lgkmcnt(0)
	s_and_b32 s0, s0, 0x3ff
	s_delay_alu instid0(SALU_CYCLE_1) | instskip(NEXT) | instid1(SALU_CYCLE_1)
	s_bitset1_b32 s0, 10
	s_mov_b32 m0, s0
	s_sendmsg sendmsg(MSG_INTERRUPT)
	s_mov_b32 m0, ttmp2
.LBB23_2241:                            ; =>This Inner Loop Header: Depth=1
	s_sethalt 5
	s_branch .LBB23_2241
.LBB23_2242:
	s_mov_b32 s13, -1
.LBB23_2243:
                                        ; implicit-def: $vgpr11_vgpr12
.LBB23_2244:
	s_and_b32 vcc_lo, exec_lo, s3
	s_cbranch_vccz .LBB23_2248
; %bb.2245:
	v_cmp_eq_u16_e32 vcc_lo, 44, v13
	s_cbranch_vccz .LBB23_2247
; %bb.2246:
	global_load_u8 v9, v[15:16], off
	s_mov_b32 s13, 0
	s_mov_b32 s2, -1
	s_waitcnt vmcnt(0)
	v_cmp_ne_u32_e32 vcc_lo, 0xff, v9
	v_lshlrev_b32_e32 v11, 23, v9
	s_delay_alu instid0(VALU_DEP_1) | instskip(NEXT) | instid1(VALU_DEP_1)
	v_cvt_f64_f32_e32 v[11:12], v11
	v_cndmask_b32_e32 v12, 0x7ff80000, v12, vcc_lo
	s_delay_alu instid0(VALU_DEP_2) | instskip(SKIP_1) | instid1(VALU_DEP_3)
	v_cndmask_b32_e32 v11, 0x20000000, v11, vcc_lo
	v_cmp_ne_u32_e32 vcc_lo, 0, v9
	v_cndmask_b32_e32 v12, 0x38000000, v12, vcc_lo
	s_delay_alu instid0(VALU_DEP_3)
	v_cndmask_b32_e32 v11, 0, v11, vcc_lo
	s_branch .LBB23_2248
.LBB23_2247:
	s_mov_b32 s13, -1
                                        ; implicit-def: $vgpr11_vgpr12
.LBB23_2248:
	s_mov_b32 s3, 0
.LBB23_2249:
	s_delay_alu instid0(SALU_CYCLE_1)
	s_and_b32 vcc_lo, exec_lo, s3
	s_cbranch_vccz .LBB23_2253
; %bb.2250:
	v_cmp_eq_u16_e32 vcc_lo, 29, v13
	s_cbranch_vccz .LBB23_2252
; %bb.2251:
	global_load_b64 v[11:12], v[15:16], off
	s_mov_b32 s13, 0
	s_mov_b32 s2, -1
	s_mov_b32 s3, 0
	s_waitcnt vmcnt(0)
	v_cvt_f64_u32_e32 v[17:18], v12
	v_cvt_f64_u32_e32 v[11:12], v11
	s_delay_alu instid0(VALU_DEP_2) | instskip(NEXT) | instid1(VALU_DEP_1)
	v_ldexp_f64 v[17:18], v[17:18], 32
	v_add_f64 v[11:12], v[17:18], v[11:12]
	s_branch .LBB23_2254
.LBB23_2252:
	s_mov_b32 s13, -1
                                        ; implicit-def: $vgpr11_vgpr12
.LBB23_2253:
	s_mov_b32 s3, 0
.LBB23_2254:
	s_delay_alu instid0(SALU_CYCLE_1)
	s_and_b32 vcc_lo, exec_lo, s3
	s_cbranch_vccz .LBB23_2274
; %bb.2255:
	v_cmp_gt_i16_e32 vcc_lo, 27, v13
	s_cbranch_vccnz .LBB23_2258
; %bb.2256:
	v_cmp_lt_i16_e32 vcc_lo, 27, v13
	s_cbranch_vccz .LBB23_2259
; %bb.2257:
	global_load_b32 v9, v[15:16], off
	s_mov_b32 s2, 0
	s_waitcnt vmcnt(0)
	v_cvt_f64_u32_e32 v[11:12], v9
	s_branch .LBB23_2260
.LBB23_2258:
	s_mov_b32 s2, -1
                                        ; implicit-def: $vgpr11_vgpr12
	s_branch .LBB23_2263
.LBB23_2259:
	s_mov_b32 s2, -1
                                        ; implicit-def: $vgpr11_vgpr12
.LBB23_2260:
	s_delay_alu instid0(SALU_CYCLE_1)
	s_and_not1_b32 vcc_lo, exec_lo, s2
	s_cbranch_vccnz .LBB23_2262
; %bb.2261:
	global_load_u16 v9, v[15:16], off
	s_waitcnt vmcnt(0)
	v_cvt_f64_u32_e32 v[11:12], v9
.LBB23_2262:
	s_mov_b32 s2, 0
.LBB23_2263:
	s_delay_alu instid0(SALU_CYCLE_1)
	s_and_not1_b32 vcc_lo, exec_lo, s2
	s_cbranch_vccnz .LBB23_2273
; %bb.2264:
	global_load_u8 v9, v[15:16], off
	s_mov_b32 s15, 0
	s_mov_b32 s16, exec_lo
                                        ; implicit-def: $sgpr2_sgpr3
	s_waitcnt vmcnt(0)
	v_cmpx_lt_i16_e32 0x7f, v9
	s_xor_b32 s16, exec_lo, s16
	s_cbranch_execz .LBB23_2268
; %bb.2265:
	s_mov_b32 s17, -1
	s_mov_b32 s15, exec_lo
                                        ; implicit-def: $sgpr2_sgpr3
	v_cmpx_eq_u16_e32 0x80, v9
; %bb.2266:
	s_mov_b32 s3, 0x7ff80000
	s_brev_b32 s2, 4
	s_xor_b32 s17, exec_lo, -1
; %bb.2267:
	s_or_b32 exec_lo, exec_lo, s15
	s_delay_alu instid0(SALU_CYCLE_1)
	s_and_b32 s15, s17, exec_lo
.LBB23_2268:
	s_or_saveexec_b32 s16, s16
	v_dual_mov_b32 v12, s3 :: v_dual_mov_b32 v11, s2
	s_xor_b32 exec_lo, exec_lo, s16
; %bb.2269:
	v_cmp_ne_u16_e32 vcc_lo, 0, v9
	v_mov_b32_e32 v11, 0
	v_mov_b32_e32 v12, 0
	s_and_not1_b32 s2, s15, exec_lo
	s_and_b32 s3, vcc_lo, exec_lo
	s_delay_alu instid0(SALU_CYCLE_1)
	s_or_b32 s15, s2, s3
; %bb.2270:
	s_or_b32 exec_lo, exec_lo, s16
	s_and_saveexec_b32 s2, s15
	s_cbranch_execz .LBB23_2272
; %bb.2271:
	v_and_b32_e32 v11, 0xffff, v9
	v_lshlrev_b32_e32 v9, 24, v9
	s_delay_alu instid0(VALU_DEP_2) | instskip(NEXT) | instid1(VALU_DEP_2)
	v_and_b32_e32 v12, 7, v11
	v_and_b32_e32 v9, 0x80000000, v9
	s_delay_alu instid0(VALU_DEP_2) | instskip(NEXT) | instid1(VALU_DEP_1)
	v_clz_i32_u32_e32 v17, v12
	v_min_u32_e32 v17, 32, v17
	s_delay_alu instid0(VALU_DEP_1) | instskip(SKIP_1) | instid1(VALU_DEP_2)
	v_subrev_nc_u32_e32 v18, 28, v17
	v_sub_nc_u32_e32 v17, 29, v17
	v_lshlrev_b32_e32 v18, v18, v11
	v_bfe_u32 v11, v11, 3, 4
	s_delay_alu instid0(VALU_DEP_2) | instskip(NEXT) | instid1(VALU_DEP_2)
	v_and_b32_e32 v18, 7, v18
	v_cmp_eq_u32_e32 vcc_lo, 0, v11
	s_delay_alu instid0(VALU_DEP_2) | instskip(NEXT) | instid1(VALU_DEP_1)
	v_dual_cndmask_b32 v11, v11, v17 :: v_dual_cndmask_b32 v12, v12, v18
	v_lshl_add_u32 v11, v11, 23, 0x3b800000
	s_delay_alu instid0(VALU_DEP_2) | instskip(NEXT) | instid1(VALU_DEP_1)
	v_lshlrev_b32_e32 v12, 20, v12
	v_or3_b32 v9, v9, v11, v12
	s_delay_alu instid0(VALU_DEP_1)
	v_cvt_f64_f32_e32 v[11:12], v9
.LBB23_2272:
	s_or_b32 exec_lo, exec_lo, s2
.LBB23_2273:
	s_mov_b32 s2, -1
.LBB23_2274:
	s_mov_b32 s3, 0
.LBB23_2275:
	s_delay_alu instid0(SALU_CYCLE_1)
	s_and_b32 vcc_lo, exec_lo, s3
	s_cbranch_vccz .LBB23_2306
; %bb.2276:
	v_cmp_lt_i16_e32 vcc_lo, 22, v13
	s_cbranch_vccz .LBB23_2288
; %bb.2277:
	v_cmp_gt_i16_e32 vcc_lo, 24, v13
	s_cbranch_vccnz .LBB23_2289
; %bb.2278:
	v_cmp_lt_i16_e32 vcc_lo, 24, v13
	s_cbranch_vccz .LBB23_2290
; %bb.2279:
	global_load_u8 v9, v[15:16], off
	s_mov_b32 s15, exec_lo
                                        ; implicit-def: $sgpr2_sgpr3
	s_waitcnt vmcnt(0)
	v_cmpx_lt_i16_e32 0x7f, v9
	s_xor_b32 s15, exec_lo, s15
	s_cbranch_execz .LBB23_2283
; %bb.2280:
	s_mov_b32 s16, -1
	s_mov_b32 s14, exec_lo
                                        ; implicit-def: $sgpr2_sgpr3
	v_cmpx_eq_u16_e32 0x80, v9
; %bb.2281:
	s_mov_b32 s3, 0x7ff80000
	s_brev_b32 s2, 4
	s_xor_b32 s16, exec_lo, -1
; %bb.2282:
	s_or_b32 exec_lo, exec_lo, s14
	s_delay_alu instid0(SALU_CYCLE_1)
	s_and_b32 s14, s16, exec_lo
.LBB23_2283:
	s_or_saveexec_b32 s15, s15
	v_dual_mov_b32 v12, s3 :: v_dual_mov_b32 v11, s2
	s_xor_b32 exec_lo, exec_lo, s15
; %bb.2284:
	v_cmp_ne_u16_e32 vcc_lo, 0, v9
	v_mov_b32_e32 v11, 0
	v_mov_b32_e32 v12, 0
	s_and_not1_b32 s2, s14, exec_lo
	s_and_b32 s3, vcc_lo, exec_lo
	s_delay_alu instid0(SALU_CYCLE_1)
	s_or_b32 s14, s2, s3
; %bb.2285:
	s_or_b32 exec_lo, exec_lo, s15
	s_and_saveexec_b32 s2, s14
	s_cbranch_execz .LBB23_2287
; %bb.2286:
	v_and_b32_e32 v11, 0xffff, v9
	v_lshlrev_b32_e32 v9, 24, v9
	s_delay_alu instid0(VALU_DEP_2) | instskip(NEXT) | instid1(VALU_DEP_2)
	v_and_b32_e32 v12, 3, v11
	v_and_b32_e32 v9, 0x80000000, v9
	s_delay_alu instid0(VALU_DEP_2) | instskip(NEXT) | instid1(VALU_DEP_1)
	v_clz_i32_u32_e32 v17, v12
	v_min_u32_e32 v17, 32, v17
	s_delay_alu instid0(VALU_DEP_1) | instskip(SKIP_1) | instid1(VALU_DEP_2)
	v_subrev_nc_u32_e32 v18, 29, v17
	v_sub_nc_u32_e32 v17, 30, v17
	v_lshlrev_b32_e32 v18, v18, v11
	v_bfe_u32 v11, v11, 2, 5
	s_delay_alu instid0(VALU_DEP_2) | instskip(NEXT) | instid1(VALU_DEP_2)
	v_and_b32_e32 v18, 3, v18
	v_cmp_eq_u32_e32 vcc_lo, 0, v11
	s_delay_alu instid0(VALU_DEP_2) | instskip(NEXT) | instid1(VALU_DEP_1)
	v_dual_cndmask_b32 v11, v11, v17 :: v_dual_cndmask_b32 v12, v12, v18
	v_lshl_add_u32 v11, v11, 23, 0x37800000
	s_delay_alu instid0(VALU_DEP_2) | instskip(NEXT) | instid1(VALU_DEP_1)
	v_lshlrev_b32_e32 v12, 21, v12
	v_or3_b32 v9, v9, v11, v12
	s_delay_alu instid0(VALU_DEP_1)
	v_cvt_f64_f32_e32 v[11:12], v9
.LBB23_2287:
	s_or_b32 exec_lo, exec_lo, s2
	s_mov_b32 s2, 0
	s_branch .LBB23_2291
.LBB23_2288:
	s_mov_b32 s3, -1
                                        ; implicit-def: $vgpr11_vgpr12
	s_branch .LBB23_2297
.LBB23_2289:
	s_mov_b32 s2, -1
                                        ; implicit-def: $vgpr11_vgpr12
	s_branch .LBB23_2294
.LBB23_2290:
	s_mov_b32 s2, -1
                                        ; implicit-def: $vgpr11_vgpr12
.LBB23_2291:
	s_delay_alu instid0(SALU_CYCLE_1)
	s_and_b32 vcc_lo, exec_lo, s2
	s_cbranch_vccz .LBB23_2293
; %bb.2292:
	global_load_u8 v9, v[15:16], off
	s_waitcnt vmcnt(0)
	v_lshlrev_b32_e32 v9, 24, v9
	s_delay_alu instid0(VALU_DEP_1) | instskip(NEXT) | instid1(VALU_DEP_1)
	v_and_b32_e32 v11, 0x7f000000, v9
	v_clz_i32_u32_e32 v12, v11
	v_cmp_ne_u32_e32 vcc_lo, 0, v11
	v_add_nc_u32_e32 v18, 0x1000000, v11
	s_delay_alu instid0(VALU_DEP_3) | instskip(NEXT) | instid1(VALU_DEP_1)
	v_min_u32_e32 v12, 32, v12
	v_sub_nc_u32_e64 v12, v12, 4 clamp
	s_delay_alu instid0(VALU_DEP_1) | instskip(SKIP_1) | instid1(VALU_DEP_2)
	v_lshlrev_b32_e32 v17, v12, v11
	v_lshlrev_b32_e32 v12, 23, v12
	v_lshrrev_b32_e32 v17, 4, v17
	s_delay_alu instid0(VALU_DEP_1) | instskip(SKIP_1) | instid1(VALU_DEP_2)
	v_sub_nc_u32_e32 v12, v17, v12
	v_ashrrev_i32_e32 v17, 8, v18
	v_add_nc_u32_e32 v12, 0x3c000000, v12
	s_delay_alu instid0(VALU_DEP_1) | instskip(NEXT) | instid1(VALU_DEP_1)
	v_and_or_b32 v12, 0x7f800000, v17, v12
	v_cndmask_b32_e32 v11, 0, v12, vcc_lo
	s_delay_alu instid0(VALU_DEP_1) | instskip(NEXT) | instid1(VALU_DEP_1)
	v_and_or_b32 v9, 0x80000000, v9, v11
	v_cvt_f64_f32_e32 v[11:12], v9
.LBB23_2293:
	s_mov_b32 s2, 0
.LBB23_2294:
	s_delay_alu instid0(SALU_CYCLE_1)
	s_and_not1_b32 vcc_lo, exec_lo, s2
	s_cbranch_vccnz .LBB23_2296
; %bb.2295:
	global_load_u8 v9, v[15:16], off
	s_waitcnt vmcnt(0)
	v_lshlrev_b32_e32 v11, 25, v9
	v_lshlrev_b16 v9, 8, v9
	s_delay_alu instid0(VALU_DEP_2) | instskip(NEXT) | instid1(VALU_DEP_2)
	v_lshrrev_b32_e32 v12, 4, v11
	v_and_or_b32 v17, 0x7f00, v9, 0.5
	v_bfe_i32 v9, v9, 0, 16
	s_delay_alu instid0(VALU_DEP_3) | instskip(NEXT) | instid1(VALU_DEP_1)
	v_or_b32_e32 v12, 0x70000000, v12
	v_dual_add_f32 v17, -0.5, v17 :: v_dual_mul_f32 v12, 0x7800000, v12
	v_cmp_gt_u32_e32 vcc_lo, 0x8000000, v11
	s_delay_alu instid0(VALU_DEP_2) | instskip(NEXT) | instid1(VALU_DEP_1)
	v_cndmask_b32_e32 v11, v12, v17, vcc_lo
	v_and_or_b32 v9, 0x80000000, v9, v11
	s_delay_alu instid0(VALU_DEP_1)
	v_cvt_f64_f32_e32 v[11:12], v9
.LBB23_2296:
	s_mov_b32 s3, 0
	s_mov_b32 s2, -1
.LBB23_2297:
	s_and_not1_b32 vcc_lo, exec_lo, s3
	s_mov_b32 s14, 0
	s_cbranch_vccnz .LBB23_2306
; %bb.2298:
	v_cmp_lt_i16_e32 vcc_lo, 14, v13
	s_cbranch_vccz .LBB23_2301
; %bb.2299:
	v_cmp_eq_u16_e32 vcc_lo, 15, v13
	s_cbranch_vccz .LBB23_2302
; %bb.2300:
	global_load_u16 v9, v[15:16], off
	s_mov_b32 s13, 0
	s_mov_b32 s2, -1
	s_waitcnt vmcnt(0)
	v_lshlrev_b32_e32 v9, 16, v9
	s_delay_alu instid0(VALU_DEP_1)
	v_cvt_f64_f32_e32 v[11:12], v9
	s_branch .LBB23_2303
.LBB23_2301:
	s_mov_b32 s3, -1
                                        ; implicit-def: $vgpr11_vgpr12
	s_branch .LBB23_2304
.LBB23_2302:
	s_mov_b32 s13, -1
                                        ; implicit-def: $vgpr11_vgpr12
.LBB23_2303:
	s_mov_b32 s3, 0
.LBB23_2304:
	s_delay_alu instid0(SALU_CYCLE_1)
	s_and_b32 vcc_lo, exec_lo, s3
	s_cbranch_vccz .LBB23_2306
; %bb.2305:
	v_cmp_ne_u16_e64 s13, 11, v13
	s_mov_b32 s14, -1
                                        ; implicit-def: $vgpr11_vgpr12
.LBB23_2306:
	s_delay_alu instid0(VALU_DEP_1)
	s_and_b32 vcc_lo, exec_lo, s13
	s_cbranch_vccnz .LBB23_2371
; %bb.2307:
	s_and_not1_b32 vcc_lo, exec_lo, s14
	s_cbranch_vccnz .LBB23_2309
.LBB23_2308:
	global_load_u8 v9, v[15:16], off
	v_mov_b32_e32 v11, 0
	s_mov_b32 s2, -1
	s_waitcnt vmcnt(0)
	v_cmp_ne_u16_e32 vcc_lo, 0, v9
	v_cndmask_b32_e64 v12, 0, 0x3ff00000, vcc_lo
.LBB23_2309:
	s_mov_b32 s3, 0
.LBB23_2310:
	s_delay_alu instid0(SALU_CYCLE_1)
	s_and_b32 vcc_lo, exec_lo, s3
	s_cbranch_vccz .LBB23_2359
; %bb.2311:
	v_cmp_gt_i16_e32 vcc_lo, 5, v13
	s_cbranch_vccnz .LBB23_2316
; %bb.2312:
	v_cmp_gt_i16_e32 vcc_lo, 8, v13
	s_cbranch_vccnz .LBB23_2317
; %bb.2313:
	v_cmp_gt_i16_e32 vcc_lo, 9, v13
	s_cbranch_vccnz .LBB23_2318
; %bb.2314:
	v_cmp_lt_i16_e32 vcc_lo, 9, v13
	s_cbranch_vccz .LBB23_2319
; %bb.2315:
	global_load_b64 v[11:12], v[15:16], off
	s_mov_b32 s2, 0
	s_branch .LBB23_2320
.LBB23_2316:
	s_mov_b32 s2, -1
                                        ; implicit-def: $vgpr11_vgpr12
	s_branch .LBB23_2338
.LBB23_2317:
	s_mov_b32 s2, -1
                                        ; implicit-def: $vgpr11_vgpr12
	s_branch .LBB23_2326
.LBB23_2318:
	s_mov_b32 s2, -1
                                        ; implicit-def: $vgpr11_vgpr12
	s_branch .LBB23_2323
.LBB23_2319:
	s_mov_b32 s2, -1
                                        ; implicit-def: $vgpr11_vgpr12
.LBB23_2320:
	s_delay_alu instid0(SALU_CYCLE_1)
	s_and_not1_b32 vcc_lo, exec_lo, s2
	s_cbranch_vccnz .LBB23_2322
; %bb.2321:
	global_load_b32 v9, v[15:16], off
	s_waitcnt vmcnt(0)
	v_cvt_f64_f32_e32 v[11:12], v9
.LBB23_2322:
	s_mov_b32 s2, 0
.LBB23_2323:
	s_delay_alu instid0(SALU_CYCLE_1)
	s_and_not1_b32 vcc_lo, exec_lo, s2
	s_cbranch_vccnz .LBB23_2325
; %bb.2324:
	global_load_b32 v9, v[15:16], off
	s_waitcnt vmcnt(0)
	v_cvt_f32_f16_e32 v9, v9
	s_delay_alu instid0(VALU_DEP_1)
	v_cvt_f64_f32_e32 v[11:12], v9
.LBB23_2325:
	s_mov_b32 s2, 0
.LBB23_2326:
	s_delay_alu instid0(SALU_CYCLE_1)
	s_and_not1_b32 vcc_lo, exec_lo, s2
	s_cbranch_vccnz .LBB23_2337
; %bb.2327:
	v_cmp_gt_i16_e32 vcc_lo, 6, v13
	s_cbranch_vccnz .LBB23_2330
; %bb.2328:
	v_cmp_lt_i16_e32 vcc_lo, 6, v13
	s_cbranch_vccz .LBB23_2331
; %bb.2329:
	global_load_b64 v[11:12], v[15:16], off
	s_mov_b32 s2, 0
	s_branch .LBB23_2332
.LBB23_2330:
	s_mov_b32 s2, -1
                                        ; implicit-def: $vgpr11_vgpr12
	s_branch .LBB23_2335
.LBB23_2331:
	s_mov_b32 s2, -1
                                        ; implicit-def: $vgpr11_vgpr12
.LBB23_2332:
	s_delay_alu instid0(SALU_CYCLE_1)
	s_and_not1_b32 vcc_lo, exec_lo, s2
	s_cbranch_vccnz .LBB23_2334
; %bb.2333:
	global_load_b32 v9, v[15:16], off
	s_waitcnt vmcnt(0)
	v_cvt_f64_f32_e32 v[11:12], v9
.LBB23_2334:
	s_mov_b32 s2, 0
.LBB23_2335:
	s_delay_alu instid0(SALU_CYCLE_1)
	s_and_not1_b32 vcc_lo, exec_lo, s2
	s_cbranch_vccnz .LBB23_2337
; %bb.2336:
	global_load_u16 v9, v[15:16], off
	s_waitcnt vmcnt(0)
	v_cvt_f32_f16_e32 v9, v9
	s_delay_alu instid0(VALU_DEP_1)
	v_cvt_f64_f32_e32 v[11:12], v9
.LBB23_2337:
	s_mov_b32 s2, 0
.LBB23_2338:
	s_delay_alu instid0(SALU_CYCLE_1)
	s_and_not1_b32 vcc_lo, exec_lo, s2
	s_cbranch_vccnz .LBB23_2358
; %bb.2339:
	v_cmp_gt_i16_e32 vcc_lo, 2, v13
	s_cbranch_vccnz .LBB23_2343
; %bb.2340:
	v_cmp_gt_i16_e32 vcc_lo, 3, v13
	s_cbranch_vccnz .LBB23_2344
; %bb.2341:
	v_cmp_lt_i16_e32 vcc_lo, 3, v13
	s_cbranch_vccz .LBB23_2345
; %bb.2342:
	global_load_b64 v[11:12], v[15:16], off
	s_mov_b32 s2, 0
	s_waitcnt vmcnt(0)
	v_cvt_f64_i32_e32 v[17:18], v12
	v_cvt_f64_u32_e32 v[11:12], v11
	s_delay_alu instid0(VALU_DEP_2) | instskip(NEXT) | instid1(VALU_DEP_1)
	v_ldexp_f64 v[17:18], v[17:18], 32
	v_add_f64 v[11:12], v[17:18], v[11:12]
	s_branch .LBB23_2346
.LBB23_2343:
	s_mov_b32 s2, -1
                                        ; implicit-def: $vgpr11_vgpr12
	s_branch .LBB23_2352
.LBB23_2344:
	s_mov_b32 s2, -1
                                        ; implicit-def: $vgpr11_vgpr12
	s_branch .LBB23_2349
.LBB23_2345:
	s_mov_b32 s2, -1
                                        ; implicit-def: $vgpr11_vgpr12
.LBB23_2346:
	s_delay_alu instid0(SALU_CYCLE_1)
	s_and_not1_b32 vcc_lo, exec_lo, s2
	s_cbranch_vccnz .LBB23_2348
; %bb.2347:
	global_load_b32 v9, v[15:16], off
	s_waitcnt vmcnt(0)
	v_cvt_f64_i32_e32 v[11:12], v9
.LBB23_2348:
	s_mov_b32 s2, 0
.LBB23_2349:
	s_delay_alu instid0(SALU_CYCLE_1)
	s_and_not1_b32 vcc_lo, exec_lo, s2
	s_cbranch_vccnz .LBB23_2351
; %bb.2350:
	global_load_i16 v9, v[15:16], off
	s_waitcnt vmcnt(0)
	v_cvt_f64_i32_e32 v[11:12], v9
.LBB23_2351:
	s_mov_b32 s2, 0
.LBB23_2352:
	s_delay_alu instid0(SALU_CYCLE_1)
	s_and_not1_b32 vcc_lo, exec_lo, s2
	s_cbranch_vccnz .LBB23_2358
; %bb.2353:
	v_cmp_lt_i16_e32 vcc_lo, 0, v13
	s_mov_b32 s2, 0
	s_cbranch_vccz .LBB23_2355
; %bb.2354:
	global_load_i8 v9, v[15:16], off
	s_waitcnt vmcnt(0)
	v_cvt_f64_i32_e32 v[11:12], v9
	s_branch .LBB23_2356
.LBB23_2355:
	s_mov_b32 s2, -1
                                        ; implicit-def: $vgpr11_vgpr12
.LBB23_2356:
	s_delay_alu instid0(SALU_CYCLE_1)
	s_and_not1_b32 vcc_lo, exec_lo, s2
	s_cbranch_vccnz .LBB23_2358
; %bb.2357:
	global_load_u8 v9, v[15:16], off
	s_waitcnt vmcnt(0)
	v_cvt_f64_u32_e32 v[11:12], v9
.LBB23_2358:
	s_mov_b32 s2, -1
.LBB23_2359:
	s_delay_alu instid0(SALU_CYCLE_1)
	s_and_not1_b32 vcc_lo, exec_lo, s2
	s_cbranch_vccnz .LBB23_3218
; %bb.2360:
	v_cmp_lt_i16_e64 s2, s12, 11
	v_add_co_u32 v8, s3, s0, v8
	s_delay_alu instid0(VALU_DEP_1) | instskip(NEXT) | instid1(VALU_DEP_3)
	v_add_co_ci_u32_e64 v9, null, s1, 0, s3
	s_and_b32 vcc_lo, exec_lo, s2
	s_mov_b32 s2, 0
	s_cbranch_vccnz .LBB23_2367
; %bb.2361:
	v_cmp_gt_i16_e64 s2, s12, 25
	s_mov_b32 s14, 0
	s_delay_alu instid0(VALU_DEP_1)
	s_and_b32 vcc_lo, exec_lo, s2
	s_cbranch_vccz .LBB23_2368
; %bb.2362:
	v_cmp_gt_i16_e64 s2, s12, 28
	s_delay_alu instid0(VALU_DEP_1)
	s_and_b32 vcc_lo, exec_lo, s2
	s_cbranch_vccz .LBB23_2369
; %bb.2363:
	v_cmp_gt_i16_e64 s2, s12, 43
	;; [unrolled: 5-line block ×3, first 2 shown]
	s_delay_alu instid0(VALU_DEP_1)
	s_and_b32 vcc_lo, exec_lo, s2
	s_cbranch_vccz .LBB23_2373
; %bb.2365:
	v_cmp_eq_u16_e64 s2, s12, 46
	s_mov_b32 s3, 0
	s_delay_alu instid0(VALU_DEP_1)
	s_and_b32 vcc_lo, exec_lo, s2
	s_cbranch_vccz .LBB23_2378
; %bb.2366:
	global_load_b32 v15, v[8:9], off
	s_mov_b32 s13, 0
	s_mov_b32 s2, -1
	s_waitcnt vmcnt(0)
	v_lshlrev_b32_e32 v15, 16, v15
	s_delay_alu instid0(VALU_DEP_1)
	v_cvt_f64_f32_e32 v[15:16], v15
	s_branch .LBB23_2380
.LBB23_2367:
	s_mov_b32 s3, -1
                                        ; implicit-def: $vgpr15_vgpr16
	s_branch .LBB23_2446
.LBB23_2368:
	s_mov_b32 s3, -1
	s_mov_b32 s2, 0
	s_mov_b32 s13, 0
                                        ; implicit-def: $vgpr15_vgpr16
	s_branch .LBB23_2411
.LBB23_2369:
	s_mov_b32 s3, -1
	s_mov_b32 s2, 0
	s_mov_b32 s13, 0
                                        ; implicit-def: $vgpr15_vgpr16
	s_branch .LBB23_2390
.LBB23_2370:
	s_mov_b32 s3, -1
	s_mov_b32 s2, 0
	s_mov_b32 s13, 0
                                        ; implicit-def: $vgpr15_vgpr16
	s_branch .LBB23_2385
.LBB23_2371:
	s_cbranch_execnz .LBB23_2374
; %bb.2372:
	s_or_b32 s10, s10, exec_lo
                                        ; implicit-def: $vgpr11_vgpr12
	s_cbranch_execz .LBB23_2308
	s_branch .LBB23_2309
.LBB23_2373:
	s_mov_b32 s3, -1
	s_mov_b32 s2, 0
	s_mov_b32 s13, 0
	s_branch .LBB23_2379
.LBB23_2374:
	s_trap 2
	s_sendmsg_rtn_b32 s0, sendmsg(MSG_RTN_GET_DOORBELL)
	s_mov_b32 ttmp2, m0
	s_waitcnt lgkmcnt(0)
	s_and_b32 s0, s0, 0x3ff
	s_delay_alu instid0(SALU_CYCLE_1) | instskip(NEXT) | instid1(SALU_CYCLE_1)
	s_bitset1_b32 s0, 10
	s_mov_b32 m0, s0
	s_sendmsg sendmsg(MSG_INTERRUPT)
	s_mov_b32 m0, ttmp2
.LBB23_2375:                            ; =>This Inner Loop Header: Depth=1
	s_sethalt 5
	s_branch .LBB23_2375
.LBB23_2376:
	s_or_saveexec_b32 s46, s46
                                        ; implicit-def: $sgpr47
	s_delay_alu instid0(SALU_CYCLE_1)
	s_xor_b32 exec_lo, exec_lo, s46
	s_cbranch_execz .LBB23_1209
.LBB23_2377:
	v_add_f32_e64 v3, 0x42800000, |v2|
	s_and_not1_b32 s45, s45, exec_lo
	s_mov_b32 s47, 0
	s_delay_alu instid0(VALU_DEP_1) | instskip(NEXT) | instid1(VALU_DEP_1)
	v_and_b32_e32 v3, 0xff, v3
	v_cmp_ne_u32_e32 vcc_lo, 0, v3
	s_and_b32 s48, vcc_lo, exec_lo
	s_delay_alu instid0(SALU_CYCLE_1)
	s_or_b32 s45, s45, s48
	s_or_b32 exec_lo, exec_lo, s46
	v_mov_b32_e32 v7, s47
	s_and_saveexec_b32 s46, s45
	s_cbranch_execnz .LBB23_1210
	s_branch .LBB23_1211
.LBB23_2378:
	s_mov_b32 s13, -1
	s_mov_b32 s2, 0
.LBB23_2379:
                                        ; implicit-def: $vgpr15_vgpr16
.LBB23_2380:
	s_and_b32 vcc_lo, exec_lo, s3
	s_cbranch_vccz .LBB23_2384
; %bb.2381:
	v_cmp_eq_u16_e64 s3, s12, 44
	s_delay_alu instid0(VALU_DEP_1)
	s_and_b32 vcc_lo, exec_lo, s3
	s_cbranch_vccz .LBB23_2383
; %bb.2382:
	global_load_u8 v17, v[8:9], off
	s_mov_b32 s13, 0
	s_mov_b32 s2, -1
	s_waitcnt vmcnt(0)
	v_cmp_ne_u32_e32 vcc_lo, 0xff, v17
	v_lshlrev_b32_e32 v15, 23, v17
	s_delay_alu instid0(VALU_DEP_1) | instskip(NEXT) | instid1(VALU_DEP_1)
	v_cvt_f64_f32_e32 v[15:16], v15
	v_cndmask_b32_e32 v16, 0x7ff80000, v16, vcc_lo
	s_delay_alu instid0(VALU_DEP_2) | instskip(SKIP_1) | instid1(VALU_DEP_3)
	v_cndmask_b32_e32 v15, 0x20000000, v15, vcc_lo
	v_cmp_ne_u32_e32 vcc_lo, 0, v17
	v_cndmask_b32_e32 v16, 0x38000000, v16, vcc_lo
	s_delay_alu instid0(VALU_DEP_3)
	v_cndmask_b32_e32 v15, 0, v15, vcc_lo
	s_branch .LBB23_2384
.LBB23_2383:
	s_mov_b32 s13, -1
                                        ; implicit-def: $vgpr15_vgpr16
.LBB23_2384:
	s_mov_b32 s3, 0
.LBB23_2385:
	s_delay_alu instid0(SALU_CYCLE_1)
	s_and_b32 vcc_lo, exec_lo, s3
	s_cbranch_vccz .LBB23_2389
; %bb.2386:
	v_cmp_eq_u16_e64 s3, s12, 29
	s_delay_alu instid0(VALU_DEP_1)
	s_and_b32 vcc_lo, exec_lo, s3
	s_cbranch_vccz .LBB23_2388
; %bb.2387:
	global_load_b64 v[15:16], v[8:9], off
	s_mov_b32 s13, 0
	s_mov_b32 s2, -1
	s_mov_b32 s3, 0
	s_waitcnt vmcnt(0)
	v_cvt_f64_u32_e32 v[16:17], v16
	v_cvt_f64_u32_e32 v[18:19], v15
	s_delay_alu instid0(VALU_DEP_2) | instskip(NEXT) | instid1(VALU_DEP_1)
	v_ldexp_f64 v[16:17], v[16:17], 32
	v_add_f64 v[15:16], v[16:17], v[18:19]
	s_branch .LBB23_2390
.LBB23_2388:
	s_mov_b32 s13, -1
                                        ; implicit-def: $vgpr15_vgpr16
.LBB23_2389:
	s_mov_b32 s3, 0
.LBB23_2390:
	s_delay_alu instid0(SALU_CYCLE_1)
	s_and_b32 vcc_lo, exec_lo, s3
	s_cbranch_vccz .LBB23_2410
; %bb.2391:
	v_cmp_lt_i16_e64 s2, s12, 27
	s_delay_alu instid0(VALU_DEP_1)
	s_and_b32 vcc_lo, exec_lo, s2
	s_cbranch_vccnz .LBB23_2394
; %bb.2392:
	v_cmp_gt_i16_e64 s2, s12, 27
	s_delay_alu instid0(VALU_DEP_1)
	s_and_b32 vcc_lo, exec_lo, s2
	s_cbranch_vccz .LBB23_2395
; %bb.2393:
	global_load_b32 v15, v[8:9], off
	s_mov_b32 s2, 0
	s_waitcnt vmcnt(0)
	v_cvt_f64_u32_e32 v[15:16], v15
	s_branch .LBB23_2396
.LBB23_2394:
	s_mov_b32 s2, -1
                                        ; implicit-def: $vgpr15_vgpr16
	s_branch .LBB23_2399
.LBB23_2395:
	s_mov_b32 s2, -1
                                        ; implicit-def: $vgpr15_vgpr16
.LBB23_2396:
	s_delay_alu instid0(SALU_CYCLE_1)
	s_and_not1_b32 vcc_lo, exec_lo, s2
	s_cbranch_vccnz .LBB23_2398
; %bb.2397:
	global_load_u16 v15, v[8:9], off
	s_waitcnt vmcnt(0)
	v_cvt_f64_u32_e32 v[15:16], v15
.LBB23_2398:
	s_mov_b32 s2, 0
.LBB23_2399:
	s_delay_alu instid0(SALU_CYCLE_1)
	s_and_not1_b32 vcc_lo, exec_lo, s2
	s_cbranch_vccnz .LBB23_2409
; %bb.2400:
	global_load_u8 v17, v[8:9], off
	s_mov_b32 s15, 0
	s_mov_b32 s16, exec_lo
                                        ; implicit-def: $sgpr2_sgpr3
	s_waitcnt vmcnt(0)
	v_cmpx_lt_i16_e32 0x7f, v17
	s_xor_b32 s16, exec_lo, s16
	s_cbranch_execz .LBB23_2404
; %bb.2401:
	s_mov_b32 s17, -1
	s_mov_b32 s15, exec_lo
                                        ; implicit-def: $sgpr2_sgpr3
	v_cmpx_eq_u16_e32 0x80, v17
; %bb.2402:
	s_mov_b32 s3, 0x7ff80000
	s_brev_b32 s2, 4
	s_xor_b32 s17, exec_lo, -1
; %bb.2403:
	s_or_b32 exec_lo, exec_lo, s15
	s_delay_alu instid0(SALU_CYCLE_1)
	s_and_b32 s15, s17, exec_lo
.LBB23_2404:
	s_or_saveexec_b32 s16, s16
	v_dual_mov_b32 v16, s3 :: v_dual_mov_b32 v15, s2
	s_xor_b32 exec_lo, exec_lo, s16
; %bb.2405:
	v_cmp_ne_u16_e32 vcc_lo, 0, v17
	v_mov_b32_e32 v15, 0
	v_mov_b32_e32 v16, 0
	s_and_not1_b32 s2, s15, exec_lo
	s_and_b32 s3, vcc_lo, exec_lo
	s_delay_alu instid0(SALU_CYCLE_1)
	s_or_b32 s15, s2, s3
; %bb.2406:
	s_or_b32 exec_lo, exec_lo, s16
	s_and_saveexec_b32 s2, s15
	s_cbranch_execz .LBB23_2408
; %bb.2407:
	v_and_b32_e32 v15, 0xffff, v17
	v_lshlrev_b32_e32 v17, 24, v17
	s_delay_alu instid0(VALU_DEP_2) | instskip(NEXT) | instid1(VALU_DEP_2)
	v_and_b32_e32 v16, 7, v15
	v_and_b32_e32 v17, 0x80000000, v17
	s_delay_alu instid0(VALU_DEP_2) | instskip(NEXT) | instid1(VALU_DEP_1)
	v_clz_i32_u32_e32 v18, v16
	v_min_u32_e32 v18, 32, v18
	s_delay_alu instid0(VALU_DEP_1) | instskip(SKIP_1) | instid1(VALU_DEP_2)
	v_subrev_nc_u32_e32 v19, 28, v18
	v_sub_nc_u32_e32 v18, 29, v18
	v_lshlrev_b32_e32 v19, v19, v15
	v_bfe_u32 v15, v15, 3, 4
	s_delay_alu instid0(VALU_DEP_2) | instskip(NEXT) | instid1(VALU_DEP_2)
	v_and_b32_e32 v19, 7, v19
	v_cmp_eq_u32_e32 vcc_lo, 0, v15
	s_delay_alu instid0(VALU_DEP_2) | instskip(NEXT) | instid1(VALU_DEP_1)
	v_dual_cndmask_b32 v15, v15, v18 :: v_dual_cndmask_b32 v16, v16, v19
	v_lshl_add_u32 v15, v15, 23, 0x3b800000
	s_delay_alu instid0(VALU_DEP_2) | instskip(NEXT) | instid1(VALU_DEP_1)
	v_lshlrev_b32_e32 v16, 20, v16
	v_or3_b32 v15, v17, v15, v16
	s_delay_alu instid0(VALU_DEP_1)
	v_cvt_f64_f32_e32 v[15:16], v15
.LBB23_2408:
	s_or_b32 exec_lo, exec_lo, s2
.LBB23_2409:
	s_mov_b32 s2, -1
.LBB23_2410:
	s_mov_b32 s3, 0
.LBB23_2411:
	s_delay_alu instid0(SALU_CYCLE_1)
	s_and_b32 vcc_lo, exec_lo, s3
	s_cbranch_vccz .LBB23_2442
; %bb.2412:
	v_cmp_gt_i16_e64 s3, s12, 22
	s_delay_alu instid0(VALU_DEP_1)
	s_and_b32 vcc_lo, exec_lo, s3
	s_cbranch_vccz .LBB23_2424
; %bb.2413:
	v_cmp_lt_i16_e64 s2, s12, 24
	s_delay_alu instid0(VALU_DEP_1)
	s_and_b32 vcc_lo, exec_lo, s2
	s_cbranch_vccnz .LBB23_2425
; %bb.2414:
	v_cmp_gt_i16_e64 s2, s12, 24
	s_delay_alu instid0(VALU_DEP_1)
	s_and_b32 vcc_lo, exec_lo, s2
	s_cbranch_vccz .LBB23_2426
; %bb.2415:
	global_load_u8 v17, v[8:9], off
	s_mov_b32 s15, exec_lo
                                        ; implicit-def: $sgpr2_sgpr3
	s_waitcnt vmcnt(0)
	v_cmpx_lt_i16_e32 0x7f, v17
	s_xor_b32 s15, exec_lo, s15
	s_cbranch_execz .LBB23_2419
; %bb.2416:
	s_mov_b32 s16, -1
	s_mov_b32 s14, exec_lo
                                        ; implicit-def: $sgpr2_sgpr3
	v_cmpx_eq_u16_e32 0x80, v17
; %bb.2417:
	s_mov_b32 s3, 0x7ff80000
	s_brev_b32 s2, 4
	s_xor_b32 s16, exec_lo, -1
; %bb.2418:
	s_or_b32 exec_lo, exec_lo, s14
	s_delay_alu instid0(SALU_CYCLE_1)
	s_and_b32 s14, s16, exec_lo
.LBB23_2419:
	s_or_saveexec_b32 s15, s15
	v_dual_mov_b32 v16, s3 :: v_dual_mov_b32 v15, s2
	s_xor_b32 exec_lo, exec_lo, s15
; %bb.2420:
	v_cmp_ne_u16_e32 vcc_lo, 0, v17
	v_mov_b32_e32 v15, 0
	v_mov_b32_e32 v16, 0
	s_and_not1_b32 s2, s14, exec_lo
	s_and_b32 s3, vcc_lo, exec_lo
	s_delay_alu instid0(SALU_CYCLE_1)
	s_or_b32 s14, s2, s3
; %bb.2421:
	s_or_b32 exec_lo, exec_lo, s15
	s_and_saveexec_b32 s2, s14
	s_cbranch_execz .LBB23_2423
; %bb.2422:
	v_and_b32_e32 v15, 0xffff, v17
	v_lshlrev_b32_e32 v17, 24, v17
	s_delay_alu instid0(VALU_DEP_2) | instskip(NEXT) | instid1(VALU_DEP_2)
	v_and_b32_e32 v16, 3, v15
	v_and_b32_e32 v17, 0x80000000, v17
	s_delay_alu instid0(VALU_DEP_2) | instskip(NEXT) | instid1(VALU_DEP_1)
	v_clz_i32_u32_e32 v18, v16
	v_min_u32_e32 v18, 32, v18
	s_delay_alu instid0(VALU_DEP_1) | instskip(SKIP_1) | instid1(VALU_DEP_2)
	v_subrev_nc_u32_e32 v19, 29, v18
	v_sub_nc_u32_e32 v18, 30, v18
	v_lshlrev_b32_e32 v19, v19, v15
	v_bfe_u32 v15, v15, 2, 5
	s_delay_alu instid0(VALU_DEP_2) | instskip(NEXT) | instid1(VALU_DEP_2)
	v_and_b32_e32 v19, 3, v19
	v_cmp_eq_u32_e32 vcc_lo, 0, v15
	s_delay_alu instid0(VALU_DEP_2) | instskip(NEXT) | instid1(VALU_DEP_1)
	v_dual_cndmask_b32 v15, v15, v18 :: v_dual_cndmask_b32 v16, v16, v19
	v_lshl_add_u32 v15, v15, 23, 0x37800000
	s_delay_alu instid0(VALU_DEP_2) | instskip(NEXT) | instid1(VALU_DEP_1)
	v_lshlrev_b32_e32 v16, 21, v16
	v_or3_b32 v15, v17, v15, v16
	s_delay_alu instid0(VALU_DEP_1)
	v_cvt_f64_f32_e32 v[15:16], v15
.LBB23_2423:
	s_or_b32 exec_lo, exec_lo, s2
	s_mov_b32 s2, 0
	s_branch .LBB23_2427
.LBB23_2424:
	s_mov_b32 s3, -1
                                        ; implicit-def: $vgpr15_vgpr16
	s_branch .LBB23_2433
.LBB23_2425:
	s_mov_b32 s2, -1
                                        ; implicit-def: $vgpr15_vgpr16
	s_branch .LBB23_2430
.LBB23_2426:
	s_mov_b32 s2, -1
                                        ; implicit-def: $vgpr15_vgpr16
.LBB23_2427:
	s_delay_alu instid0(SALU_CYCLE_1)
	s_and_b32 vcc_lo, exec_lo, s2
	s_cbranch_vccz .LBB23_2429
; %bb.2428:
	global_load_u8 v15, v[8:9], off
	s_waitcnt vmcnt(0)
	v_lshlrev_b32_e32 v15, 24, v15
	s_delay_alu instid0(VALU_DEP_1) | instskip(NEXT) | instid1(VALU_DEP_1)
	v_and_b32_e32 v16, 0x7f000000, v15
	v_clz_i32_u32_e32 v17, v16
	v_add_nc_u32_e32 v19, 0x1000000, v16
	v_cmp_ne_u32_e32 vcc_lo, 0, v16
	s_delay_alu instid0(VALU_DEP_3) | instskip(NEXT) | instid1(VALU_DEP_1)
	v_min_u32_e32 v17, 32, v17
	v_sub_nc_u32_e64 v17, v17, 4 clamp
	s_delay_alu instid0(VALU_DEP_1) | instskip(SKIP_1) | instid1(VALU_DEP_2)
	v_lshlrev_b32_e32 v18, v17, v16
	v_lshlrev_b32_e32 v17, 23, v17
	v_lshrrev_b32_e32 v18, 4, v18
	s_delay_alu instid0(VALU_DEP_1) | instskip(SKIP_1) | instid1(VALU_DEP_2)
	v_sub_nc_u32_e32 v17, v18, v17
	v_ashrrev_i32_e32 v18, 8, v19
	v_add_nc_u32_e32 v17, 0x3c000000, v17
	s_delay_alu instid0(VALU_DEP_1) | instskip(NEXT) | instid1(VALU_DEP_1)
	v_and_or_b32 v17, 0x7f800000, v18, v17
	v_cndmask_b32_e32 v16, 0, v17, vcc_lo
	s_delay_alu instid0(VALU_DEP_1) | instskip(NEXT) | instid1(VALU_DEP_1)
	v_and_or_b32 v15, 0x80000000, v15, v16
	v_cvt_f64_f32_e32 v[15:16], v15
.LBB23_2429:
	s_mov_b32 s2, 0
.LBB23_2430:
	s_delay_alu instid0(SALU_CYCLE_1)
	s_and_not1_b32 vcc_lo, exec_lo, s2
	s_cbranch_vccnz .LBB23_2432
; %bb.2431:
	global_load_u8 v15, v[8:9], off
	s_waitcnt vmcnt(0)
	v_lshlrev_b32_e32 v16, 25, v15
	v_lshlrev_b16 v15, 8, v15
	s_delay_alu instid0(VALU_DEP_2) | instskip(NEXT) | instid1(VALU_DEP_2)
	v_lshrrev_b32_e32 v17, 4, v16
	v_and_or_b32 v18, 0x7f00, v15, 0.5
	v_bfe_i32 v15, v15, 0, 16
	s_delay_alu instid0(VALU_DEP_3) | instskip(NEXT) | instid1(VALU_DEP_1)
	v_or_b32_e32 v17, 0x70000000, v17
	v_dual_add_f32 v18, -0.5, v18 :: v_dual_mul_f32 v17, 0x7800000, v17
	v_cmp_gt_u32_e32 vcc_lo, 0x8000000, v16
	s_delay_alu instid0(VALU_DEP_2) | instskip(NEXT) | instid1(VALU_DEP_1)
	v_cndmask_b32_e32 v16, v17, v18, vcc_lo
	v_and_or_b32 v15, 0x80000000, v15, v16
	s_delay_alu instid0(VALU_DEP_1)
	v_cvt_f64_f32_e32 v[15:16], v15
.LBB23_2432:
	s_mov_b32 s3, 0
	s_mov_b32 s2, -1
.LBB23_2433:
	s_and_not1_b32 vcc_lo, exec_lo, s3
	s_mov_b32 s14, 0
	s_cbranch_vccnz .LBB23_2442
; %bb.2434:
	v_cmp_gt_i16_e64 s3, s12, 14
	s_delay_alu instid0(VALU_DEP_1)
	s_and_b32 vcc_lo, exec_lo, s3
	s_cbranch_vccz .LBB23_2437
; %bb.2435:
	v_cmp_eq_u16_e64 s3, s12, 15
	s_delay_alu instid0(VALU_DEP_1)
	s_and_b32 vcc_lo, exec_lo, s3
	s_cbranch_vccz .LBB23_2438
; %bb.2436:
	global_load_u16 v15, v[8:9], off
	s_mov_b32 s13, 0
	s_mov_b32 s2, -1
	s_waitcnt vmcnt(0)
	v_lshlrev_b32_e32 v15, 16, v15
	s_delay_alu instid0(VALU_DEP_1)
	v_cvt_f64_f32_e32 v[15:16], v15
	s_branch .LBB23_2439
.LBB23_2437:
	s_mov_b32 s3, -1
                                        ; implicit-def: $vgpr15_vgpr16
	s_branch .LBB23_2440
.LBB23_2438:
	s_mov_b32 s13, -1
                                        ; implicit-def: $vgpr15_vgpr16
.LBB23_2439:
	s_mov_b32 s3, 0
.LBB23_2440:
	s_delay_alu instid0(SALU_CYCLE_1)
	s_and_b32 vcc_lo, exec_lo, s3
	s_cbranch_vccz .LBB23_2442
; %bb.2441:
	v_cmp_ne_u16_e64 s13, s12, 11
	s_mov_b32 s14, -1
                                        ; implicit-def: $vgpr15_vgpr16
.LBB23_2442:
	s_delay_alu instid0(VALU_DEP_1)
	s_and_b32 vcc_lo, exec_lo, s13
	s_cbranch_vccnz .LBB23_2519
; %bb.2443:
	s_and_not1_b32 vcc_lo, exec_lo, s14
	s_cbranch_vccnz .LBB23_2445
.LBB23_2444:
	global_load_u8 v15, v[8:9], off
	s_mov_b32 s2, -1
	s_waitcnt vmcnt(0)
	v_cmp_ne_u16_e32 vcc_lo, 0, v15
	v_mov_b32_e32 v15, 0
	v_cndmask_b32_e64 v16, 0, 0x3ff00000, vcc_lo
.LBB23_2445:
	s_mov_b32 s3, 0
.LBB23_2446:
	s_delay_alu instid0(SALU_CYCLE_1)
	s_and_b32 vcc_lo, exec_lo, s3
	s_cbranch_vccz .LBB23_2495
; %bb.2447:
	v_cmp_lt_i16_e64 s2, s12, 5
	s_delay_alu instid0(VALU_DEP_1)
	s_and_b32 vcc_lo, exec_lo, s2
	s_cbranch_vccnz .LBB23_2452
; %bb.2448:
	v_cmp_lt_i16_e64 s2, s12, 8
	s_delay_alu instid0(VALU_DEP_1)
	s_and_b32 vcc_lo, exec_lo, s2
	s_cbranch_vccnz .LBB23_2453
	;; [unrolled: 5-line block ×3, first 2 shown]
; %bb.2450:
	v_cmp_gt_i16_e64 s2, s12, 9
	s_delay_alu instid0(VALU_DEP_1)
	s_and_b32 vcc_lo, exec_lo, s2
	s_cbranch_vccz .LBB23_2455
; %bb.2451:
	global_load_b64 v[15:16], v[8:9], off
	s_mov_b32 s2, 0
	s_branch .LBB23_2456
.LBB23_2452:
	s_mov_b32 s2, -1
                                        ; implicit-def: $vgpr15_vgpr16
	s_branch .LBB23_2474
.LBB23_2453:
	s_mov_b32 s2, -1
                                        ; implicit-def: $vgpr15_vgpr16
	s_branch .LBB23_2462
.LBB23_2454:
	s_mov_b32 s2, -1
                                        ; implicit-def: $vgpr15_vgpr16
	s_branch .LBB23_2459
.LBB23_2455:
	s_mov_b32 s2, -1
                                        ; implicit-def: $vgpr15_vgpr16
.LBB23_2456:
	s_delay_alu instid0(SALU_CYCLE_1)
	s_and_not1_b32 vcc_lo, exec_lo, s2
	s_cbranch_vccnz .LBB23_2458
; %bb.2457:
	global_load_b32 v15, v[8:9], off
	s_waitcnt vmcnt(0)
	v_cvt_f64_f32_e32 v[15:16], v15
.LBB23_2458:
	s_mov_b32 s2, 0
.LBB23_2459:
	s_delay_alu instid0(SALU_CYCLE_1)
	s_and_not1_b32 vcc_lo, exec_lo, s2
	s_cbranch_vccnz .LBB23_2461
; %bb.2460:
	global_load_b32 v15, v[8:9], off
	s_waitcnt vmcnt(0)
	v_cvt_f32_f16_e32 v15, v15
	s_delay_alu instid0(VALU_DEP_1)
	v_cvt_f64_f32_e32 v[15:16], v15
.LBB23_2461:
	s_mov_b32 s2, 0
.LBB23_2462:
	s_delay_alu instid0(SALU_CYCLE_1)
	s_and_not1_b32 vcc_lo, exec_lo, s2
	s_cbranch_vccnz .LBB23_2473
; %bb.2463:
	v_cmp_lt_i16_e64 s2, s12, 6
	s_delay_alu instid0(VALU_DEP_1)
	s_and_b32 vcc_lo, exec_lo, s2
	s_cbranch_vccnz .LBB23_2466
; %bb.2464:
	v_cmp_gt_i16_e64 s2, s12, 6
	s_delay_alu instid0(VALU_DEP_1)
	s_and_b32 vcc_lo, exec_lo, s2
	s_cbranch_vccz .LBB23_2467
; %bb.2465:
	global_load_b64 v[15:16], v[8:9], off
	s_mov_b32 s2, 0
	s_branch .LBB23_2468
.LBB23_2466:
	s_mov_b32 s2, -1
                                        ; implicit-def: $vgpr15_vgpr16
	s_branch .LBB23_2471
.LBB23_2467:
	s_mov_b32 s2, -1
                                        ; implicit-def: $vgpr15_vgpr16
.LBB23_2468:
	s_delay_alu instid0(SALU_CYCLE_1)
	s_and_not1_b32 vcc_lo, exec_lo, s2
	s_cbranch_vccnz .LBB23_2470
; %bb.2469:
	global_load_b32 v15, v[8:9], off
	s_waitcnt vmcnt(0)
	v_cvt_f64_f32_e32 v[15:16], v15
.LBB23_2470:
	s_mov_b32 s2, 0
.LBB23_2471:
	s_delay_alu instid0(SALU_CYCLE_1)
	s_and_not1_b32 vcc_lo, exec_lo, s2
	s_cbranch_vccnz .LBB23_2473
; %bb.2472:
	global_load_u16 v15, v[8:9], off
	s_waitcnt vmcnt(0)
	v_cvt_f32_f16_e32 v15, v15
	s_delay_alu instid0(VALU_DEP_1)
	v_cvt_f64_f32_e32 v[15:16], v15
.LBB23_2473:
	s_mov_b32 s2, 0
.LBB23_2474:
	s_delay_alu instid0(SALU_CYCLE_1)
	s_and_not1_b32 vcc_lo, exec_lo, s2
	s_cbranch_vccnz .LBB23_2494
; %bb.2475:
	v_cmp_lt_i16_e64 s2, s12, 2
	s_delay_alu instid0(VALU_DEP_1)
	s_and_b32 vcc_lo, exec_lo, s2
	s_cbranch_vccnz .LBB23_2479
; %bb.2476:
	v_cmp_lt_i16_e64 s2, s12, 3
	s_delay_alu instid0(VALU_DEP_1)
	s_and_b32 vcc_lo, exec_lo, s2
	s_cbranch_vccnz .LBB23_2480
; %bb.2477:
	v_cmp_gt_i16_e64 s2, s12, 3
	s_delay_alu instid0(VALU_DEP_1)
	s_and_b32 vcc_lo, exec_lo, s2
	s_cbranch_vccz .LBB23_2481
; %bb.2478:
	global_load_b64 v[15:16], v[8:9], off
	s_mov_b32 s2, 0
	s_waitcnt vmcnt(0)
	v_cvt_f64_i32_e32 v[16:17], v16
	v_cvt_f64_u32_e32 v[18:19], v15
	s_delay_alu instid0(VALU_DEP_2) | instskip(NEXT) | instid1(VALU_DEP_1)
	v_ldexp_f64 v[16:17], v[16:17], 32
	v_add_f64 v[15:16], v[16:17], v[18:19]
	s_branch .LBB23_2482
.LBB23_2479:
	s_mov_b32 s2, -1
                                        ; implicit-def: $vgpr15_vgpr16
	s_branch .LBB23_2488
.LBB23_2480:
	s_mov_b32 s2, -1
                                        ; implicit-def: $vgpr15_vgpr16
	s_branch .LBB23_2485
.LBB23_2481:
	s_mov_b32 s2, -1
                                        ; implicit-def: $vgpr15_vgpr16
.LBB23_2482:
	s_delay_alu instid0(SALU_CYCLE_1)
	s_and_not1_b32 vcc_lo, exec_lo, s2
	s_cbranch_vccnz .LBB23_2484
; %bb.2483:
	global_load_b32 v15, v[8:9], off
	s_waitcnt vmcnt(0)
	v_cvt_f64_i32_e32 v[15:16], v15
.LBB23_2484:
	s_mov_b32 s2, 0
.LBB23_2485:
	s_delay_alu instid0(SALU_CYCLE_1)
	s_and_not1_b32 vcc_lo, exec_lo, s2
	s_cbranch_vccnz .LBB23_2487
; %bb.2486:
	global_load_i16 v15, v[8:9], off
	s_waitcnt vmcnt(0)
	v_cvt_f64_i32_e32 v[15:16], v15
.LBB23_2487:
	s_mov_b32 s2, 0
.LBB23_2488:
	s_delay_alu instid0(SALU_CYCLE_1)
	s_and_not1_b32 vcc_lo, exec_lo, s2
	s_cbranch_vccnz .LBB23_2494
; %bb.2489:
	v_cmp_gt_i16_e64 s2, s12, 0
	s_delay_alu instid0(VALU_DEP_1)
	s_and_b32 vcc_lo, exec_lo, s2
	s_mov_b32 s2, 0
	s_cbranch_vccz .LBB23_2491
; %bb.2490:
	global_load_i8 v15, v[8:9], off
	s_waitcnt vmcnt(0)
	v_cvt_f64_i32_e32 v[15:16], v15
	s_branch .LBB23_2492
.LBB23_2491:
	s_mov_b32 s2, -1
                                        ; implicit-def: $vgpr15_vgpr16
.LBB23_2492:
	s_delay_alu instid0(SALU_CYCLE_1)
	s_and_not1_b32 vcc_lo, exec_lo, s2
	s_cbranch_vccnz .LBB23_2494
; %bb.2493:
	global_load_u8 v8, v[8:9], off
	s_waitcnt vmcnt(0)
	v_cvt_f64_u32_e32 v[15:16], v8
.LBB23_2494:
	s_mov_b32 s2, -1
.LBB23_2495:
	s_delay_alu instid0(SALU_CYCLE_1)
	s_and_not1_b32 vcc_lo, exec_lo, s2
	s_cbranch_vccnz .LBB23_3218
; %bb.2496:
	s_waitcnt vmcnt(0)
	s_delay_alu instid0(VALU_DEP_1) | instskip(SKIP_2) | instid1(VALU_DEP_2)
	v_trunc_f64_e32 v[8:9], v[15:16]
	v_cmp_class_f64_e64 vcc_lo, v[15:16], 0x1f8
	s_mov_b32 s13, exec_lo
	v_ldexp_f64 v[17:18], v[8:9], 0xffffffe0
	s_delay_alu instid0(VALU_DEP_1) | instskip(NEXT) | instid1(VALU_DEP_1)
	v_floor_f64_e32 v[17:18], v[17:18]
	v_fma_f64 v[8:9], 0xc1f00000, v[17:18], v[8:9]
	v_cvt_i32_f64_e32 v17, v[17:18]
	s_delay_alu instid0(VALU_DEP_2) | instskip(NEXT) | instid1(VALU_DEP_1)
	v_cvt_u32_f64_e32 v8, v[8:9]
	v_dual_cndmask_b32 v16, -1, v17 :: v_dual_cndmask_b32 v15, -1, v8
	v_mov_b32_e32 v8, 0
	v_mov_b32_e32 v9, 0
	s_delay_alu instid0(VALU_DEP_3)
	v_cmpx_lt_i64_e32 -1, v[15:16]
	s_cbranch_execz .LBB23_2508
; %bb.2497:
	v_mov_b32_e32 v8, 0
	v_mov_b32_e32 v9, 0x3ff00000
	s_mov_b32 s14, exec_lo
	v_cmpx_lt_i64_e32 0, v[15:16]
	s_cbranch_execz .LBB23_2507
; %bb.2498:
                                        ; implicit-def: $vgpr8_vgpr9
	s_mov_b32 s2, exec_lo
	v_cmpx_ne_u64_e32 1, v[15:16]
	s_xor_b32 s15, exec_lo, s2
	s_cbranch_execz .LBB23_2504
; %bb.2499:
	v_mov_b32_e32 v8, 0
	v_mov_b32_e32 v9, 0x7ff80000
	s_mov_b32 s16, exec_lo
	v_cmpx_gt_u64_e32 0x201, v[15:16]
	s_cbranch_execz .LBB23_2503
; %bb.2500:
	v_add_f64 v[11:12], v[11:12], v[11:12]
	v_lshlrev_b64 v[15:16], 1, v[15:16]
	v_mov_b32_e32 v17, 0
	v_mov_b32_e32 v18, 0x3ff00000
	s_mov_b64 s[2:3], 2
	s_mov_b32 s17, 0
	s_delay_alu instid0(VALU_DEP_4)
	v_dual_mov_b32 v8, v11 :: v_dual_mov_b32 v9, v12
.LBB23_2501:                            ; =>This Inner Loop Header: Depth=1
	v_cvt_f64_u32_e32 v[19:20], s3
	v_cvt_f64_u32_e32 v[21:22], s2
	s_add_u32 s2, s2, 2
	s_addc_u32 s3, s3, 0
	s_delay_alu instid0(SALU_CYCLE_1) | instskip(SKIP_1) | instid1(VALU_DEP_3)
	v_cmp_ge_u64_e32 vcc_lo, s[2:3], v[15:16]
	s_or_b32 s17, vcc_lo, s17
	v_ldexp_f64 v[19:20], v[19:20], 32
	s_delay_alu instid0(VALU_DEP_1) | instskip(NEXT) | instid1(VALU_DEP_1)
	v_add_f64 v[19:20], v[19:20], v[21:22]
	v_mul_f64 v[17:18], v[17:18], v[19:20]
	v_dual_mov_b32 v20, v9 :: v_dual_mov_b32 v19, v8
	s_delay_alu instid0(VALU_DEP_1)
	v_fma_f64 v[8:9], v[11:12], v[19:20], -v[17:18]
	v_dual_mov_b32 v17, v19 :: v_dual_mov_b32 v18, v20
	s_and_not1_b32 exec_lo, exec_lo, s17
	s_cbranch_execnz .LBB23_2501
; %bb.2502:
	s_or_b32 exec_lo, exec_lo, s17
.LBB23_2503:
	s_delay_alu instid0(SALU_CYCLE_1)
	s_or_b32 exec_lo, exec_lo, s16
                                        ; implicit-def: $vgpr11_vgpr12
.LBB23_2504:
	s_and_not1_saveexec_b32 s2, s15
; %bb.2505:
	v_add_f64 v[8:9], v[11:12], v[11:12]
; %bb.2506:
	s_or_b32 exec_lo, exec_lo, s2
.LBB23_2507:
	s_delay_alu instid0(SALU_CYCLE_1)
	s_or_b32 exec_lo, exec_lo, s14
.LBB23_2508:
	s_delay_alu instid0(SALU_CYCLE_1) | instskip(SKIP_2) | instid1(VALU_DEP_1)
	s_or_b32 exec_lo, exec_lo, s13
	v_cmp_gt_i16_e32 vcc_lo, 11, v13
	v_add_co_u32 v11, s2, s6, v7
	v_add_co_ci_u32_e64 v12, null, s7, 0, s2
	s_mov_b32 s2, 0
	s_cbranch_vccnz .LBB23_2515
; %bb.2509:
	v_cmp_lt_i16_e32 vcc_lo, 25, v13
	s_mov_b32 s7, 0
	s_cbranch_vccz .LBB23_2516
; %bb.2510:
	v_cmp_lt_i16_e32 vcc_lo, 28, v13
	s_cbranch_vccz .LBB23_2517
; %bb.2511:
	v_cmp_lt_i16_e32 vcc_lo, 43, v13
	;; [unrolled: 3-line block ×3, first 2 shown]
	s_cbranch_vccz .LBB23_2521
; %bb.2513:
	v_cmp_eq_u16_e32 vcc_lo, 46, v13
	s_mov_b32 s3, 0
	s_cbranch_vccz .LBB23_2524
; %bb.2514:
	global_load_b32 v7, v[11:12], off
	s_mov_b32 s6, 0
	s_mov_b32 s2, -1
	s_waitcnt vmcnt(0)
	v_lshlrev_b32_e32 v7, 16, v7
	s_delay_alu instid0(VALU_DEP_1)
	v_cvt_f64_f32_e32 v[15:16], v7
	s_branch .LBB23_2526
.LBB23_2515:
	s_mov_b32 s3, -1
                                        ; implicit-def: $vgpr15_vgpr16
	s_branch .LBB23_2592
.LBB23_2516:
	s_mov_b32 s3, -1
	s_mov_b32 s6, 0
                                        ; implicit-def: $vgpr15_vgpr16
	s_branch .LBB23_2557
.LBB23_2517:
	s_mov_b32 s3, -1
	s_mov_b32 s6, 0
                                        ; implicit-def: $vgpr15_vgpr16
	s_branch .LBB23_2536
.LBB23_2518:
	s_mov_b32 s3, -1
	s_mov_b32 s6, 0
                                        ; implicit-def: $vgpr15_vgpr16
	s_branch .LBB23_2531
.LBB23_2519:
	s_cbranch_execnz .LBB23_2522
; %bb.2520:
	s_or_b32 s10, s10, exec_lo
                                        ; implicit-def: $vgpr15_vgpr16
	s_cbranch_execz .LBB23_2444
	s_branch .LBB23_2445
.LBB23_2521:
	s_mov_b32 s3, -1
	s_mov_b32 s6, 0
	s_branch .LBB23_2525
.LBB23_2522:
	s_trap 2
	s_sendmsg_rtn_b32 s0, sendmsg(MSG_RTN_GET_DOORBELL)
	s_mov_b32 ttmp2, m0
	s_waitcnt lgkmcnt(0)
	s_and_b32 s0, s0, 0x3ff
	s_delay_alu instid0(SALU_CYCLE_1) | instskip(NEXT) | instid1(SALU_CYCLE_1)
	s_bitset1_b32 s0, 10
	s_mov_b32 m0, s0
	s_sendmsg sendmsg(MSG_INTERRUPT)
	s_mov_b32 m0, ttmp2
.LBB23_2523:                            ; =>This Inner Loop Header: Depth=1
	s_sethalt 5
	s_branch .LBB23_2523
.LBB23_2524:
	s_mov_b32 s6, -1
.LBB23_2525:
                                        ; implicit-def: $vgpr15_vgpr16
.LBB23_2526:
	s_and_b32 vcc_lo, exec_lo, s3
	s_cbranch_vccz .LBB23_2530
; %bb.2527:
	v_cmp_eq_u16_e32 vcc_lo, 44, v13
	s_cbranch_vccz .LBB23_2529
; %bb.2528:
	global_load_u8 v7, v[11:12], off
	s_mov_b32 s6, 0
	s_mov_b32 s2, -1
	s_waitcnt vmcnt(0)
	v_cmp_ne_u32_e32 vcc_lo, 0xff, v7
	v_lshlrev_b32_e32 v15, 23, v7
	s_delay_alu instid0(VALU_DEP_1) | instskip(NEXT) | instid1(VALU_DEP_1)
	v_cvt_f64_f32_e32 v[15:16], v15
	v_cndmask_b32_e32 v16, 0x7ff80000, v16, vcc_lo
	s_delay_alu instid0(VALU_DEP_2) | instskip(SKIP_1) | instid1(VALU_DEP_3)
	v_cndmask_b32_e32 v15, 0x20000000, v15, vcc_lo
	v_cmp_ne_u32_e32 vcc_lo, 0, v7
	v_cndmask_b32_e32 v16, 0x38000000, v16, vcc_lo
	s_delay_alu instid0(VALU_DEP_3)
	v_cndmask_b32_e32 v15, 0, v15, vcc_lo
	s_branch .LBB23_2530
.LBB23_2529:
	s_mov_b32 s6, -1
                                        ; implicit-def: $vgpr15_vgpr16
.LBB23_2530:
	s_mov_b32 s3, 0
.LBB23_2531:
	s_delay_alu instid0(SALU_CYCLE_1)
	s_and_b32 vcc_lo, exec_lo, s3
	s_cbranch_vccz .LBB23_2535
; %bb.2532:
	v_cmp_eq_u16_e32 vcc_lo, 29, v13
	s_cbranch_vccz .LBB23_2534
; %bb.2533:
	global_load_b64 v[15:16], v[11:12], off
	s_mov_b32 s6, 0
	s_mov_b32 s2, -1
	s_mov_b32 s3, 0
	s_waitcnt vmcnt(0)
	v_cvt_f64_u32_e32 v[16:17], v16
	v_cvt_f64_u32_e32 v[18:19], v15
	s_delay_alu instid0(VALU_DEP_2) | instskip(NEXT) | instid1(VALU_DEP_1)
	v_ldexp_f64 v[16:17], v[16:17], 32
	v_add_f64 v[15:16], v[16:17], v[18:19]
	s_branch .LBB23_2536
.LBB23_2534:
	s_mov_b32 s6, -1
                                        ; implicit-def: $vgpr15_vgpr16
.LBB23_2535:
	s_mov_b32 s3, 0
.LBB23_2536:
	s_delay_alu instid0(SALU_CYCLE_1)
	s_and_b32 vcc_lo, exec_lo, s3
	s_cbranch_vccz .LBB23_2556
; %bb.2537:
	v_cmp_gt_i16_e32 vcc_lo, 27, v13
	s_cbranch_vccnz .LBB23_2540
; %bb.2538:
	v_cmp_lt_i16_e32 vcc_lo, 27, v13
	s_cbranch_vccz .LBB23_2541
; %bb.2539:
	global_load_b32 v7, v[11:12], off
	s_mov_b32 s2, 0
	s_waitcnt vmcnt(0)
	v_cvt_f64_u32_e32 v[15:16], v7
	s_branch .LBB23_2542
.LBB23_2540:
	s_mov_b32 s2, -1
                                        ; implicit-def: $vgpr15_vgpr16
	s_branch .LBB23_2545
.LBB23_2541:
	s_mov_b32 s2, -1
                                        ; implicit-def: $vgpr15_vgpr16
.LBB23_2542:
	s_delay_alu instid0(SALU_CYCLE_1)
	s_and_not1_b32 vcc_lo, exec_lo, s2
	s_cbranch_vccnz .LBB23_2544
; %bb.2543:
	global_load_u16 v7, v[11:12], off
	s_waitcnt vmcnt(0)
	v_cvt_f64_u32_e32 v[15:16], v7
.LBB23_2544:
	s_mov_b32 s2, 0
.LBB23_2545:
	s_delay_alu instid0(SALU_CYCLE_1)
	s_and_not1_b32 vcc_lo, exec_lo, s2
	s_cbranch_vccnz .LBB23_2555
; %bb.2546:
	global_load_u8 v7, v[11:12], off
	s_mov_b32 s13, 0
	s_mov_b32 s14, exec_lo
                                        ; implicit-def: $sgpr2_sgpr3
	s_waitcnt vmcnt(0)
	v_cmpx_lt_i16_e32 0x7f, v7
	s_xor_b32 s14, exec_lo, s14
	s_cbranch_execz .LBB23_2550
; %bb.2547:
	s_mov_b32 s15, -1
	s_mov_b32 s13, exec_lo
                                        ; implicit-def: $sgpr2_sgpr3
	v_cmpx_eq_u16_e32 0x80, v7
; %bb.2548:
	s_mov_b32 s3, 0x7ff80000
	s_brev_b32 s2, 4
	s_xor_b32 s15, exec_lo, -1
; %bb.2549:
	s_or_b32 exec_lo, exec_lo, s13
	s_delay_alu instid0(SALU_CYCLE_1)
	s_and_b32 s13, s15, exec_lo
.LBB23_2550:
	s_or_saveexec_b32 s14, s14
	v_dual_mov_b32 v16, s3 :: v_dual_mov_b32 v15, s2
	s_xor_b32 exec_lo, exec_lo, s14
; %bb.2551:
	v_cmp_ne_u16_e32 vcc_lo, 0, v7
	v_mov_b32_e32 v15, 0
	v_mov_b32_e32 v16, 0
	s_and_not1_b32 s2, s13, exec_lo
	s_and_b32 s3, vcc_lo, exec_lo
	s_delay_alu instid0(SALU_CYCLE_1)
	s_or_b32 s13, s2, s3
; %bb.2552:
	s_or_b32 exec_lo, exec_lo, s14
	s_and_saveexec_b32 s2, s13
	s_cbranch_execz .LBB23_2554
; %bb.2553:
	v_and_b32_e32 v15, 0xffff, v7
	v_lshlrev_b32_e32 v7, 24, v7
	s_delay_alu instid0(VALU_DEP_2) | instskip(NEXT) | instid1(VALU_DEP_2)
	v_and_b32_e32 v16, 7, v15
	v_and_b32_e32 v7, 0x80000000, v7
	s_delay_alu instid0(VALU_DEP_2) | instskip(NEXT) | instid1(VALU_DEP_1)
	v_clz_i32_u32_e32 v17, v16
	v_min_u32_e32 v17, 32, v17
	s_delay_alu instid0(VALU_DEP_1) | instskip(SKIP_1) | instid1(VALU_DEP_2)
	v_subrev_nc_u32_e32 v18, 28, v17
	v_sub_nc_u32_e32 v17, 29, v17
	v_lshlrev_b32_e32 v18, v18, v15
	v_bfe_u32 v15, v15, 3, 4
	s_delay_alu instid0(VALU_DEP_2) | instskip(NEXT) | instid1(VALU_DEP_2)
	v_and_b32_e32 v18, 7, v18
	v_cmp_eq_u32_e32 vcc_lo, 0, v15
	s_delay_alu instid0(VALU_DEP_2) | instskip(NEXT) | instid1(VALU_DEP_1)
	v_dual_cndmask_b32 v15, v15, v17 :: v_dual_cndmask_b32 v16, v16, v18
	v_lshl_add_u32 v15, v15, 23, 0x3b800000
	s_delay_alu instid0(VALU_DEP_2) | instskip(NEXT) | instid1(VALU_DEP_1)
	v_lshlrev_b32_e32 v16, 20, v16
	v_or3_b32 v7, v7, v15, v16
	s_delay_alu instid0(VALU_DEP_1)
	v_cvt_f64_f32_e32 v[15:16], v7
.LBB23_2554:
	s_or_b32 exec_lo, exec_lo, s2
.LBB23_2555:
	s_mov_b32 s2, -1
.LBB23_2556:
	s_mov_b32 s3, 0
.LBB23_2557:
	s_delay_alu instid0(SALU_CYCLE_1)
	s_and_b32 vcc_lo, exec_lo, s3
	s_cbranch_vccz .LBB23_2588
; %bb.2558:
	v_cmp_lt_i16_e32 vcc_lo, 22, v13
	s_cbranch_vccz .LBB23_2570
; %bb.2559:
	v_cmp_gt_i16_e32 vcc_lo, 24, v13
	s_cbranch_vccnz .LBB23_2571
; %bb.2560:
	v_cmp_lt_i16_e32 vcc_lo, 24, v13
	s_cbranch_vccz .LBB23_2572
; %bb.2561:
	global_load_u8 v7, v[11:12], off
	s_mov_b32 s13, exec_lo
                                        ; implicit-def: $sgpr2_sgpr3
	s_waitcnt vmcnt(0)
	v_cmpx_lt_i16_e32 0x7f, v7
	s_xor_b32 s13, exec_lo, s13
	s_cbranch_execz .LBB23_2565
; %bb.2562:
	s_mov_b32 s14, -1
	s_mov_b32 s7, exec_lo
                                        ; implicit-def: $sgpr2_sgpr3
	v_cmpx_eq_u16_e32 0x80, v7
; %bb.2563:
	s_mov_b32 s3, 0x7ff80000
	s_brev_b32 s2, 4
	s_xor_b32 s14, exec_lo, -1
; %bb.2564:
	s_or_b32 exec_lo, exec_lo, s7
	s_delay_alu instid0(SALU_CYCLE_1)
	s_and_b32 s7, s14, exec_lo
.LBB23_2565:
	s_or_saveexec_b32 s13, s13
	v_dual_mov_b32 v16, s3 :: v_dual_mov_b32 v15, s2
	s_xor_b32 exec_lo, exec_lo, s13
; %bb.2566:
	v_cmp_ne_u16_e32 vcc_lo, 0, v7
	v_mov_b32_e32 v15, 0
	v_mov_b32_e32 v16, 0
	s_and_not1_b32 s2, s7, exec_lo
	s_and_b32 s3, vcc_lo, exec_lo
	s_delay_alu instid0(SALU_CYCLE_1)
	s_or_b32 s7, s2, s3
; %bb.2567:
	s_or_b32 exec_lo, exec_lo, s13
	s_and_saveexec_b32 s2, s7
	s_cbranch_execz .LBB23_2569
; %bb.2568:
	v_and_b32_e32 v15, 0xffff, v7
	v_lshlrev_b32_e32 v7, 24, v7
	s_delay_alu instid0(VALU_DEP_2) | instskip(NEXT) | instid1(VALU_DEP_2)
	v_and_b32_e32 v16, 3, v15
	v_and_b32_e32 v7, 0x80000000, v7
	s_delay_alu instid0(VALU_DEP_2) | instskip(NEXT) | instid1(VALU_DEP_1)
	v_clz_i32_u32_e32 v17, v16
	v_min_u32_e32 v17, 32, v17
	s_delay_alu instid0(VALU_DEP_1) | instskip(SKIP_1) | instid1(VALU_DEP_2)
	v_subrev_nc_u32_e32 v18, 29, v17
	v_sub_nc_u32_e32 v17, 30, v17
	v_lshlrev_b32_e32 v18, v18, v15
	v_bfe_u32 v15, v15, 2, 5
	s_delay_alu instid0(VALU_DEP_2) | instskip(NEXT) | instid1(VALU_DEP_2)
	v_and_b32_e32 v18, 3, v18
	v_cmp_eq_u32_e32 vcc_lo, 0, v15
	s_delay_alu instid0(VALU_DEP_2) | instskip(NEXT) | instid1(VALU_DEP_1)
	v_dual_cndmask_b32 v15, v15, v17 :: v_dual_cndmask_b32 v16, v16, v18
	v_lshl_add_u32 v15, v15, 23, 0x37800000
	s_delay_alu instid0(VALU_DEP_2) | instskip(NEXT) | instid1(VALU_DEP_1)
	v_lshlrev_b32_e32 v16, 21, v16
	v_or3_b32 v7, v7, v15, v16
	s_delay_alu instid0(VALU_DEP_1)
	v_cvt_f64_f32_e32 v[15:16], v7
.LBB23_2569:
	s_or_b32 exec_lo, exec_lo, s2
	s_mov_b32 s2, 0
	s_branch .LBB23_2573
.LBB23_2570:
	s_mov_b32 s3, -1
                                        ; implicit-def: $vgpr15_vgpr16
	s_branch .LBB23_2579
.LBB23_2571:
	s_mov_b32 s2, -1
                                        ; implicit-def: $vgpr15_vgpr16
	s_branch .LBB23_2576
.LBB23_2572:
	s_mov_b32 s2, -1
                                        ; implicit-def: $vgpr15_vgpr16
.LBB23_2573:
	s_delay_alu instid0(SALU_CYCLE_1)
	s_and_b32 vcc_lo, exec_lo, s2
	s_cbranch_vccz .LBB23_2575
; %bb.2574:
	global_load_u8 v7, v[11:12], off
	s_waitcnt vmcnt(0)
	v_lshlrev_b32_e32 v7, 24, v7
	s_delay_alu instid0(VALU_DEP_1) | instskip(NEXT) | instid1(VALU_DEP_1)
	v_and_b32_e32 v15, 0x7f000000, v7
	v_clz_i32_u32_e32 v16, v15
	v_cmp_ne_u32_e32 vcc_lo, 0, v15
	v_add_nc_u32_e32 v18, 0x1000000, v15
	s_delay_alu instid0(VALU_DEP_3) | instskip(NEXT) | instid1(VALU_DEP_1)
	v_min_u32_e32 v16, 32, v16
	v_sub_nc_u32_e64 v16, v16, 4 clamp
	s_delay_alu instid0(VALU_DEP_1) | instskip(SKIP_1) | instid1(VALU_DEP_2)
	v_lshlrev_b32_e32 v17, v16, v15
	v_lshlrev_b32_e32 v16, 23, v16
	v_lshrrev_b32_e32 v17, 4, v17
	s_delay_alu instid0(VALU_DEP_1) | instskip(SKIP_1) | instid1(VALU_DEP_2)
	v_sub_nc_u32_e32 v16, v17, v16
	v_ashrrev_i32_e32 v17, 8, v18
	v_add_nc_u32_e32 v16, 0x3c000000, v16
	s_delay_alu instid0(VALU_DEP_1) | instskip(NEXT) | instid1(VALU_DEP_1)
	v_and_or_b32 v16, 0x7f800000, v17, v16
	v_cndmask_b32_e32 v15, 0, v16, vcc_lo
	s_delay_alu instid0(VALU_DEP_1) | instskip(NEXT) | instid1(VALU_DEP_1)
	v_and_or_b32 v7, 0x80000000, v7, v15
	v_cvt_f64_f32_e32 v[15:16], v7
.LBB23_2575:
	s_mov_b32 s2, 0
.LBB23_2576:
	s_delay_alu instid0(SALU_CYCLE_1)
	s_and_not1_b32 vcc_lo, exec_lo, s2
	s_cbranch_vccnz .LBB23_2578
; %bb.2577:
	global_load_u8 v7, v[11:12], off
	s_waitcnt vmcnt(0)
	v_lshlrev_b32_e32 v15, 25, v7
	v_lshlrev_b16 v7, 8, v7
	s_delay_alu instid0(VALU_DEP_2) | instskip(NEXT) | instid1(VALU_DEP_2)
	v_lshrrev_b32_e32 v16, 4, v15
	v_and_or_b32 v17, 0x7f00, v7, 0.5
	v_bfe_i32 v7, v7, 0, 16
	s_delay_alu instid0(VALU_DEP_3) | instskip(NEXT) | instid1(VALU_DEP_1)
	v_or_b32_e32 v16, 0x70000000, v16
	v_dual_add_f32 v17, -0.5, v17 :: v_dual_mul_f32 v16, 0x7800000, v16
	v_cmp_gt_u32_e32 vcc_lo, 0x8000000, v15
	s_delay_alu instid0(VALU_DEP_2) | instskip(NEXT) | instid1(VALU_DEP_1)
	v_cndmask_b32_e32 v15, v16, v17, vcc_lo
	v_and_or_b32 v7, 0x80000000, v7, v15
	s_delay_alu instid0(VALU_DEP_1)
	v_cvt_f64_f32_e32 v[15:16], v7
.LBB23_2578:
	s_mov_b32 s3, 0
	s_mov_b32 s2, -1
.LBB23_2579:
	s_and_not1_b32 vcc_lo, exec_lo, s3
	s_mov_b32 s7, 0
	s_cbranch_vccnz .LBB23_2588
; %bb.2580:
	v_cmp_lt_i16_e32 vcc_lo, 14, v13
	s_cbranch_vccz .LBB23_2583
; %bb.2581:
	v_cmp_eq_u16_e32 vcc_lo, 15, v13
	s_cbranch_vccz .LBB23_2584
; %bb.2582:
	global_load_u16 v7, v[11:12], off
	s_mov_b32 s6, 0
	s_mov_b32 s2, -1
	s_waitcnt vmcnt(0)
	v_lshlrev_b32_e32 v7, 16, v7
	s_delay_alu instid0(VALU_DEP_1)
	v_cvt_f64_f32_e32 v[15:16], v7
	s_branch .LBB23_2585
.LBB23_2583:
	s_mov_b32 s3, -1
                                        ; implicit-def: $vgpr15_vgpr16
	s_branch .LBB23_2586
.LBB23_2584:
	s_mov_b32 s6, -1
                                        ; implicit-def: $vgpr15_vgpr16
.LBB23_2585:
	s_mov_b32 s3, 0
.LBB23_2586:
	s_delay_alu instid0(SALU_CYCLE_1)
	s_and_b32 vcc_lo, exec_lo, s3
	s_cbranch_vccz .LBB23_2588
; %bb.2587:
	v_cmp_ne_u16_e64 s6, 11, v13
	s_mov_b32 s7, -1
                                        ; implicit-def: $vgpr15_vgpr16
.LBB23_2588:
	s_delay_alu instid0(VALU_DEP_1)
	s_and_b32 vcc_lo, exec_lo, s6
	s_cbranch_vccnz .LBB23_2653
; %bb.2589:
	s_and_not1_b32 vcc_lo, exec_lo, s7
	s_cbranch_vccnz .LBB23_2591
.LBB23_2590:
	global_load_u8 v7, v[11:12], off
	v_mov_b32_e32 v15, 0
	s_mov_b32 s2, -1
	s_waitcnt vmcnt(0)
	v_cmp_ne_u16_e32 vcc_lo, 0, v7
	v_cndmask_b32_e64 v16, 0, 0x3ff00000, vcc_lo
.LBB23_2591:
	s_mov_b32 s3, 0
.LBB23_2592:
	s_delay_alu instid0(SALU_CYCLE_1)
	s_and_b32 vcc_lo, exec_lo, s3
	s_cbranch_vccz .LBB23_2641
; %bb.2593:
	v_cmp_gt_i16_e32 vcc_lo, 5, v13
	s_cbranch_vccnz .LBB23_2598
; %bb.2594:
	v_cmp_gt_i16_e32 vcc_lo, 8, v13
	s_cbranch_vccnz .LBB23_2599
	;; [unrolled: 3-line block ×3, first 2 shown]
; %bb.2596:
	v_cmp_lt_i16_e32 vcc_lo, 9, v13
	s_cbranch_vccz .LBB23_2601
; %bb.2597:
	global_load_b64 v[15:16], v[11:12], off
	s_mov_b32 s2, 0
	s_branch .LBB23_2602
.LBB23_2598:
	s_mov_b32 s2, -1
                                        ; implicit-def: $vgpr15_vgpr16
	s_branch .LBB23_2620
.LBB23_2599:
	s_mov_b32 s2, -1
                                        ; implicit-def: $vgpr15_vgpr16
	s_branch .LBB23_2608
.LBB23_2600:
	s_mov_b32 s2, -1
                                        ; implicit-def: $vgpr15_vgpr16
	s_branch .LBB23_2605
.LBB23_2601:
	s_mov_b32 s2, -1
                                        ; implicit-def: $vgpr15_vgpr16
.LBB23_2602:
	s_delay_alu instid0(SALU_CYCLE_1)
	s_and_not1_b32 vcc_lo, exec_lo, s2
	s_cbranch_vccnz .LBB23_2604
; %bb.2603:
	global_load_b32 v7, v[11:12], off
	s_waitcnt vmcnt(0)
	v_cvt_f64_f32_e32 v[15:16], v7
.LBB23_2604:
	s_mov_b32 s2, 0
.LBB23_2605:
	s_delay_alu instid0(SALU_CYCLE_1)
	s_and_not1_b32 vcc_lo, exec_lo, s2
	s_cbranch_vccnz .LBB23_2607
; %bb.2606:
	global_load_b32 v7, v[11:12], off
	s_waitcnt vmcnt(0)
	v_cvt_f32_f16_e32 v7, v7
	s_delay_alu instid0(VALU_DEP_1)
	v_cvt_f64_f32_e32 v[15:16], v7
.LBB23_2607:
	s_mov_b32 s2, 0
.LBB23_2608:
	s_delay_alu instid0(SALU_CYCLE_1)
	s_and_not1_b32 vcc_lo, exec_lo, s2
	s_cbranch_vccnz .LBB23_2619
; %bb.2609:
	v_cmp_gt_i16_e32 vcc_lo, 6, v13
	s_cbranch_vccnz .LBB23_2612
; %bb.2610:
	v_cmp_lt_i16_e32 vcc_lo, 6, v13
	s_cbranch_vccz .LBB23_2613
; %bb.2611:
	global_load_b64 v[15:16], v[11:12], off
	s_mov_b32 s2, 0
	s_branch .LBB23_2614
.LBB23_2612:
	s_mov_b32 s2, -1
                                        ; implicit-def: $vgpr15_vgpr16
	s_branch .LBB23_2617
.LBB23_2613:
	s_mov_b32 s2, -1
                                        ; implicit-def: $vgpr15_vgpr16
.LBB23_2614:
	s_delay_alu instid0(SALU_CYCLE_1)
	s_and_not1_b32 vcc_lo, exec_lo, s2
	s_cbranch_vccnz .LBB23_2616
; %bb.2615:
	global_load_b32 v7, v[11:12], off
	s_waitcnt vmcnt(0)
	v_cvt_f64_f32_e32 v[15:16], v7
.LBB23_2616:
	s_mov_b32 s2, 0
.LBB23_2617:
	s_delay_alu instid0(SALU_CYCLE_1)
	s_and_not1_b32 vcc_lo, exec_lo, s2
	s_cbranch_vccnz .LBB23_2619
; %bb.2618:
	global_load_u16 v7, v[11:12], off
	s_waitcnt vmcnt(0)
	v_cvt_f32_f16_e32 v7, v7
	s_delay_alu instid0(VALU_DEP_1)
	v_cvt_f64_f32_e32 v[15:16], v7
.LBB23_2619:
	s_mov_b32 s2, 0
.LBB23_2620:
	s_delay_alu instid0(SALU_CYCLE_1)
	s_and_not1_b32 vcc_lo, exec_lo, s2
	s_cbranch_vccnz .LBB23_2640
; %bb.2621:
	v_cmp_gt_i16_e32 vcc_lo, 2, v13
	s_cbranch_vccnz .LBB23_2625
; %bb.2622:
	v_cmp_gt_i16_e32 vcc_lo, 3, v13
	s_cbranch_vccnz .LBB23_2626
; %bb.2623:
	v_cmp_lt_i16_e32 vcc_lo, 3, v13
	s_cbranch_vccz .LBB23_2627
; %bb.2624:
	global_load_b64 v[15:16], v[11:12], off
	s_mov_b32 s2, 0
	s_waitcnt vmcnt(0)
	v_cvt_f64_i32_e32 v[16:17], v16
	v_cvt_f64_u32_e32 v[18:19], v15
	s_delay_alu instid0(VALU_DEP_2) | instskip(NEXT) | instid1(VALU_DEP_1)
	v_ldexp_f64 v[16:17], v[16:17], 32
	v_add_f64 v[15:16], v[16:17], v[18:19]
	s_branch .LBB23_2628
.LBB23_2625:
	s_mov_b32 s2, -1
                                        ; implicit-def: $vgpr15_vgpr16
	s_branch .LBB23_2634
.LBB23_2626:
	s_mov_b32 s2, -1
                                        ; implicit-def: $vgpr15_vgpr16
	s_branch .LBB23_2631
.LBB23_2627:
	s_mov_b32 s2, -1
                                        ; implicit-def: $vgpr15_vgpr16
.LBB23_2628:
	s_delay_alu instid0(SALU_CYCLE_1)
	s_and_not1_b32 vcc_lo, exec_lo, s2
	s_cbranch_vccnz .LBB23_2630
; %bb.2629:
	global_load_b32 v7, v[11:12], off
	s_waitcnt vmcnt(0)
	v_cvt_f64_i32_e32 v[15:16], v7
.LBB23_2630:
	s_mov_b32 s2, 0
.LBB23_2631:
	s_delay_alu instid0(SALU_CYCLE_1)
	s_and_not1_b32 vcc_lo, exec_lo, s2
	s_cbranch_vccnz .LBB23_2633
; %bb.2632:
	global_load_i16 v7, v[11:12], off
	s_waitcnt vmcnt(0)
	v_cvt_f64_i32_e32 v[15:16], v7
.LBB23_2633:
	s_mov_b32 s2, 0
.LBB23_2634:
	s_delay_alu instid0(SALU_CYCLE_1)
	s_and_not1_b32 vcc_lo, exec_lo, s2
	s_cbranch_vccnz .LBB23_2640
; %bb.2635:
	v_cmp_lt_i16_e32 vcc_lo, 0, v13
	s_mov_b32 s2, 0
	s_cbranch_vccz .LBB23_2637
; %bb.2636:
	global_load_i8 v7, v[11:12], off
	s_waitcnt vmcnt(0)
	v_cvt_f64_i32_e32 v[15:16], v7
	s_branch .LBB23_2638
.LBB23_2637:
	s_mov_b32 s2, -1
                                        ; implicit-def: $vgpr15_vgpr16
.LBB23_2638:
	s_delay_alu instid0(SALU_CYCLE_1)
	s_and_not1_b32 vcc_lo, exec_lo, s2
	s_cbranch_vccnz .LBB23_2640
; %bb.2639:
	global_load_u8 v7, v[11:12], off
	s_waitcnt vmcnt(0)
	v_cvt_f64_u32_e32 v[15:16], v7
.LBB23_2640:
	s_mov_b32 s2, -1
.LBB23_2641:
	s_delay_alu instid0(SALU_CYCLE_1)
	s_and_not1_b32 vcc_lo, exec_lo, s2
	s_cbranch_vccnz .LBB23_3218
; %bb.2642:
	v_cmp_lt_i16_e64 s2, s12, 11
	v_add_co_u32 v11, s0, s0, v3
	s_delay_alu instid0(VALU_DEP_1) | instskip(NEXT) | instid1(VALU_DEP_3)
	v_add_co_ci_u32_e64 v12, null, s1, 0, s0
	s_and_b32 vcc_lo, exec_lo, s2
	s_mov_b32 s0, 0
	s_cbranch_vccnz .LBB23_2649
; %bb.2643:
	v_cmp_gt_i16_e64 s0, s12, 25
	s_mov_b32 s3, 0
	s_delay_alu instid0(VALU_DEP_1)
	s_and_b32 vcc_lo, exec_lo, s0
	s_cbranch_vccz .LBB23_2650
; %bb.2644:
	v_cmp_gt_i16_e64 s0, s12, 28
	s_delay_alu instid0(VALU_DEP_1)
	s_and_b32 vcc_lo, exec_lo, s0
	s_cbranch_vccz .LBB23_2651
; %bb.2645:
	v_cmp_gt_i16_e64 s0, s12, 43
	;; [unrolled: 5-line block ×3, first 2 shown]
	s_delay_alu instid0(VALU_DEP_1)
	s_and_b32 vcc_lo, exec_lo, s0
	s_cbranch_vccz .LBB23_2655
; %bb.2647:
	v_cmp_eq_u16_e64 s0, s12, 46
	s_mov_b32 s1, 0
	s_delay_alu instid0(VALU_DEP_1)
	s_and_b32 vcc_lo, exec_lo, s0
	s_cbranch_vccz .LBB23_2658
; %bb.2648:
	global_load_b32 v3, v[11:12], off
	s_mov_b32 s2, 0
	s_mov_b32 s0, -1
	s_waitcnt vmcnt(0)
	v_lshlrev_b32_e32 v3, 16, v3
	s_delay_alu instid0(VALU_DEP_1)
	v_cvt_f64_f32_e32 v[17:18], v3
	s_branch .LBB23_2660
.LBB23_2649:
	s_mov_b32 s1, -1
                                        ; implicit-def: $vgpr17_vgpr18
	s_branch .LBB23_2726
.LBB23_2650:
	s_mov_b32 s1, -1
	s_mov_b32 s0, 0
	s_mov_b32 s2, 0
                                        ; implicit-def: $vgpr17_vgpr18
	s_branch .LBB23_2691
.LBB23_2651:
	s_mov_b32 s1, -1
	s_mov_b32 s0, 0
	s_mov_b32 s2, 0
                                        ; implicit-def: $vgpr17_vgpr18
	s_branch .LBB23_2670
.LBB23_2652:
	s_mov_b32 s1, -1
	s_mov_b32 s0, 0
	s_mov_b32 s2, 0
                                        ; implicit-def: $vgpr17_vgpr18
	s_branch .LBB23_2665
.LBB23_2653:
	s_cbranch_execnz .LBB23_2656
; %bb.2654:
	s_or_b32 s10, s10, exec_lo
                                        ; implicit-def: $vgpr15_vgpr16
	s_cbranch_execz .LBB23_2590
	s_branch .LBB23_2591
.LBB23_2655:
	s_mov_b32 s1, -1
	s_mov_b32 s0, 0
	s_mov_b32 s2, 0
	s_branch .LBB23_2659
.LBB23_2656:
	s_trap 2
	s_sendmsg_rtn_b32 s0, sendmsg(MSG_RTN_GET_DOORBELL)
	s_mov_b32 ttmp2, m0
	s_waitcnt lgkmcnt(0)
	s_and_b32 s0, s0, 0x3ff
	s_delay_alu instid0(SALU_CYCLE_1) | instskip(NEXT) | instid1(SALU_CYCLE_1)
	s_bitset1_b32 s0, 10
	s_mov_b32 m0, s0
	s_sendmsg sendmsg(MSG_INTERRUPT)
	s_mov_b32 m0, ttmp2
.LBB23_2657:                            ; =>This Inner Loop Header: Depth=1
	s_sethalt 5
	s_branch .LBB23_2657
.LBB23_2658:
	s_mov_b32 s2, -1
	s_mov_b32 s0, 0
.LBB23_2659:
                                        ; implicit-def: $vgpr17_vgpr18
.LBB23_2660:
	s_and_b32 vcc_lo, exec_lo, s1
	s_cbranch_vccz .LBB23_2664
; %bb.2661:
	v_cmp_eq_u16_e64 s1, s12, 44
	s_delay_alu instid0(VALU_DEP_1)
	s_and_b32 vcc_lo, exec_lo, s1
	s_cbranch_vccz .LBB23_2663
; %bb.2662:
	global_load_u8 v3, v[11:12], off
	s_mov_b32 s2, 0
	s_mov_b32 s0, -1
	s_waitcnt vmcnt(0)
	v_lshlrev_b32_e32 v7, 23, v3
	v_cmp_ne_u32_e32 vcc_lo, 0xff, v3
	s_delay_alu instid0(VALU_DEP_2) | instskip(NEXT) | instid1(VALU_DEP_1)
	v_cvt_f64_f32_e32 v[17:18], v7
	v_cndmask_b32_e32 v7, 0x20000000, v17, vcc_lo
	s_delay_alu instid0(VALU_DEP_2) | instskip(SKIP_1) | instid1(VALU_DEP_2)
	v_cndmask_b32_e32 v13, 0x7ff80000, v18, vcc_lo
	v_cmp_ne_u32_e32 vcc_lo, 0, v3
	v_cndmask_b32_e32 v18, 0x38000000, v13, vcc_lo
	s_delay_alu instid0(VALU_DEP_4)
	v_cndmask_b32_e32 v17, 0, v7, vcc_lo
	s_branch .LBB23_2664
.LBB23_2663:
	s_mov_b32 s2, -1
                                        ; implicit-def: $vgpr17_vgpr18
.LBB23_2664:
	s_mov_b32 s1, 0
.LBB23_2665:
	s_delay_alu instid0(SALU_CYCLE_1)
	s_and_b32 vcc_lo, exec_lo, s1
	s_cbranch_vccz .LBB23_2669
; %bb.2666:
	v_cmp_eq_u16_e64 s1, s12, 29
	s_delay_alu instid0(VALU_DEP_1)
	s_and_b32 vcc_lo, exec_lo, s1
	s_cbranch_vccz .LBB23_2668
; %bb.2667:
	global_load_b64 v[17:18], v[11:12], off
	s_mov_b32 s2, 0
	s_mov_b32 s0, -1
	s_mov_b32 s1, 0
	s_waitcnt vmcnt(0)
	v_cvt_f64_u32_e32 v[18:19], v18
	v_cvt_f64_u32_e32 v[20:21], v17
	s_delay_alu instid0(VALU_DEP_2) | instskip(NEXT) | instid1(VALU_DEP_1)
	v_ldexp_f64 v[18:19], v[18:19], 32
	v_add_f64 v[17:18], v[18:19], v[20:21]
	s_branch .LBB23_2670
.LBB23_2668:
	s_mov_b32 s2, -1
                                        ; implicit-def: $vgpr17_vgpr18
.LBB23_2669:
	s_mov_b32 s1, 0
.LBB23_2670:
	s_delay_alu instid0(SALU_CYCLE_1)
	s_and_b32 vcc_lo, exec_lo, s1
	s_cbranch_vccz .LBB23_2690
; %bb.2671:
	v_cmp_lt_i16_e64 s0, s12, 27
	s_delay_alu instid0(VALU_DEP_1)
	s_and_b32 vcc_lo, exec_lo, s0
	s_cbranch_vccnz .LBB23_2674
; %bb.2672:
	v_cmp_gt_i16_e64 s0, s12, 27
	s_delay_alu instid0(VALU_DEP_1)
	s_and_b32 vcc_lo, exec_lo, s0
	s_cbranch_vccz .LBB23_2675
; %bb.2673:
	global_load_b32 v3, v[11:12], off
	s_mov_b32 s0, 0
	s_waitcnt vmcnt(0)
	v_cvt_f64_u32_e32 v[17:18], v3
	s_branch .LBB23_2676
.LBB23_2674:
	s_mov_b32 s0, -1
                                        ; implicit-def: $vgpr17_vgpr18
	s_branch .LBB23_2679
.LBB23_2675:
	s_mov_b32 s0, -1
                                        ; implicit-def: $vgpr17_vgpr18
.LBB23_2676:
	s_delay_alu instid0(SALU_CYCLE_1)
	s_and_not1_b32 vcc_lo, exec_lo, s0
	s_cbranch_vccnz .LBB23_2678
; %bb.2677:
	global_load_u16 v3, v[11:12], off
	s_waitcnt vmcnt(0)
	v_cvt_f64_u32_e32 v[17:18], v3
.LBB23_2678:
	s_mov_b32 s0, 0
.LBB23_2679:
	s_delay_alu instid0(SALU_CYCLE_1)
	s_and_not1_b32 vcc_lo, exec_lo, s0
	s_cbranch_vccnz .LBB23_2689
; %bb.2680:
	global_load_u8 v3, v[11:12], off
	s_mov_b32 s6, 0
	s_mov_b32 s7, exec_lo
                                        ; implicit-def: $sgpr0_sgpr1
	s_waitcnt vmcnt(0)
	v_cmpx_lt_i16_e32 0x7f, v3
	s_xor_b32 s7, exec_lo, s7
	s_cbranch_execz .LBB23_2684
; %bb.2681:
	s_mov_b32 s13, -1
	s_mov_b32 s6, exec_lo
                                        ; implicit-def: $sgpr0_sgpr1
	v_cmpx_eq_u16_e32 0x80, v3
; %bb.2682:
	s_mov_b32 s1, 0x7ff80000
	s_brev_b32 s0, 4
	s_xor_b32 s13, exec_lo, -1
; %bb.2683:
	s_or_b32 exec_lo, exec_lo, s6
	s_delay_alu instid0(SALU_CYCLE_1)
	s_and_b32 s6, s13, exec_lo
.LBB23_2684:
	s_or_saveexec_b32 s7, s7
	v_dual_mov_b32 v18, s1 :: v_dual_mov_b32 v17, s0
	s_xor_b32 exec_lo, exec_lo, s7
; %bb.2685:
	v_cmp_ne_u16_e32 vcc_lo, 0, v3
	v_mov_b32_e32 v17, 0
	v_mov_b32_e32 v18, 0
	s_and_not1_b32 s0, s6, exec_lo
	s_and_b32 s1, vcc_lo, exec_lo
	s_delay_alu instid0(SALU_CYCLE_1)
	s_or_b32 s6, s0, s1
; %bb.2686:
	s_or_b32 exec_lo, exec_lo, s7
	s_and_saveexec_b32 s0, s6
	s_cbranch_execz .LBB23_2688
; %bb.2687:
	v_and_b32_e32 v7, 0xffff, v3
	v_lshlrev_b32_e32 v3, 24, v3
	s_delay_alu instid0(VALU_DEP_2) | instskip(NEXT) | instid1(VALU_DEP_2)
	v_and_b32_e32 v13, 7, v7
	v_and_b32_e32 v3, 0x80000000, v3
	s_delay_alu instid0(VALU_DEP_2) | instskip(NEXT) | instid1(VALU_DEP_1)
	v_clz_i32_u32_e32 v17, v13
	v_min_u32_e32 v17, 32, v17
	s_delay_alu instid0(VALU_DEP_1) | instskip(SKIP_1) | instid1(VALU_DEP_2)
	v_subrev_nc_u32_e32 v18, 28, v17
	v_sub_nc_u32_e32 v17, 29, v17
	v_lshlrev_b32_e32 v18, v18, v7
	v_bfe_u32 v7, v7, 3, 4
	s_delay_alu instid0(VALU_DEP_1) | instskip(NEXT) | instid1(VALU_DEP_3)
	v_cmp_eq_u32_e32 vcc_lo, 0, v7
	v_dual_cndmask_b32 v7, v7, v17 :: v_dual_and_b32 v18, 7, v18
	s_delay_alu instid0(VALU_DEP_1) | instskip(NEXT) | instid1(VALU_DEP_2)
	v_lshl_add_u32 v7, v7, 23, 0x3b800000
	v_cndmask_b32_e32 v13, v13, v18, vcc_lo
	s_delay_alu instid0(VALU_DEP_1) | instskip(NEXT) | instid1(VALU_DEP_1)
	v_lshlrev_b32_e32 v13, 20, v13
	v_or3_b32 v3, v3, v7, v13
	s_delay_alu instid0(VALU_DEP_1)
	v_cvt_f64_f32_e32 v[17:18], v3
.LBB23_2688:
	s_or_b32 exec_lo, exec_lo, s0
.LBB23_2689:
	s_mov_b32 s0, -1
.LBB23_2690:
	s_mov_b32 s1, 0
.LBB23_2691:
	s_delay_alu instid0(SALU_CYCLE_1)
	s_and_b32 vcc_lo, exec_lo, s1
	s_cbranch_vccz .LBB23_2722
; %bb.2692:
	v_cmp_gt_i16_e64 s1, s12, 22
	s_delay_alu instid0(VALU_DEP_1)
	s_and_b32 vcc_lo, exec_lo, s1
	s_cbranch_vccz .LBB23_2704
; %bb.2693:
	v_cmp_lt_i16_e64 s0, s12, 24
	s_delay_alu instid0(VALU_DEP_1)
	s_and_b32 vcc_lo, exec_lo, s0
	s_cbranch_vccnz .LBB23_2705
; %bb.2694:
	v_cmp_gt_i16_e64 s0, s12, 24
	s_delay_alu instid0(VALU_DEP_1)
	s_and_b32 vcc_lo, exec_lo, s0
	s_cbranch_vccz .LBB23_2706
; %bb.2695:
	global_load_u8 v3, v[11:12], off
	s_mov_b32 s6, exec_lo
                                        ; implicit-def: $sgpr0_sgpr1
	s_waitcnt vmcnt(0)
	v_cmpx_lt_i16_e32 0x7f, v3
	s_xor_b32 s6, exec_lo, s6
	s_cbranch_execz .LBB23_2699
; %bb.2696:
	s_mov_b32 s7, -1
	s_mov_b32 s3, exec_lo
                                        ; implicit-def: $sgpr0_sgpr1
	v_cmpx_eq_u16_e32 0x80, v3
; %bb.2697:
	s_mov_b32 s1, 0x7ff80000
	s_brev_b32 s0, 4
	s_xor_b32 s7, exec_lo, -1
; %bb.2698:
	s_or_b32 exec_lo, exec_lo, s3
	s_delay_alu instid0(SALU_CYCLE_1)
	s_and_b32 s3, s7, exec_lo
.LBB23_2699:
	s_or_saveexec_b32 s6, s6
	v_dual_mov_b32 v18, s1 :: v_dual_mov_b32 v17, s0
	s_xor_b32 exec_lo, exec_lo, s6
; %bb.2700:
	v_cmp_ne_u16_e32 vcc_lo, 0, v3
	v_mov_b32_e32 v17, 0
	v_mov_b32_e32 v18, 0
	s_and_not1_b32 s0, s3, exec_lo
	s_and_b32 s1, vcc_lo, exec_lo
	s_delay_alu instid0(SALU_CYCLE_1)
	s_or_b32 s3, s0, s1
; %bb.2701:
	s_or_b32 exec_lo, exec_lo, s6
	s_and_saveexec_b32 s0, s3
	s_cbranch_execz .LBB23_2703
; %bb.2702:
	v_and_b32_e32 v7, 0xffff, v3
	v_lshlrev_b32_e32 v3, 24, v3
	s_delay_alu instid0(VALU_DEP_2) | instskip(NEXT) | instid1(VALU_DEP_2)
	v_and_b32_e32 v13, 3, v7
	v_and_b32_e32 v3, 0x80000000, v3
	s_delay_alu instid0(VALU_DEP_2) | instskip(NEXT) | instid1(VALU_DEP_1)
	v_clz_i32_u32_e32 v17, v13
	v_min_u32_e32 v17, 32, v17
	s_delay_alu instid0(VALU_DEP_1) | instskip(SKIP_1) | instid1(VALU_DEP_2)
	v_subrev_nc_u32_e32 v18, 29, v17
	v_sub_nc_u32_e32 v17, 30, v17
	v_lshlrev_b32_e32 v18, v18, v7
	v_bfe_u32 v7, v7, 2, 5
	s_delay_alu instid0(VALU_DEP_1) | instskip(NEXT) | instid1(VALU_DEP_3)
	v_cmp_eq_u32_e32 vcc_lo, 0, v7
	v_dual_cndmask_b32 v7, v7, v17 :: v_dual_and_b32 v18, 3, v18
	s_delay_alu instid0(VALU_DEP_1) | instskip(NEXT) | instid1(VALU_DEP_2)
	v_lshl_add_u32 v7, v7, 23, 0x37800000
	v_cndmask_b32_e32 v13, v13, v18, vcc_lo
	s_delay_alu instid0(VALU_DEP_1) | instskip(NEXT) | instid1(VALU_DEP_1)
	v_lshlrev_b32_e32 v13, 21, v13
	v_or3_b32 v3, v3, v7, v13
	s_delay_alu instid0(VALU_DEP_1)
	v_cvt_f64_f32_e32 v[17:18], v3
.LBB23_2703:
	s_or_b32 exec_lo, exec_lo, s0
	s_mov_b32 s0, 0
	s_branch .LBB23_2707
.LBB23_2704:
	s_mov_b32 s1, -1
                                        ; implicit-def: $vgpr17_vgpr18
	s_branch .LBB23_2713
.LBB23_2705:
	s_mov_b32 s0, -1
                                        ; implicit-def: $vgpr17_vgpr18
	s_branch .LBB23_2710
.LBB23_2706:
	s_mov_b32 s0, -1
                                        ; implicit-def: $vgpr17_vgpr18
.LBB23_2707:
	s_delay_alu instid0(SALU_CYCLE_1)
	s_and_b32 vcc_lo, exec_lo, s0
	s_cbranch_vccz .LBB23_2709
; %bb.2708:
	global_load_u8 v3, v[11:12], off
	s_waitcnt vmcnt(0)
	v_lshlrev_b32_e32 v3, 24, v3
	s_delay_alu instid0(VALU_DEP_1) | instskip(NEXT) | instid1(VALU_DEP_1)
	v_and_b32_e32 v7, 0x7f000000, v3
	v_clz_i32_u32_e32 v13, v7
	v_cmp_ne_u32_e32 vcc_lo, 0, v7
	v_add_nc_u32_e32 v18, 0x1000000, v7
	s_delay_alu instid0(VALU_DEP_3) | instskip(NEXT) | instid1(VALU_DEP_1)
	v_min_u32_e32 v13, 32, v13
	v_sub_nc_u32_e64 v13, v13, 4 clamp
	s_delay_alu instid0(VALU_DEP_1) | instskip(SKIP_1) | instid1(VALU_DEP_2)
	v_lshlrev_b32_e32 v17, v13, v7
	v_lshlrev_b32_e32 v13, 23, v13
	v_lshrrev_b32_e32 v17, 4, v17
	s_delay_alu instid0(VALU_DEP_1) | instskip(SKIP_1) | instid1(VALU_DEP_2)
	v_sub_nc_u32_e32 v13, v17, v13
	v_ashrrev_i32_e32 v17, 8, v18
	v_add_nc_u32_e32 v13, 0x3c000000, v13
	s_delay_alu instid0(VALU_DEP_1) | instskip(NEXT) | instid1(VALU_DEP_1)
	v_and_or_b32 v13, 0x7f800000, v17, v13
	v_cndmask_b32_e32 v7, 0, v13, vcc_lo
	s_delay_alu instid0(VALU_DEP_1) | instskip(NEXT) | instid1(VALU_DEP_1)
	v_and_or_b32 v3, 0x80000000, v3, v7
	v_cvt_f64_f32_e32 v[17:18], v3
.LBB23_2709:
	s_mov_b32 s0, 0
.LBB23_2710:
	s_delay_alu instid0(SALU_CYCLE_1)
	s_and_not1_b32 vcc_lo, exec_lo, s0
	s_cbranch_vccnz .LBB23_2712
; %bb.2711:
	global_load_u8 v3, v[11:12], off
	s_waitcnt vmcnt(0)
	v_lshlrev_b32_e32 v7, 25, v3
	v_lshlrev_b16 v3, 8, v3
	s_delay_alu instid0(VALU_DEP_2) | instskip(NEXT) | instid1(VALU_DEP_2)
	v_lshrrev_b32_e32 v13, 4, v7
	v_and_or_b32 v17, 0x7f00, v3, 0.5
	v_cmp_gt_u32_e32 vcc_lo, 0x8000000, v7
	v_bfe_i32 v3, v3, 0, 16
	s_delay_alu instid0(VALU_DEP_4) | instskip(NEXT) | instid1(VALU_DEP_4)
	v_or_b32_e32 v13, 0x70000000, v13
	v_add_f32_e32 v17, -0.5, v17
	s_delay_alu instid0(VALU_DEP_2) | instskip(NEXT) | instid1(VALU_DEP_1)
	v_mul_f32_e32 v13, 0x7800000, v13
	v_cndmask_b32_e32 v7, v13, v17, vcc_lo
	s_delay_alu instid0(VALU_DEP_1) | instskip(NEXT) | instid1(VALU_DEP_1)
	v_and_or_b32 v3, 0x80000000, v3, v7
	v_cvt_f64_f32_e32 v[17:18], v3
.LBB23_2712:
	s_mov_b32 s1, 0
	s_mov_b32 s0, -1
.LBB23_2713:
	s_and_not1_b32 vcc_lo, exec_lo, s1
	s_mov_b32 s3, 0
	s_cbranch_vccnz .LBB23_2722
; %bb.2714:
	v_cmp_gt_i16_e64 s1, s12, 14
	s_delay_alu instid0(VALU_DEP_1)
	s_and_b32 vcc_lo, exec_lo, s1
	s_cbranch_vccz .LBB23_2717
; %bb.2715:
	v_cmp_eq_u16_e64 s1, s12, 15
	s_delay_alu instid0(VALU_DEP_1)
	s_and_b32 vcc_lo, exec_lo, s1
	s_cbranch_vccz .LBB23_2718
; %bb.2716:
	global_load_u16 v3, v[11:12], off
	s_mov_b32 s2, 0
	s_mov_b32 s0, -1
	s_waitcnt vmcnt(0)
	v_lshlrev_b32_e32 v3, 16, v3
	s_delay_alu instid0(VALU_DEP_1)
	v_cvt_f64_f32_e32 v[17:18], v3
	s_branch .LBB23_2719
.LBB23_2717:
	s_mov_b32 s1, -1
                                        ; implicit-def: $vgpr17_vgpr18
	s_branch .LBB23_2720
.LBB23_2718:
	s_mov_b32 s2, -1
                                        ; implicit-def: $vgpr17_vgpr18
.LBB23_2719:
	s_mov_b32 s1, 0
.LBB23_2720:
	s_delay_alu instid0(SALU_CYCLE_1)
	s_and_b32 vcc_lo, exec_lo, s1
	s_cbranch_vccz .LBB23_2722
; %bb.2721:
	v_cmp_ne_u16_e64 s2, s12, 11
	s_mov_b32 s3, -1
                                        ; implicit-def: $vgpr17_vgpr18
.LBB23_2722:
	s_delay_alu instid0(VALU_DEP_1)
	s_and_b32 vcc_lo, exec_lo, s2
	s_cbranch_vccnz .LBB23_3264
; %bb.2723:
	s_and_not1_b32 vcc_lo, exec_lo, s3
	s_cbranch_vccnz .LBB23_2725
.LBB23_2724:
	global_load_u8 v3, v[11:12], off
	v_mov_b32_e32 v17, 0
	s_mov_b32 s0, -1
	s_waitcnt vmcnt(0)
	v_cmp_ne_u16_e32 vcc_lo, 0, v3
	v_cndmask_b32_e64 v18, 0, 0x3ff00000, vcc_lo
.LBB23_2725:
	s_mov_b32 s1, 0
.LBB23_2726:
	s_delay_alu instid0(SALU_CYCLE_1)
	s_and_b32 vcc_lo, exec_lo, s1
	s_cbranch_vccz .LBB23_2775
; %bb.2727:
	v_cmp_lt_i16_e64 s0, s12, 5
	s_delay_alu instid0(VALU_DEP_1)
	s_and_b32 vcc_lo, exec_lo, s0
	s_cbranch_vccnz .LBB23_2732
; %bb.2728:
	v_cmp_lt_i16_e64 s0, s12, 8
	s_delay_alu instid0(VALU_DEP_1)
	s_and_b32 vcc_lo, exec_lo, s0
	s_cbranch_vccnz .LBB23_2733
	;; [unrolled: 5-line block ×3, first 2 shown]
; %bb.2730:
	v_cmp_gt_i16_e64 s0, s12, 9
	s_delay_alu instid0(VALU_DEP_1)
	s_and_b32 vcc_lo, exec_lo, s0
	s_cbranch_vccz .LBB23_2735
; %bb.2731:
	global_load_b64 v[17:18], v[11:12], off
	s_mov_b32 s0, 0
	s_branch .LBB23_2736
.LBB23_2732:
	s_mov_b32 s0, -1
                                        ; implicit-def: $vgpr17_vgpr18
	s_branch .LBB23_2754
.LBB23_2733:
	s_mov_b32 s0, -1
                                        ; implicit-def: $vgpr17_vgpr18
	s_branch .LBB23_2742
.LBB23_2734:
	s_mov_b32 s0, -1
                                        ; implicit-def: $vgpr17_vgpr18
	s_branch .LBB23_2739
.LBB23_2735:
	s_mov_b32 s0, -1
                                        ; implicit-def: $vgpr17_vgpr18
.LBB23_2736:
	s_delay_alu instid0(SALU_CYCLE_1)
	s_and_not1_b32 vcc_lo, exec_lo, s0
	s_cbranch_vccnz .LBB23_2738
; %bb.2737:
	global_load_b32 v3, v[11:12], off
	s_waitcnt vmcnt(0)
	v_cvt_f64_f32_e32 v[17:18], v3
.LBB23_2738:
	s_mov_b32 s0, 0
.LBB23_2739:
	s_delay_alu instid0(SALU_CYCLE_1)
	s_and_not1_b32 vcc_lo, exec_lo, s0
	s_cbranch_vccnz .LBB23_2741
; %bb.2740:
	global_load_b32 v3, v[11:12], off
	s_waitcnt vmcnt(0)
	v_cvt_f32_f16_e32 v3, v3
	s_delay_alu instid0(VALU_DEP_1)
	v_cvt_f64_f32_e32 v[17:18], v3
.LBB23_2741:
	s_mov_b32 s0, 0
.LBB23_2742:
	s_delay_alu instid0(SALU_CYCLE_1)
	s_and_not1_b32 vcc_lo, exec_lo, s0
	s_cbranch_vccnz .LBB23_2753
; %bb.2743:
	v_cmp_lt_i16_e64 s0, s12, 6
	s_delay_alu instid0(VALU_DEP_1)
	s_and_b32 vcc_lo, exec_lo, s0
	s_cbranch_vccnz .LBB23_2746
; %bb.2744:
	v_cmp_gt_i16_e64 s0, s12, 6
	s_delay_alu instid0(VALU_DEP_1)
	s_and_b32 vcc_lo, exec_lo, s0
	s_cbranch_vccz .LBB23_2747
; %bb.2745:
	global_load_b64 v[17:18], v[11:12], off
	s_mov_b32 s0, 0
	s_branch .LBB23_2748
.LBB23_2746:
	s_mov_b32 s0, -1
                                        ; implicit-def: $vgpr17_vgpr18
	s_branch .LBB23_2751
.LBB23_2747:
	s_mov_b32 s0, -1
                                        ; implicit-def: $vgpr17_vgpr18
.LBB23_2748:
	s_delay_alu instid0(SALU_CYCLE_1)
	s_and_not1_b32 vcc_lo, exec_lo, s0
	s_cbranch_vccnz .LBB23_2750
; %bb.2749:
	global_load_b32 v3, v[11:12], off
	s_waitcnt vmcnt(0)
	v_cvt_f64_f32_e32 v[17:18], v3
.LBB23_2750:
	s_mov_b32 s0, 0
.LBB23_2751:
	s_delay_alu instid0(SALU_CYCLE_1)
	s_and_not1_b32 vcc_lo, exec_lo, s0
	s_cbranch_vccnz .LBB23_2753
; %bb.2752:
	global_load_u16 v3, v[11:12], off
	s_waitcnt vmcnt(0)
	v_cvt_f32_f16_e32 v3, v3
	s_delay_alu instid0(VALU_DEP_1)
	v_cvt_f64_f32_e32 v[17:18], v3
.LBB23_2753:
	s_mov_b32 s0, 0
.LBB23_2754:
	s_delay_alu instid0(SALU_CYCLE_1)
	s_and_not1_b32 vcc_lo, exec_lo, s0
	s_cbranch_vccnz .LBB23_2774
; %bb.2755:
	v_cmp_lt_i16_e64 s0, s12, 2
	s_delay_alu instid0(VALU_DEP_1)
	s_and_b32 vcc_lo, exec_lo, s0
	s_cbranch_vccnz .LBB23_2759
; %bb.2756:
	v_cmp_lt_i16_e64 s0, s12, 3
	s_delay_alu instid0(VALU_DEP_1)
	s_and_b32 vcc_lo, exec_lo, s0
	s_cbranch_vccnz .LBB23_2760
; %bb.2757:
	v_cmp_gt_i16_e64 s0, s12, 3
	s_delay_alu instid0(VALU_DEP_1)
	s_and_b32 vcc_lo, exec_lo, s0
	s_cbranch_vccz .LBB23_2761
; %bb.2758:
	global_load_b64 v[17:18], v[11:12], off
	s_mov_b32 s0, 0
	s_waitcnt vmcnt(0)
	v_cvt_f64_i32_e32 v[18:19], v18
	v_cvt_f64_u32_e32 v[20:21], v17
	s_delay_alu instid0(VALU_DEP_2) | instskip(NEXT) | instid1(VALU_DEP_1)
	v_ldexp_f64 v[18:19], v[18:19], 32
	v_add_f64 v[17:18], v[18:19], v[20:21]
	s_branch .LBB23_2762
.LBB23_2759:
	s_mov_b32 s0, -1
                                        ; implicit-def: $vgpr17_vgpr18
	s_branch .LBB23_2768
.LBB23_2760:
	s_mov_b32 s0, -1
                                        ; implicit-def: $vgpr17_vgpr18
	s_branch .LBB23_2765
.LBB23_2761:
	s_mov_b32 s0, -1
                                        ; implicit-def: $vgpr17_vgpr18
.LBB23_2762:
	s_delay_alu instid0(SALU_CYCLE_1)
	s_and_not1_b32 vcc_lo, exec_lo, s0
	s_cbranch_vccnz .LBB23_2764
; %bb.2763:
	global_load_b32 v3, v[11:12], off
	s_waitcnt vmcnt(0)
	v_cvt_f64_i32_e32 v[17:18], v3
.LBB23_2764:
	s_mov_b32 s0, 0
.LBB23_2765:
	s_delay_alu instid0(SALU_CYCLE_1)
	s_and_not1_b32 vcc_lo, exec_lo, s0
	s_cbranch_vccnz .LBB23_2767
; %bb.2766:
	global_load_i16 v3, v[11:12], off
	s_waitcnt vmcnt(0)
	v_cvt_f64_i32_e32 v[17:18], v3
.LBB23_2767:
	s_mov_b32 s0, 0
.LBB23_2768:
	s_delay_alu instid0(SALU_CYCLE_1)
	s_and_not1_b32 vcc_lo, exec_lo, s0
	s_cbranch_vccnz .LBB23_2774
; %bb.2769:
	v_cmp_gt_i16_e64 s0, s12, 0
	s_delay_alu instid0(VALU_DEP_1)
	s_and_b32 vcc_lo, exec_lo, s0
	s_mov_b32 s0, 0
	s_cbranch_vccz .LBB23_2771
; %bb.2770:
	global_load_i8 v3, v[11:12], off
	s_waitcnt vmcnt(0)
	v_cvt_f64_i32_e32 v[17:18], v3
	s_branch .LBB23_2772
.LBB23_2771:
	s_mov_b32 s0, -1
                                        ; implicit-def: $vgpr17_vgpr18
.LBB23_2772:
	s_delay_alu instid0(SALU_CYCLE_1)
	s_and_not1_b32 vcc_lo, exec_lo, s0
	s_cbranch_vccnz .LBB23_2774
; %bb.2773:
	global_load_u8 v3, v[11:12], off
	s_waitcnt vmcnt(0)
	v_cvt_f64_u32_e32 v[17:18], v3
.LBB23_2774:
	s_mov_b32 s0, -1
.LBB23_2775:
	s_delay_alu instid0(SALU_CYCLE_1)
	s_and_not1_b32 vcc_lo, exec_lo, s0
	s_cbranch_vccnz .LBB23_3218
; %bb.2776:
	s_waitcnt vmcnt(0)
	s_delay_alu instid0(VALU_DEP_1) | instskip(SKIP_2) | instid1(VALU_DEP_2)
	v_trunc_f64_e32 v[11:12], v[17:18]
	v_cmp_class_f64_e64 vcc_lo, v[17:18], 0x1f8
	s_mov_b32 s2, exec_lo
	v_ldexp_f64 v[19:20], v[11:12], 0xffffffe0
	s_delay_alu instid0(VALU_DEP_1) | instskip(NEXT) | instid1(VALU_DEP_1)
	v_floor_f64_e32 v[19:20], v[19:20]
	v_fma_f64 v[11:12], 0xc1f00000, v[19:20], v[11:12]
	v_cvt_i32_f64_e32 v3, v[19:20]
	s_delay_alu instid0(VALU_DEP_2) | instskip(NEXT) | instid1(VALU_DEP_2)
	v_cvt_u32_f64_e32 v7, v[11:12]
	v_cndmask_b32_e32 v18, -1, v3, vcc_lo
	v_mov_b32_e32 v12, 0
	v_mov_b32_e32 v13, 0
	s_delay_alu instid0(VALU_DEP_4) | instskip(NEXT) | instid1(VALU_DEP_1)
	v_cndmask_b32_e32 v17, -1, v7, vcc_lo
	v_cmpx_lt_i64_e32 -1, v[17:18]
	s_cbranch_execz .LBB23_2788
; %bb.2777:
	v_mov_b32_e32 v12, 0
	v_mov_b32_e32 v13, 0x3ff00000
	s_mov_b32 s3, exec_lo
	v_cmpx_lt_i64_e32 0, v[17:18]
	s_cbranch_execz .LBB23_2787
; %bb.2778:
                                        ; implicit-def: $vgpr12_vgpr13
	s_mov_b32 s0, exec_lo
	v_cmpx_ne_u64_e32 1, v[17:18]
	s_xor_b32 s6, exec_lo, s0
	s_cbranch_execz .LBB23_2784
; %bb.2779:
	v_mov_b32_e32 v12, 0
	v_mov_b32_e32 v13, 0x7ff80000
	s_mov_b32 s7, exec_lo
	v_cmpx_gt_u64_e32 0x201, v[17:18]
	s_cbranch_execz .LBB23_2783
; %bb.2780:
	v_add_f64 v[15:16], v[15:16], v[15:16]
	v_lshlrev_b64 v[17:18], 1, v[17:18]
	v_mov_b32_e32 v19, 0
	v_mov_b32_e32 v20, 0x3ff00000
	s_mov_b64 s[0:1], 2
	s_mov_b32 s12, 0
	s_delay_alu instid0(VALU_DEP_4)
	v_dual_mov_b32 v12, v15 :: v_dual_mov_b32 v13, v16
.LBB23_2781:                            ; =>This Inner Loop Header: Depth=1
	v_cvt_f64_u32_e32 v[21:22], s1
	v_cvt_f64_u32_e32 v[23:24], s0
	s_add_u32 s0, s0, 2
	s_addc_u32 s1, s1, 0
	s_delay_alu instid0(SALU_CYCLE_1) | instskip(SKIP_1) | instid1(VALU_DEP_3)
	v_cmp_ge_u64_e32 vcc_lo, s[0:1], v[17:18]
	s_or_b32 s12, vcc_lo, s12
	v_ldexp_f64 v[21:22], v[21:22], 32
	s_delay_alu instid0(VALU_DEP_1) | instskip(NEXT) | instid1(VALU_DEP_1)
	v_add_f64 v[21:22], v[21:22], v[23:24]
	v_mul_f64 v[19:20], v[19:20], v[21:22]
	v_dual_mov_b32 v22, v13 :: v_dual_mov_b32 v21, v12
	s_delay_alu instid0(VALU_DEP_1)
	v_fma_f64 v[12:13], v[15:16], v[21:22], -v[19:20]
	v_dual_mov_b32 v19, v21 :: v_dual_mov_b32 v20, v22
	s_and_not1_b32 exec_lo, exec_lo, s12
	s_cbranch_execnz .LBB23_2781
; %bb.2782:
	s_or_b32 exec_lo, exec_lo, s12
.LBB23_2783:
	s_delay_alu instid0(SALU_CYCLE_1)
	s_or_b32 exec_lo, exec_lo, s7
                                        ; implicit-def: $vgpr15_vgpr16
.LBB23_2784:
	s_and_not1_saveexec_b32 s0, s6
; %bb.2785:
	v_add_f64 v[12:13], v[15:16], v[15:16]
; %bb.2786:
	s_or_b32 exec_lo, exec_lo, s0
.LBB23_2787:
	s_delay_alu instid0(SALU_CYCLE_1)
	s_or_b32 exec_lo, exec_lo, s3
.LBB23_2788:
	s_delay_alu instid0(SALU_CYCLE_1) | instskip(SKIP_4) | instid1(VALU_DEP_1)
	s_or_b32 exec_lo, exec_lo, s2
	s_lshr_b32 s0, s11, 8
	s_mov_b32 s2, 0
	v_and_b32_e64 v17, 0xff, s0
	v_add_co_u32 v15, s0, s4, v2
	v_add_co_ci_u32_e64 v16, null, s5, 0, s0
	s_delay_alu instid0(VALU_DEP_3)
	v_cmp_gt_i16_e32 vcc_lo, 11, v17
	s_mov_b32 s0, -1
	s_cbranch_vccnz .LBB23_2866
; %bb.2789:
	v_cmp_lt_i16_e32 vcc_lo, 25, v17
	s_mov_b32 s3, -1
	s_mov_b32 s1, 0
	s_mov_b32 s0, 0
	s_cbranch_vccz .LBB23_2822
; %bb.2790:
	v_cmp_lt_i16_e32 vcc_lo, 28, v17
	s_cbranch_vccz .LBB23_2805
; %bb.2791:
	v_cmp_lt_i16_e32 vcc_lo, 43, v17
	;; [unrolled: 3-line block ×3, first 2 shown]
	s_cbranch_vccz .LBB23_2795
; %bb.2793:
	v_cmp_eq_u16_e32 vcc_lo, 46, v17
	s_mov_b32 s0, -1
	s_mov_b32 s3, 0
	s_cbranch_vccz .LBB23_2795
; %bb.2794:
	v_cvt_f32_f64_e32 v2, v[0:1]
	s_mov_b32 s0, 0
	s_mov_b32 s2, -1
	s_delay_alu instid0(VALU_DEP_1) | instskip(SKIP_1) | instid1(VALU_DEP_2)
	v_bfe_u32 v3, v2, 16, 1
	v_cmp_o_f32_e32 vcc_lo, v2, v2
	v_add3_u32 v3, v2, v3, 0x7fff
	s_delay_alu instid0(VALU_DEP_1) | instskip(NEXT) | instid1(VALU_DEP_1)
	v_lshrrev_b32_e32 v3, 16, v3
	v_cndmask_b32_e32 v2, 0x7fc0, v3, vcc_lo
	global_store_b32 v[15:16], v2, off
.LBB23_2795:
	s_and_b32 vcc_lo, exec_lo, s3
	s_cbranch_vccz .LBB23_2800
; %bb.2796:
	v_cmp_eq_u16_e32 vcc_lo, 44, v17
	s_mov_b32 s0, -1
	s_cbranch_vccz .LBB23_2800
; %bb.2797:
	v_cvt_f32_f64_e32 v2, v[0:1]
	v_mov_b32_e32 v3, 0xff
	s_mov_b32 s2, exec_lo
	s_delay_alu instid0(VALU_DEP_2) | instskip(NEXT) | instid1(VALU_DEP_1)
	v_bfe_u32 v7, v2, 23, 8
	v_cmpx_ne_u32_e32 0xff, v7
; %bb.2798:
	v_and_b32_e32 v3, 0x400000, v2
	v_and_or_b32 v7, 0x3fffff, v2, v7
	v_lshrrev_b32_e32 v2, 23, v2
	s_delay_alu instid0(VALU_DEP_3) | instskip(NEXT) | instid1(VALU_DEP_3)
	v_cmp_ne_u32_e32 vcc_lo, 0, v3
	v_cmp_ne_u32_e64 s0, 0, v7
	s_delay_alu instid0(VALU_DEP_1) | instskip(NEXT) | instid1(SALU_CYCLE_1)
	s_and_b32 s0, vcc_lo, s0
	v_cndmask_b32_e64 v3, 0, 1, s0
	s_delay_alu instid0(VALU_DEP_1)
	v_add_nc_u32_e32 v3, v2, v3
; %bb.2799:
	s_or_b32 exec_lo, exec_lo, s2
	s_mov_b32 s0, 0
	s_mov_b32 s2, -1
	global_store_b8 v[15:16], v3, off
.LBB23_2800:
	s_mov_b32 s3, 0
.LBB23_2801:
	s_delay_alu instid0(SALU_CYCLE_1)
	s_and_b32 vcc_lo, exec_lo, s3
	s_cbranch_vccz .LBB23_2804
; %bb.2802:
	v_cmp_eq_u16_e32 vcc_lo, 29, v17
	s_mov_b32 s0, -1
	s_cbranch_vccz .LBB23_2804
; %bb.2803:
	v_trunc_f64_e32 v[2:3], v[0:1]
	s_mov_b32 s0, 0
	s_mov_b32 s2, -1
	s_delay_alu instid0(VALU_DEP_1) | instskip(NEXT) | instid1(VALU_DEP_1)
	v_ldexp_f64 v[18:19], v[2:3], 0xffffffe0
	v_floor_f64_e32 v[18:19], v[18:19]
	s_delay_alu instid0(VALU_DEP_1) | instskip(SKIP_1) | instid1(VALU_DEP_2)
	v_fma_f64 v[2:3], 0xc1f00000, v[18:19], v[2:3]
	v_cvt_u32_f64_e32 v19, v[18:19]
	v_cvt_u32_f64_e32 v18, v[2:3]
	global_store_b64 v[15:16], v[18:19], off
.LBB23_2804:
	s_mov_b32 s3, 0
.LBB23_2805:
	s_delay_alu instid0(SALU_CYCLE_1)
	s_and_b32 vcc_lo, exec_lo, s3
	s_cbranch_vccz .LBB23_2821
; %bb.2806:
	v_cmp_gt_i16_e32 vcc_lo, 27, v17
	s_mov_b32 s2, -1
	s_cbranch_vccnz .LBB23_2812
; %bb.2807:
	v_cvt_u32_f64_e32 v2, v[0:1]
	v_cmp_lt_i16_e32 vcc_lo, 27, v17
	s_cbranch_vccz .LBB23_2809
; %bb.2808:
	s_mov_b32 s2, 0
	global_store_b32 v[15:16], v2, off
.LBB23_2809:
	s_and_not1_b32 vcc_lo, exec_lo, s2
	s_cbranch_vccnz .LBB23_2811
; %bb.2810:
	global_store_b16 v[15:16], v2, off
.LBB23_2811:
	s_mov_b32 s2, 0
.LBB23_2812:
	s_delay_alu instid0(SALU_CYCLE_1)
	s_and_not1_b32 vcc_lo, exec_lo, s2
	s_cbranch_vccnz .LBB23_2820
; %bb.2813:
	v_cvt_f32_f64_e32 v2, v[0:1]
	v_mov_b32_e32 v7, 0x80
	s_mov_b32 s2, exec_lo
	s_delay_alu instid0(VALU_DEP_2) | instskip(NEXT) | instid1(VALU_DEP_1)
	v_and_b32_e32 v3, 0x7fffffff, v2
	v_cmpx_gt_u32_e32 0x43800000, v3
	s_cbranch_execz .LBB23_2819
; %bb.2814:
	v_cmp_lt_u32_e32 vcc_lo, 0x3bffffff, v3
	s_mov_b32 s3, 0
                                        ; implicit-def: $vgpr3
	s_and_saveexec_b32 s6, vcc_lo
	s_delay_alu instid0(SALU_CYCLE_1)
	s_xor_b32 s6, exec_lo, s6
	s_cbranch_execz .LBB23_3266
; %bb.2815:
	v_bfe_u32 v3, v2, 20, 1
	s_mov_b32 s3, exec_lo
	s_delay_alu instid0(VALU_DEP_1) | instskip(NEXT) | instid1(VALU_DEP_1)
	v_add3_u32 v3, v2, v3, 0x487ffff
	v_lshrrev_b32_e32 v3, 20, v3
	s_or_saveexec_b32 s6, s6
                                        ; implicit-def: $sgpr7
	s_delay_alu instid0(SALU_CYCLE_1)
	s_xor_b32 exec_lo, exec_lo, s6
	s_cbranch_execnz .LBB23_3267
.LBB23_2816:
	s_or_b32 exec_lo, exec_lo, s6
	v_mov_b32_e32 v7, s7
	s_and_saveexec_b32 s6, s3
.LBB23_2817:
	v_lshrrev_b32_e32 v2, 24, v2
	s_delay_alu instid0(VALU_DEP_1)
	v_and_or_b32 v7, 0x80, v2, v3
.LBB23_2818:
	s_or_b32 exec_lo, exec_lo, s6
.LBB23_2819:
	s_delay_alu instid0(SALU_CYCLE_1)
	s_or_b32 exec_lo, exec_lo, s2
	global_store_b8 v[15:16], v7, off
.LBB23_2820:
	s_mov_b32 s2, -1
.LBB23_2821:
	s_mov_b32 s3, 0
.LBB23_2822:
	s_delay_alu instid0(SALU_CYCLE_1)
	s_and_b32 vcc_lo, exec_lo, s3
	s_cbranch_vccz .LBB23_2862
; %bb.2823:
	v_cmp_lt_i16_e32 vcc_lo, 22, v17
	s_mov_b32 s1, -1
	s_cbranch_vccz .LBB23_2855
; %bb.2824:
	v_cmp_gt_i16_e32 vcc_lo, 24, v17
	s_cbranch_vccnz .LBB23_2844
; %bb.2825:
	v_cmp_lt_i16_e32 vcc_lo, 24, v17
	s_cbranch_vccz .LBB23_2833
; %bb.2826:
	v_cvt_f32_f64_e32 v2, v[0:1]
	v_mov_b32_e32 v7, 0x80
	s_mov_b32 s1, exec_lo
	s_delay_alu instid0(VALU_DEP_2) | instskip(NEXT) | instid1(VALU_DEP_1)
	v_and_b32_e32 v3, 0x7fffffff, v2
	v_cmpx_gt_u32_e32 0x47800000, v3
	s_cbranch_execz .LBB23_2832
; %bb.2827:
	v_cmp_lt_u32_e32 vcc_lo, 0x37ffffff, v3
	s_mov_b32 s2, 0
                                        ; implicit-def: $vgpr3
	s_and_saveexec_b32 s3, vcc_lo
	s_delay_alu instid0(SALU_CYCLE_1)
	s_xor_b32 s3, exec_lo, s3
	s_cbranch_execz .LBB23_3272
; %bb.2828:
	v_bfe_u32 v3, v2, 21, 1
	s_mov_b32 s2, exec_lo
	s_delay_alu instid0(VALU_DEP_1) | instskip(NEXT) | instid1(VALU_DEP_1)
	v_add3_u32 v3, v2, v3, 0x88fffff
	v_lshrrev_b32_e32 v3, 21, v3
	s_or_saveexec_b32 s3, s3
                                        ; implicit-def: $sgpr6
	s_delay_alu instid0(SALU_CYCLE_1)
	s_xor_b32 exec_lo, exec_lo, s3
	s_cbranch_execnz .LBB23_3273
.LBB23_2829:
	s_or_b32 exec_lo, exec_lo, s3
	v_mov_b32_e32 v7, s6
	s_and_saveexec_b32 s3, s2
.LBB23_2830:
	v_lshrrev_b32_e32 v2, 24, v2
	s_delay_alu instid0(VALU_DEP_1)
	v_and_or_b32 v7, 0x80, v2, v3
.LBB23_2831:
	s_or_b32 exec_lo, exec_lo, s3
.LBB23_2832:
	s_delay_alu instid0(SALU_CYCLE_1)
	s_or_b32 exec_lo, exec_lo, s1
	s_mov_b32 s1, 0
	global_store_b8 v[15:16], v7, off
.LBB23_2833:
	s_and_b32 vcc_lo, exec_lo, s1
	s_cbranch_vccz .LBB23_2843
; %bb.2834:
	v_cvt_f32_f64_e32 v2, v[0:1]
	s_mov_b32 s1, exec_lo
                                        ; implicit-def: $vgpr3
	s_delay_alu instid0(VALU_DEP_1) | instskip(NEXT) | instid1(VALU_DEP_1)
	v_and_b32_e32 v7, 0x7fffffff, v2
	v_cmpx_gt_u32_e32 0x43f00000, v7
	s_xor_b32 s1, exec_lo, s1
	s_cbranch_execz .LBB23_2840
; %bb.2835:
	s_mov_b32 s2, exec_lo
                                        ; implicit-def: $vgpr3
	v_cmpx_lt_u32_e32 0x3c7fffff, v7
	s_xor_b32 s2, exec_lo, s2
; %bb.2836:
	v_bfe_u32 v3, v2, 20, 1
	s_delay_alu instid0(VALU_DEP_1) | instskip(NEXT) | instid1(VALU_DEP_1)
	v_add3_u32 v3, v2, v3, 0x407ffff
	v_and_b32_e32 v7, 0xff00000, v3
	v_lshrrev_b32_e32 v3, 20, v3
	s_delay_alu instid0(VALU_DEP_2) | instskip(NEXT) | instid1(VALU_DEP_2)
	v_cmp_ne_u32_e32 vcc_lo, 0x7f00000, v7
	v_cndmask_b32_e32 v3, 0x7e, v3, vcc_lo
; %bb.2837:
	s_and_not1_saveexec_b32 s2, s2
; %bb.2838:
	v_add_f32_e64 v3, 0x46800000, |v2|
; %bb.2839:
	s_or_b32 exec_lo, exec_lo, s2
                                        ; implicit-def: $vgpr7
.LBB23_2840:
	s_and_not1_saveexec_b32 s1, s1
; %bb.2841:
	v_mov_b32_e32 v3, 0x7f
	v_cmp_lt_u32_e32 vcc_lo, 0x7f800000, v7
	s_delay_alu instid0(VALU_DEP_2)
	v_cndmask_b32_e32 v3, 0x7e, v3, vcc_lo
; %bb.2842:
	s_or_b32 exec_lo, exec_lo, s1
	v_lshrrev_b32_e32 v2, 24, v2
	s_delay_alu instid0(VALU_DEP_1)
	v_and_or_b32 v2, 0x80, v2, v3
	global_store_b8 v[15:16], v2, off
.LBB23_2843:
	s_mov_b32 s1, 0
.LBB23_2844:
	s_delay_alu instid0(SALU_CYCLE_1)
	s_and_not1_b32 vcc_lo, exec_lo, s1
	s_cbranch_vccnz .LBB23_2854
; %bb.2845:
	v_cvt_f32_f64_e32 v2, v[0:1]
	s_mov_b32 s1, exec_lo
                                        ; implicit-def: $vgpr3
	s_delay_alu instid0(VALU_DEP_1) | instskip(NEXT) | instid1(VALU_DEP_1)
	v_and_b32_e32 v7, 0x7fffffff, v2
	v_cmpx_gt_u32_e32 0x47800000, v7
	s_xor_b32 s1, exec_lo, s1
	s_cbranch_execz .LBB23_2851
; %bb.2846:
	s_mov_b32 s2, exec_lo
                                        ; implicit-def: $vgpr3
	v_cmpx_lt_u32_e32 0x387fffff, v7
	s_xor_b32 s2, exec_lo, s2
; %bb.2847:
	v_bfe_u32 v3, v2, 21, 1
	s_delay_alu instid0(VALU_DEP_1) | instskip(NEXT) | instid1(VALU_DEP_1)
	v_add3_u32 v3, v2, v3, 0x80fffff
	v_lshrrev_b32_e32 v3, 21, v3
; %bb.2848:
	s_and_not1_saveexec_b32 s2, s2
; %bb.2849:
	v_add_f32_e64 v3, 0x43000000, |v2|
; %bb.2850:
	s_or_b32 exec_lo, exec_lo, s2
                                        ; implicit-def: $vgpr7
.LBB23_2851:
	s_and_not1_saveexec_b32 s1, s1
; %bb.2852:
	v_mov_b32_e32 v3, 0x7f
	v_cmp_lt_u32_e32 vcc_lo, 0x7f800000, v7
	s_delay_alu instid0(VALU_DEP_2)
	v_cndmask_b32_e32 v3, 0x7c, v3, vcc_lo
; %bb.2853:
	s_or_b32 exec_lo, exec_lo, s1
	v_lshrrev_b32_e32 v2, 24, v2
	s_delay_alu instid0(VALU_DEP_1)
	v_and_or_b32 v2, 0x80, v2, v3
	global_store_b8 v[15:16], v2, off
.LBB23_2854:
	s_mov_b32 s1, 0
	s_mov_b32 s2, -1
.LBB23_2855:
	s_and_not1_b32 vcc_lo, exec_lo, s1
	s_mov_b32 s1, 0
	s_cbranch_vccnz .LBB23_2862
; %bb.2856:
	v_cmp_lt_i16_e32 vcc_lo, 14, v17
	s_mov_b32 s1, -1
	s_cbranch_vccz .LBB23_2860
; %bb.2857:
	v_cmp_eq_u16_e32 vcc_lo, 15, v17
	s_mov_b32 s0, -1
	s_cbranch_vccz .LBB23_2859
; %bb.2858:
	v_cvt_f32_f64_e32 v2, v[0:1]
	s_mov_b32 s0, 0
	s_mov_b32 s2, -1
	s_delay_alu instid0(VALU_DEP_1) | instskip(SKIP_1) | instid1(VALU_DEP_2)
	v_bfe_u32 v3, v2, 16, 1
	v_cmp_o_f32_e32 vcc_lo, v2, v2
	v_add3_u32 v3, v2, v3, 0x7fff
	s_delay_alu instid0(VALU_DEP_1) | instskip(NEXT) | instid1(VALU_DEP_1)
	v_lshrrev_b32_e32 v3, 16, v3
	v_cndmask_b32_e32 v2, 0x7fc0, v3, vcc_lo
	global_store_b16 v[15:16], v2, off
.LBB23_2859:
	s_mov_b32 s1, 0
.LBB23_2860:
	s_delay_alu instid0(SALU_CYCLE_1)
	s_and_b32 vcc_lo, exec_lo, s1
	s_mov_b32 s1, 0
	s_cbranch_vccz .LBB23_2862
; %bb.2861:
	v_cmp_ne_u16_e64 s0, 11, v17
	s_mov_b32 s1, -1
.LBB23_2862:
	s_delay_alu instid0(VALU_DEP_1)
	s_and_b32 vcc_lo, exec_lo, s0
	s_cbranch_vccnz .LBB23_3270
; %bb.2863:
	s_and_not1_b32 vcc_lo, exec_lo, s1
	s_cbranch_vccnz .LBB23_2865
.LBB23_2864:
	v_cmp_neq_f64_e32 vcc_lo, 0, v[0:1]
	s_mov_b32 s2, -1
	v_cndmask_b32_e64 v2, 0, 1, vcc_lo
	global_store_b8 v[15:16], v2, off
.LBB23_2865:
	s_mov_b32 s0, 0
.LBB23_2866:
	s_delay_alu instid0(SALU_CYCLE_1)
	s_and_b32 vcc_lo, exec_lo, s0
	s_cbranch_vccz .LBB23_2905
; %bb.2867:
	v_cmp_gt_i16_e32 vcc_lo, 5, v17
	s_mov_b32 s0, -1
	s_cbranch_vccnz .LBB23_2888
; %bb.2868:
	v_cmp_gt_i16_e32 vcc_lo, 8, v17
	s_cbranch_vccnz .LBB23_2878
; %bb.2869:
	v_cmp_gt_i16_e32 vcc_lo, 9, v17
	s_cbranch_vccnz .LBB23_2875
; %bb.2870:
	v_cmp_lt_i16_e32 vcc_lo, 9, v17
	s_cbranch_vccz .LBB23_2872
; %bb.2871:
	v_mov_b32_e32 v2, 0
	s_mov_b32 s0, 0
	s_delay_alu instid0(VALU_DEP_1)
	v_mov_b32_e32 v3, v2
	global_store_b128 v[15:16], v[0:3], off
.LBB23_2872:
	s_and_not1_b32 vcc_lo, exec_lo, s0
	s_cbranch_vccnz .LBB23_2874
; %bb.2873:
	v_cvt_f32_f64_e32 v2, v[0:1]
	v_mov_b32_e32 v3, 0
	global_store_b64 v[15:16], v[2:3], off
.LBB23_2874:
	s_mov_b32 s0, 0
.LBB23_2875:
	s_delay_alu instid0(SALU_CYCLE_1)
	s_and_not1_b32 vcc_lo, exec_lo, s0
	s_cbranch_vccnz .LBB23_2877
; %bb.2876:
	v_cvt_f32_f64_e32 v2, v[0:1]
	s_delay_alu instid0(VALU_DEP_1) | instskip(NEXT) | instid1(VALU_DEP_1)
	v_cvt_f16_f32_e32 v2, v2
	v_and_b32_e32 v2, 0xffff, v2
	global_store_b32 v[15:16], v2, off
.LBB23_2877:
	s_mov_b32 s0, 0
.LBB23_2878:
	s_delay_alu instid0(SALU_CYCLE_1)
	s_and_not1_b32 vcc_lo, exec_lo, s0
	s_cbranch_vccnz .LBB23_2887
; %bb.2879:
	v_cmp_gt_i16_e32 vcc_lo, 6, v17
	s_mov_b32 s0, -1
	s_cbranch_vccnz .LBB23_2885
; %bb.2880:
	v_cmp_lt_i16_e32 vcc_lo, 6, v17
	s_cbranch_vccz .LBB23_2882
; %bb.2881:
	s_mov_b32 s0, 0
	global_store_b64 v[15:16], v[0:1], off
.LBB23_2882:
	s_and_not1_b32 vcc_lo, exec_lo, s0
	s_cbranch_vccnz .LBB23_2884
; %bb.2883:
	v_cvt_f32_f64_e32 v2, v[0:1]
	global_store_b32 v[15:16], v2, off
.LBB23_2884:
	s_mov_b32 s0, 0
.LBB23_2885:
	s_delay_alu instid0(SALU_CYCLE_1)
	s_and_not1_b32 vcc_lo, exec_lo, s0
	s_cbranch_vccnz .LBB23_2887
; %bb.2886:
	v_cvt_f32_f64_e32 v2, v[0:1]
	s_delay_alu instid0(VALU_DEP_1)
	v_cvt_f16_f32_e32 v2, v2
	global_store_b16 v[15:16], v2, off
.LBB23_2887:
	s_mov_b32 s0, 0
.LBB23_2888:
	s_delay_alu instid0(SALU_CYCLE_1)
	s_and_not1_b32 vcc_lo, exec_lo, s0
	s_cbranch_vccnz .LBB23_2904
; %bb.2889:
	v_cmp_gt_i16_e32 vcc_lo, 2, v17
	s_mov_b32 s0, -1
	s_cbranch_vccnz .LBB23_2899
; %bb.2890:
	v_cmp_gt_i16_e32 vcc_lo, 3, v17
	s_cbranch_vccnz .LBB23_2896
; %bb.2891:
	v_cmp_lt_i16_e32 vcc_lo, 3, v17
	s_cbranch_vccz .LBB23_2893
; %bb.2892:
	v_trunc_f64_e32 v[2:3], v[0:1]
	s_mov_b32 s0, 0
	s_delay_alu instid0(VALU_DEP_1) | instskip(NEXT) | instid1(VALU_DEP_1)
	v_ldexp_f64 v[18:19], v[2:3], 0xffffffe0
	v_floor_f64_e32 v[18:19], v[18:19]
	s_delay_alu instid0(VALU_DEP_1) | instskip(SKIP_1) | instid1(VALU_DEP_2)
	v_fma_f64 v[2:3], 0xc1f00000, v[18:19], v[2:3]
	v_cvt_i32_f64_e32 v19, v[18:19]
	v_cvt_u32_f64_e32 v18, v[2:3]
	global_store_b64 v[15:16], v[18:19], off
.LBB23_2893:
	s_and_not1_b32 vcc_lo, exec_lo, s0
	s_cbranch_vccnz .LBB23_2895
; %bb.2894:
	v_cvt_i32_f64_e32 v2, v[0:1]
	global_store_b32 v[15:16], v2, off
.LBB23_2895:
	s_mov_b32 s0, 0
.LBB23_2896:
	s_delay_alu instid0(SALU_CYCLE_1)
	s_and_not1_b32 vcc_lo, exec_lo, s0
	s_cbranch_vccnz .LBB23_2898
; %bb.2897:
	v_cvt_i32_f64_e32 v2, v[0:1]
	global_store_b16 v[15:16], v2, off
.LBB23_2898:
	s_mov_b32 s0, 0
.LBB23_2899:
	s_delay_alu instid0(SALU_CYCLE_1)
	s_and_not1_b32 vcc_lo, exec_lo, s0
	s_cbranch_vccnz .LBB23_2904
; %bb.2900:
	v_cmp_lt_i16_e32 vcc_lo, 0, v17
	s_mov_b32 s0, -1
	s_cbranch_vccz .LBB23_2902
; %bb.2901:
	v_cvt_i32_f64_e32 v2, v[0:1]
	s_mov_b32 s0, 0
	global_store_b8 v[15:16], v2, off
.LBB23_2902:
	s_and_not1_b32 vcc_lo, exec_lo, s0
	s_cbranch_vccnz .LBB23_2904
; %bb.2903:
	v_trunc_f64_e32 v[0:1], v[0:1]
	s_delay_alu instid0(VALU_DEP_1) | instskip(NEXT) | instid1(VALU_DEP_1)
	v_ldexp_f64 v[2:3], v[0:1], 0xffffffe0
	v_floor_f64_e32 v[2:3], v[2:3]
	s_delay_alu instid0(VALU_DEP_1) | instskip(NEXT) | instid1(VALU_DEP_1)
	v_fma_f64 v[0:1], 0xc1f00000, v[2:3], v[0:1]
	v_cvt_u32_f64_e32 v0, v[0:1]
	global_store_b8 v[15:16], v0, off
.LBB23_2904:
	s_mov_b32 s2, -1
.LBB23_2905:
	s_delay_alu instid0(SALU_CYCLE_1)
	s_and_not1_b32 vcc_lo, exec_lo, s2
	s_cbranch_vccnz .LBB23_3263
; %bb.2906:
	v_cmp_gt_i16_e32 vcc_lo, 11, v17
	v_add_co_u32 v0, s0, s4, v6
	s_delay_alu instid0(VALU_DEP_1)
	v_add_co_ci_u32_e64 v1, null, s5, 0, s0
	s_mov_b32 s2, 0
	s_mov_b32 s0, -1
	s_cbranch_vccnz .LBB23_2984
; %bb.2907:
	v_cmp_lt_i16_e32 vcc_lo, 25, v17
	s_mov_b32 s3, -1
	s_mov_b32 s1, 0
	s_mov_b32 s0, 0
	s_cbranch_vccz .LBB23_2940
; %bb.2908:
	v_cmp_lt_i16_e32 vcc_lo, 28, v17
	s_cbranch_vccz .LBB23_2923
; %bb.2909:
	v_cmp_lt_i16_e32 vcc_lo, 43, v17
	s_cbranch_vccz .LBB23_2919
; %bb.2910:
	v_cmp_lt_i16_e32 vcc_lo, 45, v17
	s_cbranch_vccz .LBB23_2913
; %bb.2911:
	v_cmp_eq_u16_e32 vcc_lo, 46, v17
	s_mov_b32 s0, -1
	s_mov_b32 s3, 0
	s_cbranch_vccz .LBB23_2913
; %bb.2912:
	v_cvt_f32_f64_e32 v2, v[4:5]
	s_mov_b32 s0, 0
	s_mov_b32 s2, -1
	s_delay_alu instid0(VALU_DEP_1) | instskip(SKIP_1) | instid1(VALU_DEP_2)
	v_bfe_u32 v3, v2, 16, 1
	v_cmp_o_f32_e32 vcc_lo, v2, v2
	v_add3_u32 v3, v2, v3, 0x7fff
	s_delay_alu instid0(VALU_DEP_1) | instskip(NEXT) | instid1(VALU_DEP_1)
	v_lshrrev_b32_e32 v3, 16, v3
	v_cndmask_b32_e32 v2, 0x7fc0, v3, vcc_lo
	global_store_b32 v[0:1], v2, off
.LBB23_2913:
	s_and_b32 vcc_lo, exec_lo, s3
	s_cbranch_vccz .LBB23_2918
; %bb.2914:
	v_cmp_eq_u16_e32 vcc_lo, 44, v17
	s_mov_b32 s0, -1
	s_cbranch_vccz .LBB23_2918
; %bb.2915:
	v_cvt_f32_f64_e32 v2, v[4:5]
	v_mov_b32_e32 v3, 0xff
	s_mov_b32 s2, exec_lo
	s_delay_alu instid0(VALU_DEP_2) | instskip(NEXT) | instid1(VALU_DEP_1)
	v_bfe_u32 v6, v2, 23, 8
	v_cmpx_ne_u32_e32 0xff, v6
; %bb.2916:
	v_and_b32_e32 v3, 0x400000, v2
	v_and_or_b32 v6, 0x3fffff, v2, v6
	v_lshrrev_b32_e32 v2, 23, v2
	s_delay_alu instid0(VALU_DEP_3) | instskip(NEXT) | instid1(VALU_DEP_3)
	v_cmp_ne_u32_e32 vcc_lo, 0, v3
	v_cmp_ne_u32_e64 s0, 0, v6
	s_delay_alu instid0(VALU_DEP_1) | instskip(NEXT) | instid1(SALU_CYCLE_1)
	s_and_b32 s0, vcc_lo, s0
	v_cndmask_b32_e64 v3, 0, 1, s0
	s_delay_alu instid0(VALU_DEP_1)
	v_add_nc_u32_e32 v3, v2, v3
; %bb.2917:
	s_or_b32 exec_lo, exec_lo, s2
	s_mov_b32 s0, 0
	s_mov_b32 s2, -1
	global_store_b8 v[0:1], v3, off
.LBB23_2918:
	s_mov_b32 s3, 0
.LBB23_2919:
	s_delay_alu instid0(SALU_CYCLE_1)
	s_and_b32 vcc_lo, exec_lo, s3
	s_cbranch_vccz .LBB23_2922
; %bb.2920:
	v_cmp_eq_u16_e32 vcc_lo, 29, v17
	s_mov_b32 s0, -1
	s_cbranch_vccz .LBB23_2922
; %bb.2921:
	v_trunc_f64_e32 v[2:3], v[4:5]
	s_mov_b32 s0, 0
	s_mov_b32 s2, -1
	s_delay_alu instid0(VALU_DEP_1) | instskip(NEXT) | instid1(VALU_DEP_1)
	v_ldexp_f64 v[6:7], v[2:3], 0xffffffe0
	v_floor_f64_e32 v[6:7], v[6:7]
	s_delay_alu instid0(VALU_DEP_1) | instskip(SKIP_1) | instid1(VALU_DEP_2)
	v_fma_f64 v[2:3], 0xc1f00000, v[6:7], v[2:3]
	v_cvt_u32_f64_e32 v7, v[6:7]
	v_cvt_u32_f64_e32 v6, v[2:3]
	global_store_b64 v[0:1], v[6:7], off
.LBB23_2922:
	s_mov_b32 s3, 0
.LBB23_2923:
	s_delay_alu instid0(SALU_CYCLE_1)
	s_and_b32 vcc_lo, exec_lo, s3
	s_cbranch_vccz .LBB23_2939
; %bb.2924:
	v_cmp_gt_i16_e32 vcc_lo, 27, v17
	s_mov_b32 s2, -1
	s_cbranch_vccnz .LBB23_2930
; %bb.2925:
	v_cvt_u32_f64_e32 v2, v[4:5]
	v_cmp_lt_i16_e32 vcc_lo, 27, v17
	s_cbranch_vccz .LBB23_2927
; %bb.2926:
	s_mov_b32 s2, 0
	global_store_b32 v[0:1], v2, off
.LBB23_2927:
	s_and_not1_b32 vcc_lo, exec_lo, s2
	s_cbranch_vccnz .LBB23_2929
; %bb.2928:
	global_store_b16 v[0:1], v2, off
.LBB23_2929:
	s_mov_b32 s2, 0
.LBB23_2930:
	s_delay_alu instid0(SALU_CYCLE_1)
	s_and_not1_b32 vcc_lo, exec_lo, s2
	s_cbranch_vccnz .LBB23_2938
; %bb.2931:
	v_cvt_f32_f64_e32 v2, v[4:5]
	v_mov_b32_e32 v6, 0x80
	s_mov_b32 s2, exec_lo
	s_delay_alu instid0(VALU_DEP_2) | instskip(NEXT) | instid1(VALU_DEP_1)
	v_and_b32_e32 v3, 0x7fffffff, v2
	v_cmpx_gt_u32_e32 0x43800000, v3
	s_cbranch_execz .LBB23_2937
; %bb.2932:
	v_cmp_lt_u32_e32 vcc_lo, 0x3bffffff, v3
	s_mov_b32 s3, 0
                                        ; implicit-def: $vgpr3
	s_and_saveexec_b32 s6, vcc_lo
	s_delay_alu instid0(SALU_CYCLE_1)
	s_xor_b32 s6, exec_lo, s6
	s_cbranch_execz .LBB23_3274
; %bb.2933:
	v_bfe_u32 v3, v2, 20, 1
	s_mov_b32 s3, exec_lo
	s_delay_alu instid0(VALU_DEP_1) | instskip(NEXT) | instid1(VALU_DEP_1)
	v_add3_u32 v3, v2, v3, 0x487ffff
	v_lshrrev_b32_e32 v3, 20, v3
	s_or_saveexec_b32 s6, s6
                                        ; implicit-def: $sgpr7
	s_delay_alu instid0(SALU_CYCLE_1)
	s_xor_b32 exec_lo, exec_lo, s6
	s_cbranch_execnz .LBB23_3275
.LBB23_2934:
	s_or_b32 exec_lo, exec_lo, s6
	v_mov_b32_e32 v6, s7
	s_and_saveexec_b32 s6, s3
.LBB23_2935:
	v_lshrrev_b32_e32 v2, 24, v2
	s_delay_alu instid0(VALU_DEP_1)
	v_and_or_b32 v6, 0x80, v2, v3
.LBB23_2936:
	s_or_b32 exec_lo, exec_lo, s6
.LBB23_2937:
	s_delay_alu instid0(SALU_CYCLE_1)
	s_or_b32 exec_lo, exec_lo, s2
	global_store_b8 v[0:1], v6, off
.LBB23_2938:
	s_mov_b32 s2, -1
.LBB23_2939:
	s_mov_b32 s3, 0
.LBB23_2940:
	s_delay_alu instid0(SALU_CYCLE_1)
	s_and_b32 vcc_lo, exec_lo, s3
	s_cbranch_vccz .LBB23_2980
; %bb.2941:
	v_cmp_lt_i16_e32 vcc_lo, 22, v17
	s_mov_b32 s1, -1
	s_cbranch_vccz .LBB23_2973
; %bb.2942:
	v_cmp_gt_i16_e32 vcc_lo, 24, v17
	s_cbranch_vccnz .LBB23_2962
; %bb.2943:
	v_cmp_lt_i16_e32 vcc_lo, 24, v17
	s_cbranch_vccz .LBB23_2951
; %bb.2944:
	v_cvt_f32_f64_e32 v2, v[4:5]
	v_mov_b32_e32 v6, 0x80
	s_mov_b32 s1, exec_lo
	s_delay_alu instid0(VALU_DEP_2) | instskip(NEXT) | instid1(VALU_DEP_1)
	v_and_b32_e32 v3, 0x7fffffff, v2
	v_cmpx_gt_u32_e32 0x47800000, v3
	s_cbranch_execz .LBB23_2950
; %bb.2945:
	v_cmp_lt_u32_e32 vcc_lo, 0x37ffffff, v3
	s_mov_b32 s2, 0
                                        ; implicit-def: $vgpr3
	s_and_saveexec_b32 s3, vcc_lo
	s_delay_alu instid0(SALU_CYCLE_1)
	s_xor_b32 s3, exec_lo, s3
	s_cbranch_execz .LBB23_3280
; %bb.2946:
	v_bfe_u32 v3, v2, 21, 1
	s_mov_b32 s2, exec_lo
	s_delay_alu instid0(VALU_DEP_1) | instskip(NEXT) | instid1(VALU_DEP_1)
	v_add3_u32 v3, v2, v3, 0x88fffff
	v_lshrrev_b32_e32 v3, 21, v3
	s_or_saveexec_b32 s3, s3
                                        ; implicit-def: $sgpr6
	s_delay_alu instid0(SALU_CYCLE_1)
	s_xor_b32 exec_lo, exec_lo, s3
	s_cbranch_execnz .LBB23_3281
.LBB23_2947:
	s_or_b32 exec_lo, exec_lo, s3
	v_mov_b32_e32 v6, s6
	s_and_saveexec_b32 s3, s2
.LBB23_2948:
	v_lshrrev_b32_e32 v2, 24, v2
	s_delay_alu instid0(VALU_DEP_1)
	v_and_or_b32 v6, 0x80, v2, v3
.LBB23_2949:
	s_or_b32 exec_lo, exec_lo, s3
.LBB23_2950:
	s_delay_alu instid0(SALU_CYCLE_1)
	s_or_b32 exec_lo, exec_lo, s1
	s_mov_b32 s1, 0
	global_store_b8 v[0:1], v6, off
.LBB23_2951:
	s_and_b32 vcc_lo, exec_lo, s1
	s_cbranch_vccz .LBB23_2961
; %bb.2952:
	v_cvt_f32_f64_e32 v2, v[4:5]
	s_mov_b32 s1, exec_lo
                                        ; implicit-def: $vgpr3
	s_delay_alu instid0(VALU_DEP_1) | instskip(NEXT) | instid1(VALU_DEP_1)
	v_and_b32_e32 v6, 0x7fffffff, v2
	v_cmpx_gt_u32_e32 0x43f00000, v6
	s_xor_b32 s1, exec_lo, s1
	s_cbranch_execz .LBB23_2958
; %bb.2953:
	s_mov_b32 s2, exec_lo
                                        ; implicit-def: $vgpr3
	v_cmpx_lt_u32_e32 0x3c7fffff, v6
	s_xor_b32 s2, exec_lo, s2
; %bb.2954:
	v_bfe_u32 v3, v2, 20, 1
	s_delay_alu instid0(VALU_DEP_1) | instskip(NEXT) | instid1(VALU_DEP_1)
	v_add3_u32 v3, v2, v3, 0x407ffff
	v_and_b32_e32 v6, 0xff00000, v3
	v_lshrrev_b32_e32 v3, 20, v3
	s_delay_alu instid0(VALU_DEP_2) | instskip(NEXT) | instid1(VALU_DEP_2)
	v_cmp_ne_u32_e32 vcc_lo, 0x7f00000, v6
	v_cndmask_b32_e32 v3, 0x7e, v3, vcc_lo
; %bb.2955:
	s_and_not1_saveexec_b32 s2, s2
; %bb.2956:
	v_add_f32_e64 v3, 0x46800000, |v2|
; %bb.2957:
	s_or_b32 exec_lo, exec_lo, s2
                                        ; implicit-def: $vgpr6
.LBB23_2958:
	s_and_not1_saveexec_b32 s1, s1
; %bb.2959:
	v_mov_b32_e32 v3, 0x7f
	v_cmp_lt_u32_e32 vcc_lo, 0x7f800000, v6
	s_delay_alu instid0(VALU_DEP_2)
	v_cndmask_b32_e32 v3, 0x7e, v3, vcc_lo
; %bb.2960:
	s_or_b32 exec_lo, exec_lo, s1
	v_lshrrev_b32_e32 v2, 24, v2
	s_delay_alu instid0(VALU_DEP_1)
	v_and_or_b32 v2, 0x80, v2, v3
	global_store_b8 v[0:1], v2, off
.LBB23_2961:
	s_mov_b32 s1, 0
.LBB23_2962:
	s_delay_alu instid0(SALU_CYCLE_1)
	s_and_not1_b32 vcc_lo, exec_lo, s1
	s_cbranch_vccnz .LBB23_2972
; %bb.2963:
	v_cvt_f32_f64_e32 v2, v[4:5]
	s_mov_b32 s1, exec_lo
                                        ; implicit-def: $vgpr3
	s_delay_alu instid0(VALU_DEP_1) | instskip(NEXT) | instid1(VALU_DEP_1)
	v_and_b32_e32 v6, 0x7fffffff, v2
	v_cmpx_gt_u32_e32 0x47800000, v6
	s_xor_b32 s1, exec_lo, s1
	s_cbranch_execz .LBB23_2969
; %bb.2964:
	s_mov_b32 s2, exec_lo
                                        ; implicit-def: $vgpr3
	v_cmpx_lt_u32_e32 0x387fffff, v6
	s_xor_b32 s2, exec_lo, s2
; %bb.2965:
	v_bfe_u32 v3, v2, 21, 1
	s_delay_alu instid0(VALU_DEP_1) | instskip(NEXT) | instid1(VALU_DEP_1)
	v_add3_u32 v3, v2, v3, 0x80fffff
	v_lshrrev_b32_e32 v3, 21, v3
; %bb.2966:
	s_and_not1_saveexec_b32 s2, s2
; %bb.2967:
	v_add_f32_e64 v3, 0x43000000, |v2|
; %bb.2968:
	s_or_b32 exec_lo, exec_lo, s2
                                        ; implicit-def: $vgpr6
.LBB23_2969:
	s_and_not1_saveexec_b32 s1, s1
; %bb.2970:
	v_mov_b32_e32 v3, 0x7f
	v_cmp_lt_u32_e32 vcc_lo, 0x7f800000, v6
	s_delay_alu instid0(VALU_DEP_2)
	v_cndmask_b32_e32 v3, 0x7c, v3, vcc_lo
; %bb.2971:
	s_or_b32 exec_lo, exec_lo, s1
	v_lshrrev_b32_e32 v2, 24, v2
	s_delay_alu instid0(VALU_DEP_1)
	v_and_or_b32 v2, 0x80, v2, v3
	global_store_b8 v[0:1], v2, off
.LBB23_2972:
	s_mov_b32 s1, 0
	s_mov_b32 s2, -1
.LBB23_2973:
	s_and_not1_b32 vcc_lo, exec_lo, s1
	s_mov_b32 s1, 0
	s_cbranch_vccnz .LBB23_2980
; %bb.2974:
	v_cmp_lt_i16_e32 vcc_lo, 14, v17
	s_mov_b32 s1, -1
	s_cbranch_vccz .LBB23_2978
; %bb.2975:
	v_cmp_eq_u16_e32 vcc_lo, 15, v17
	s_mov_b32 s0, -1
	s_cbranch_vccz .LBB23_2977
; %bb.2976:
	v_cvt_f32_f64_e32 v2, v[4:5]
	s_mov_b32 s0, 0
	s_mov_b32 s2, -1
	s_delay_alu instid0(VALU_DEP_1) | instskip(SKIP_1) | instid1(VALU_DEP_2)
	v_bfe_u32 v3, v2, 16, 1
	v_cmp_o_f32_e32 vcc_lo, v2, v2
	v_add3_u32 v3, v2, v3, 0x7fff
	s_delay_alu instid0(VALU_DEP_1) | instskip(NEXT) | instid1(VALU_DEP_1)
	v_lshrrev_b32_e32 v3, 16, v3
	v_cndmask_b32_e32 v2, 0x7fc0, v3, vcc_lo
	global_store_b16 v[0:1], v2, off
.LBB23_2977:
	s_mov_b32 s1, 0
.LBB23_2978:
	s_delay_alu instid0(SALU_CYCLE_1)
	s_and_b32 vcc_lo, exec_lo, s1
	s_mov_b32 s1, 0
	s_cbranch_vccz .LBB23_2980
; %bb.2979:
	v_cmp_ne_u16_e64 s0, 11, v17
	s_mov_b32 s1, -1
.LBB23_2980:
	s_delay_alu instid0(VALU_DEP_1)
	s_and_b32 vcc_lo, exec_lo, s0
	s_cbranch_vccnz .LBB23_3278
; %bb.2981:
	s_and_not1_b32 vcc_lo, exec_lo, s1
	s_cbranch_vccnz .LBB23_2983
.LBB23_2982:
	v_cmp_neq_f64_e32 vcc_lo, 0, v[4:5]
	s_mov_b32 s2, -1
	v_cndmask_b32_e64 v2, 0, 1, vcc_lo
	global_store_b8 v[0:1], v2, off
.LBB23_2983:
	s_mov_b32 s0, 0
.LBB23_2984:
	s_delay_alu instid0(SALU_CYCLE_1)
	s_and_b32 vcc_lo, exec_lo, s0
	s_cbranch_vccz .LBB23_3023
; %bb.2985:
	v_cmp_gt_i16_e32 vcc_lo, 5, v17
	s_mov_b32 s0, -1
	s_cbranch_vccnz .LBB23_3006
; %bb.2986:
	v_cmp_gt_i16_e32 vcc_lo, 8, v17
	s_cbranch_vccnz .LBB23_2996
; %bb.2987:
	v_cmp_gt_i16_e32 vcc_lo, 9, v17
	s_cbranch_vccnz .LBB23_2993
; %bb.2988:
	v_cmp_lt_i16_e32 vcc_lo, 9, v17
	s_cbranch_vccz .LBB23_2990
; %bb.2989:
	v_mov_b32_e32 v6, 0
	s_mov_b32 s0, 0
	s_delay_alu instid0(VALU_DEP_1)
	v_mov_b32_e32 v7, v6
	global_store_b128 v[0:1], v[4:7], off
.LBB23_2990:
	s_and_not1_b32 vcc_lo, exec_lo, s0
	s_cbranch_vccnz .LBB23_2992
; %bb.2991:
	v_cvt_f32_f64_e32 v2, v[4:5]
	v_mov_b32_e32 v3, 0
	global_store_b64 v[0:1], v[2:3], off
.LBB23_2992:
	s_mov_b32 s0, 0
.LBB23_2993:
	s_delay_alu instid0(SALU_CYCLE_1)
	s_and_not1_b32 vcc_lo, exec_lo, s0
	s_cbranch_vccnz .LBB23_2995
; %bb.2994:
	v_cvt_f32_f64_e32 v2, v[4:5]
	s_delay_alu instid0(VALU_DEP_1) | instskip(NEXT) | instid1(VALU_DEP_1)
	v_cvt_f16_f32_e32 v2, v2
	v_and_b32_e32 v2, 0xffff, v2
	global_store_b32 v[0:1], v2, off
.LBB23_2995:
	s_mov_b32 s0, 0
.LBB23_2996:
	s_delay_alu instid0(SALU_CYCLE_1)
	s_and_not1_b32 vcc_lo, exec_lo, s0
	s_cbranch_vccnz .LBB23_3005
; %bb.2997:
	v_cmp_gt_i16_e32 vcc_lo, 6, v17
	s_mov_b32 s0, -1
	s_cbranch_vccnz .LBB23_3003
; %bb.2998:
	v_cmp_lt_i16_e32 vcc_lo, 6, v17
	s_cbranch_vccz .LBB23_3000
; %bb.2999:
	s_mov_b32 s0, 0
	global_store_b64 v[0:1], v[4:5], off
.LBB23_3000:
	s_and_not1_b32 vcc_lo, exec_lo, s0
	s_cbranch_vccnz .LBB23_3002
; %bb.3001:
	v_cvt_f32_f64_e32 v2, v[4:5]
	global_store_b32 v[0:1], v2, off
.LBB23_3002:
	s_mov_b32 s0, 0
.LBB23_3003:
	s_delay_alu instid0(SALU_CYCLE_1)
	s_and_not1_b32 vcc_lo, exec_lo, s0
	s_cbranch_vccnz .LBB23_3005
; %bb.3004:
	v_cvt_f32_f64_e32 v2, v[4:5]
	s_delay_alu instid0(VALU_DEP_1)
	v_cvt_f16_f32_e32 v2, v2
	global_store_b16 v[0:1], v2, off
.LBB23_3005:
	s_mov_b32 s0, 0
.LBB23_3006:
	s_delay_alu instid0(SALU_CYCLE_1)
	s_and_not1_b32 vcc_lo, exec_lo, s0
	s_cbranch_vccnz .LBB23_3022
; %bb.3007:
	v_cmp_gt_i16_e32 vcc_lo, 2, v17
	s_mov_b32 s0, -1
	s_cbranch_vccnz .LBB23_3017
; %bb.3008:
	v_cmp_gt_i16_e32 vcc_lo, 3, v17
	s_cbranch_vccnz .LBB23_3014
; %bb.3009:
	v_cmp_lt_i16_e32 vcc_lo, 3, v17
	s_cbranch_vccz .LBB23_3011
; %bb.3010:
	v_trunc_f64_e32 v[2:3], v[4:5]
	s_mov_b32 s0, 0
	s_delay_alu instid0(VALU_DEP_1) | instskip(NEXT) | instid1(VALU_DEP_1)
	v_ldexp_f64 v[6:7], v[2:3], 0xffffffe0
	v_floor_f64_e32 v[6:7], v[6:7]
	s_delay_alu instid0(VALU_DEP_1) | instskip(SKIP_1) | instid1(VALU_DEP_2)
	v_fma_f64 v[2:3], 0xc1f00000, v[6:7], v[2:3]
	v_cvt_i32_f64_e32 v7, v[6:7]
	v_cvt_u32_f64_e32 v6, v[2:3]
	global_store_b64 v[0:1], v[6:7], off
.LBB23_3011:
	s_and_not1_b32 vcc_lo, exec_lo, s0
	s_cbranch_vccnz .LBB23_3013
; %bb.3012:
	v_cvt_i32_f64_e32 v2, v[4:5]
	global_store_b32 v[0:1], v2, off
.LBB23_3013:
	s_mov_b32 s0, 0
.LBB23_3014:
	s_delay_alu instid0(SALU_CYCLE_1)
	s_and_not1_b32 vcc_lo, exec_lo, s0
	s_cbranch_vccnz .LBB23_3016
; %bb.3015:
	v_cvt_i32_f64_e32 v2, v[4:5]
	global_store_b16 v[0:1], v2, off
.LBB23_3016:
	s_mov_b32 s0, 0
.LBB23_3017:
	s_delay_alu instid0(SALU_CYCLE_1)
	s_and_not1_b32 vcc_lo, exec_lo, s0
	s_cbranch_vccnz .LBB23_3022
; %bb.3018:
	v_cmp_lt_i16_e32 vcc_lo, 0, v17
	s_mov_b32 s0, -1
	s_cbranch_vccz .LBB23_3020
; %bb.3019:
	v_cvt_i32_f64_e32 v2, v[4:5]
	s_mov_b32 s0, 0
	global_store_b8 v[0:1], v2, off
.LBB23_3020:
	s_and_not1_b32 vcc_lo, exec_lo, s0
	s_cbranch_vccnz .LBB23_3022
; %bb.3021:
	v_trunc_f64_e32 v[2:3], v[4:5]
	s_delay_alu instid0(VALU_DEP_1) | instskip(NEXT) | instid1(VALU_DEP_1)
	v_ldexp_f64 v[4:5], v[2:3], 0xffffffe0
	v_floor_f64_e32 v[4:5], v[4:5]
	s_delay_alu instid0(VALU_DEP_1) | instskip(NEXT) | instid1(VALU_DEP_1)
	v_fma_f64 v[2:3], 0xc1f00000, v[4:5], v[2:3]
	v_cvt_u32_f64_e32 v2, v[2:3]
	global_store_b8 v[0:1], v2, off
.LBB23_3022:
	s_mov_b32 s2, -1
.LBB23_3023:
	s_delay_alu instid0(SALU_CYCLE_1)
	s_and_not1_b32 vcc_lo, exec_lo, s2
	s_cbranch_vccnz .LBB23_3263
; %bb.3024:
	v_cmp_gt_i16_e32 vcc_lo, 11, v17
	v_add_co_u32 v0, s0, s4, v10
	s_delay_alu instid0(VALU_DEP_1)
	v_add_co_ci_u32_e64 v1, null, s5, 0, s0
	s_mov_b32 s2, 0
	s_mov_b32 s0, -1
	s_cbranch_vccnz .LBB23_3102
; %bb.3025:
	v_cmp_lt_i16_e32 vcc_lo, 25, v17
	s_mov_b32 s3, -1
	s_mov_b32 s1, 0
	s_mov_b32 s0, 0
	s_cbranch_vccz .LBB23_3058
; %bb.3026:
	v_cmp_lt_i16_e32 vcc_lo, 28, v17
	s_cbranch_vccz .LBB23_3041
; %bb.3027:
	v_cmp_lt_i16_e32 vcc_lo, 43, v17
	;; [unrolled: 3-line block ×3, first 2 shown]
	s_cbranch_vccz .LBB23_3031
; %bb.3029:
	v_cmp_eq_u16_e32 vcc_lo, 46, v17
	s_mov_b32 s0, -1
	s_mov_b32 s3, 0
	s_cbranch_vccz .LBB23_3031
; %bb.3030:
	v_cvt_f32_f64_e32 v2, v[8:9]
	s_mov_b32 s0, 0
	s_mov_b32 s2, -1
	s_delay_alu instid0(VALU_DEP_1) | instskip(SKIP_1) | instid1(VALU_DEP_2)
	v_bfe_u32 v3, v2, 16, 1
	v_cmp_o_f32_e32 vcc_lo, v2, v2
	v_add3_u32 v3, v2, v3, 0x7fff
	s_delay_alu instid0(VALU_DEP_1) | instskip(NEXT) | instid1(VALU_DEP_1)
	v_lshrrev_b32_e32 v3, 16, v3
	v_cndmask_b32_e32 v2, 0x7fc0, v3, vcc_lo
	global_store_b32 v[0:1], v2, off
.LBB23_3031:
	s_and_b32 vcc_lo, exec_lo, s3
	s_cbranch_vccz .LBB23_3036
; %bb.3032:
	v_cmp_eq_u16_e32 vcc_lo, 44, v17
	s_mov_b32 s0, -1
	s_cbranch_vccz .LBB23_3036
; %bb.3033:
	v_cvt_f32_f64_e32 v2, v[8:9]
	v_mov_b32_e32 v3, 0xff
	s_mov_b32 s2, exec_lo
	s_delay_alu instid0(VALU_DEP_2) | instskip(NEXT) | instid1(VALU_DEP_1)
	v_bfe_u32 v4, v2, 23, 8
	v_cmpx_ne_u32_e32 0xff, v4
; %bb.3034:
	v_and_b32_e32 v3, 0x400000, v2
	v_and_or_b32 v4, 0x3fffff, v2, v4
	v_lshrrev_b32_e32 v2, 23, v2
	s_delay_alu instid0(VALU_DEP_3) | instskip(NEXT) | instid1(VALU_DEP_3)
	v_cmp_ne_u32_e32 vcc_lo, 0, v3
	v_cmp_ne_u32_e64 s0, 0, v4
	s_delay_alu instid0(VALU_DEP_1) | instskip(NEXT) | instid1(SALU_CYCLE_1)
	s_and_b32 s0, vcc_lo, s0
	v_cndmask_b32_e64 v3, 0, 1, s0
	s_delay_alu instid0(VALU_DEP_1)
	v_add_nc_u32_e32 v3, v2, v3
; %bb.3035:
	s_or_b32 exec_lo, exec_lo, s2
	s_mov_b32 s0, 0
	s_mov_b32 s2, -1
	global_store_b8 v[0:1], v3, off
.LBB23_3036:
	s_mov_b32 s3, 0
.LBB23_3037:
	s_delay_alu instid0(SALU_CYCLE_1)
	s_and_b32 vcc_lo, exec_lo, s3
	s_cbranch_vccz .LBB23_3040
; %bb.3038:
	v_cmp_eq_u16_e32 vcc_lo, 29, v17
	s_mov_b32 s0, -1
	s_cbranch_vccz .LBB23_3040
; %bb.3039:
	v_trunc_f64_e32 v[2:3], v[8:9]
	s_mov_b32 s0, 0
	s_mov_b32 s2, -1
	s_delay_alu instid0(VALU_DEP_1) | instskip(NEXT) | instid1(VALU_DEP_1)
	v_ldexp_f64 v[4:5], v[2:3], 0xffffffe0
	v_floor_f64_e32 v[4:5], v[4:5]
	s_delay_alu instid0(VALU_DEP_1) | instskip(SKIP_1) | instid1(VALU_DEP_2)
	v_fma_f64 v[2:3], 0xc1f00000, v[4:5], v[2:3]
	v_cvt_u32_f64_e32 v4, v[4:5]
	v_cvt_u32_f64_e32 v3, v[2:3]
	global_store_b64 v[0:1], v[3:4], off
.LBB23_3040:
	s_mov_b32 s3, 0
.LBB23_3041:
	s_delay_alu instid0(SALU_CYCLE_1)
	s_and_b32 vcc_lo, exec_lo, s3
	s_cbranch_vccz .LBB23_3057
; %bb.3042:
	v_cmp_gt_i16_e32 vcc_lo, 27, v17
	s_mov_b32 s2, -1
	s_cbranch_vccnz .LBB23_3048
; %bb.3043:
	v_cmp_lt_i16_e32 vcc_lo, 27, v17
	s_cbranch_vccz .LBB23_3045
; %bb.3044:
	v_cvt_u32_f64_e32 v2, v[8:9]
	s_mov_b32 s2, 0
	global_store_b32 v[0:1], v2, off
.LBB23_3045:
	s_and_not1_b32 vcc_lo, exec_lo, s2
	s_cbranch_vccnz .LBB23_3047
; %bb.3046:
	v_cvt_u32_f64_e32 v2, v[8:9]
	global_store_b16 v[0:1], v2, off
.LBB23_3047:
	s_mov_b32 s2, 0
.LBB23_3048:
	s_delay_alu instid0(SALU_CYCLE_1)
	s_and_not1_b32 vcc_lo, exec_lo, s2
	s_cbranch_vccnz .LBB23_3056
; %bb.3049:
	v_cvt_f32_f64_e32 v2, v[8:9]
	v_mov_b32_e32 v4, 0x80
	s_mov_b32 s2, exec_lo
	s_delay_alu instid0(VALU_DEP_2) | instskip(NEXT) | instid1(VALU_DEP_1)
	v_and_b32_e32 v3, 0x7fffffff, v2
	v_cmpx_gt_u32_e32 0x43800000, v3
	s_cbranch_execz .LBB23_3055
; %bb.3050:
	v_cmp_lt_u32_e32 vcc_lo, 0x3bffffff, v3
	s_mov_b32 s3, 0
                                        ; implicit-def: $vgpr3
	s_and_saveexec_b32 s6, vcc_lo
	s_delay_alu instid0(SALU_CYCLE_1)
	s_xor_b32 s6, exec_lo, s6
	s_cbranch_execz .LBB23_3282
; %bb.3051:
	v_bfe_u32 v3, v2, 20, 1
	s_mov_b32 s3, exec_lo
	s_delay_alu instid0(VALU_DEP_1) | instskip(NEXT) | instid1(VALU_DEP_1)
	v_add3_u32 v3, v2, v3, 0x487ffff
	v_lshrrev_b32_e32 v3, 20, v3
	s_or_saveexec_b32 s6, s6
                                        ; implicit-def: $sgpr7
	s_delay_alu instid0(SALU_CYCLE_1)
	s_xor_b32 exec_lo, exec_lo, s6
	s_cbranch_execnz .LBB23_3283
.LBB23_3052:
	s_or_b32 exec_lo, exec_lo, s6
	v_mov_b32_e32 v4, s7
	s_and_saveexec_b32 s6, s3
.LBB23_3053:
	v_lshrrev_b32_e32 v2, 24, v2
	s_delay_alu instid0(VALU_DEP_1)
	v_and_or_b32 v4, 0x80, v2, v3
.LBB23_3054:
	s_or_b32 exec_lo, exec_lo, s6
.LBB23_3055:
	s_delay_alu instid0(SALU_CYCLE_1)
	s_or_b32 exec_lo, exec_lo, s2
	global_store_b8 v[0:1], v4, off
.LBB23_3056:
	s_mov_b32 s2, -1
.LBB23_3057:
	s_mov_b32 s3, 0
.LBB23_3058:
	s_delay_alu instid0(SALU_CYCLE_1)
	s_and_b32 vcc_lo, exec_lo, s3
	s_cbranch_vccz .LBB23_3098
; %bb.3059:
	v_cmp_lt_i16_e32 vcc_lo, 22, v17
	s_mov_b32 s1, -1
	s_cbranch_vccz .LBB23_3091
; %bb.3060:
	v_cmp_gt_i16_e32 vcc_lo, 24, v17
	s_cbranch_vccnz .LBB23_3080
; %bb.3061:
	v_cmp_lt_i16_e32 vcc_lo, 24, v17
	s_cbranch_vccz .LBB23_3069
; %bb.3062:
	v_cvt_f32_f64_e32 v2, v[8:9]
	v_mov_b32_e32 v4, 0x80
	s_mov_b32 s1, exec_lo
	s_delay_alu instid0(VALU_DEP_2) | instskip(NEXT) | instid1(VALU_DEP_1)
	v_and_b32_e32 v3, 0x7fffffff, v2
	v_cmpx_gt_u32_e32 0x47800000, v3
	s_cbranch_execz .LBB23_3068
; %bb.3063:
	v_cmp_lt_u32_e32 vcc_lo, 0x37ffffff, v3
	s_mov_b32 s2, 0
                                        ; implicit-def: $vgpr3
	s_and_saveexec_b32 s3, vcc_lo
	s_delay_alu instid0(SALU_CYCLE_1)
	s_xor_b32 s3, exec_lo, s3
	s_cbranch_execz .LBB23_3288
; %bb.3064:
	v_bfe_u32 v3, v2, 21, 1
	s_mov_b32 s2, exec_lo
	s_delay_alu instid0(VALU_DEP_1) | instskip(NEXT) | instid1(VALU_DEP_1)
	v_add3_u32 v3, v2, v3, 0x88fffff
	v_lshrrev_b32_e32 v3, 21, v3
	s_or_saveexec_b32 s3, s3
                                        ; implicit-def: $sgpr6
	s_delay_alu instid0(SALU_CYCLE_1)
	s_xor_b32 exec_lo, exec_lo, s3
	s_cbranch_execnz .LBB23_3289
.LBB23_3065:
	s_or_b32 exec_lo, exec_lo, s3
	v_mov_b32_e32 v4, s6
	s_and_saveexec_b32 s3, s2
.LBB23_3066:
	v_lshrrev_b32_e32 v2, 24, v2
	s_delay_alu instid0(VALU_DEP_1)
	v_and_or_b32 v4, 0x80, v2, v3
.LBB23_3067:
	s_or_b32 exec_lo, exec_lo, s3
.LBB23_3068:
	s_delay_alu instid0(SALU_CYCLE_1)
	s_or_b32 exec_lo, exec_lo, s1
	s_mov_b32 s1, 0
	global_store_b8 v[0:1], v4, off
.LBB23_3069:
	s_and_b32 vcc_lo, exec_lo, s1
	s_cbranch_vccz .LBB23_3079
; %bb.3070:
	v_cvt_f32_f64_e32 v2, v[8:9]
	s_mov_b32 s1, exec_lo
                                        ; implicit-def: $vgpr3
	s_delay_alu instid0(VALU_DEP_1) | instskip(NEXT) | instid1(VALU_DEP_1)
	v_and_b32_e32 v4, 0x7fffffff, v2
	v_cmpx_gt_u32_e32 0x43f00000, v4
	s_xor_b32 s1, exec_lo, s1
	s_cbranch_execz .LBB23_3076
; %bb.3071:
	s_mov_b32 s2, exec_lo
                                        ; implicit-def: $vgpr3
	v_cmpx_lt_u32_e32 0x3c7fffff, v4
	s_xor_b32 s2, exec_lo, s2
; %bb.3072:
	v_bfe_u32 v3, v2, 20, 1
	s_delay_alu instid0(VALU_DEP_1) | instskip(NEXT) | instid1(VALU_DEP_1)
	v_add3_u32 v3, v2, v3, 0x407ffff
	v_and_b32_e32 v4, 0xff00000, v3
	v_lshrrev_b32_e32 v3, 20, v3
	s_delay_alu instid0(VALU_DEP_2) | instskip(NEXT) | instid1(VALU_DEP_2)
	v_cmp_ne_u32_e32 vcc_lo, 0x7f00000, v4
	v_cndmask_b32_e32 v3, 0x7e, v3, vcc_lo
; %bb.3073:
	s_and_not1_saveexec_b32 s2, s2
; %bb.3074:
	v_add_f32_e64 v3, 0x46800000, |v2|
; %bb.3075:
	s_or_b32 exec_lo, exec_lo, s2
                                        ; implicit-def: $vgpr4
.LBB23_3076:
	s_and_not1_saveexec_b32 s1, s1
; %bb.3077:
	v_mov_b32_e32 v3, 0x7f
	v_cmp_lt_u32_e32 vcc_lo, 0x7f800000, v4
	s_delay_alu instid0(VALU_DEP_2)
	v_cndmask_b32_e32 v3, 0x7e, v3, vcc_lo
; %bb.3078:
	s_or_b32 exec_lo, exec_lo, s1
	v_lshrrev_b32_e32 v2, 24, v2
	s_delay_alu instid0(VALU_DEP_1)
	v_and_or_b32 v2, 0x80, v2, v3
	global_store_b8 v[0:1], v2, off
.LBB23_3079:
	s_mov_b32 s1, 0
.LBB23_3080:
	s_delay_alu instid0(SALU_CYCLE_1)
	s_and_not1_b32 vcc_lo, exec_lo, s1
	s_cbranch_vccnz .LBB23_3090
; %bb.3081:
	v_cvt_f32_f64_e32 v2, v[8:9]
	s_mov_b32 s1, exec_lo
                                        ; implicit-def: $vgpr3
	s_delay_alu instid0(VALU_DEP_1) | instskip(NEXT) | instid1(VALU_DEP_1)
	v_and_b32_e32 v4, 0x7fffffff, v2
	v_cmpx_gt_u32_e32 0x47800000, v4
	s_xor_b32 s1, exec_lo, s1
	s_cbranch_execz .LBB23_3087
; %bb.3082:
	s_mov_b32 s2, exec_lo
                                        ; implicit-def: $vgpr3
	v_cmpx_lt_u32_e32 0x387fffff, v4
	s_xor_b32 s2, exec_lo, s2
; %bb.3083:
	v_bfe_u32 v3, v2, 21, 1
	s_delay_alu instid0(VALU_DEP_1) | instskip(NEXT) | instid1(VALU_DEP_1)
	v_add3_u32 v3, v2, v3, 0x80fffff
	v_lshrrev_b32_e32 v3, 21, v3
; %bb.3084:
	s_and_not1_saveexec_b32 s2, s2
; %bb.3085:
	v_add_f32_e64 v3, 0x43000000, |v2|
; %bb.3086:
	s_or_b32 exec_lo, exec_lo, s2
                                        ; implicit-def: $vgpr4
.LBB23_3087:
	s_and_not1_saveexec_b32 s1, s1
; %bb.3088:
	v_mov_b32_e32 v3, 0x7f
	v_cmp_lt_u32_e32 vcc_lo, 0x7f800000, v4
	s_delay_alu instid0(VALU_DEP_2)
	v_cndmask_b32_e32 v3, 0x7c, v3, vcc_lo
; %bb.3089:
	s_or_b32 exec_lo, exec_lo, s1
	v_lshrrev_b32_e32 v2, 24, v2
	s_delay_alu instid0(VALU_DEP_1)
	v_and_or_b32 v2, 0x80, v2, v3
	global_store_b8 v[0:1], v2, off
.LBB23_3090:
	s_mov_b32 s1, 0
	s_mov_b32 s2, -1
.LBB23_3091:
	s_and_not1_b32 vcc_lo, exec_lo, s1
	s_mov_b32 s1, 0
	s_cbranch_vccnz .LBB23_3098
; %bb.3092:
	v_cmp_lt_i16_e32 vcc_lo, 14, v17
	s_mov_b32 s1, -1
	s_cbranch_vccz .LBB23_3096
; %bb.3093:
	v_cmp_eq_u16_e32 vcc_lo, 15, v17
	s_mov_b32 s0, -1
	s_cbranch_vccz .LBB23_3095
; %bb.3094:
	v_cvt_f32_f64_e32 v2, v[8:9]
	s_mov_b32 s0, 0
	s_mov_b32 s2, -1
	s_delay_alu instid0(VALU_DEP_1) | instskip(SKIP_1) | instid1(VALU_DEP_2)
	v_bfe_u32 v3, v2, 16, 1
	v_cmp_o_f32_e32 vcc_lo, v2, v2
	v_add3_u32 v3, v2, v3, 0x7fff
	s_delay_alu instid0(VALU_DEP_1) | instskip(NEXT) | instid1(VALU_DEP_1)
	v_lshrrev_b32_e32 v3, 16, v3
	v_cndmask_b32_e32 v2, 0x7fc0, v3, vcc_lo
	global_store_b16 v[0:1], v2, off
.LBB23_3095:
	s_mov_b32 s1, 0
.LBB23_3096:
	s_delay_alu instid0(SALU_CYCLE_1)
	s_and_b32 vcc_lo, exec_lo, s1
	s_mov_b32 s1, 0
	s_cbranch_vccz .LBB23_3098
; %bb.3097:
	v_cmp_ne_u16_e64 s0, 11, v17
	s_mov_b32 s1, -1
.LBB23_3098:
	s_delay_alu instid0(VALU_DEP_1)
	s_and_b32 vcc_lo, exec_lo, s0
	s_cbranch_vccnz .LBB23_3286
; %bb.3099:
	s_and_not1_b32 vcc_lo, exec_lo, s1
	s_cbranch_vccnz .LBB23_3101
.LBB23_3100:
	v_cmp_neq_f64_e32 vcc_lo, 0, v[8:9]
	s_mov_b32 s2, -1
	v_cndmask_b32_e64 v2, 0, 1, vcc_lo
	global_store_b8 v[0:1], v2, off
.LBB23_3101:
	s_mov_b32 s0, 0
.LBB23_3102:
	s_delay_alu instid0(SALU_CYCLE_1)
	s_and_b32 vcc_lo, exec_lo, s0
	s_cbranch_vccz .LBB23_3141
; %bb.3103:
	v_cmp_gt_i16_e32 vcc_lo, 5, v17
	s_mov_b32 s0, -1
	s_cbranch_vccnz .LBB23_3124
; %bb.3104:
	v_cmp_gt_i16_e32 vcc_lo, 8, v17
	s_cbranch_vccnz .LBB23_3114
; %bb.3105:
	v_cmp_gt_i16_e32 vcc_lo, 9, v17
	s_cbranch_vccnz .LBB23_3111
; %bb.3106:
	v_cmp_lt_i16_e32 vcc_lo, 9, v17
	s_cbranch_vccz .LBB23_3108
; %bb.3107:
	v_mov_b32_e32 v10, 0
	s_mov_b32 s0, 0
	s_delay_alu instid0(VALU_DEP_1)
	v_mov_b32_e32 v11, v10
	global_store_b128 v[0:1], v[8:11], off
.LBB23_3108:
	s_and_not1_b32 vcc_lo, exec_lo, s0
	s_cbranch_vccnz .LBB23_3110
; %bb.3109:
	v_cvt_f32_f64_e32 v2, v[8:9]
	v_mov_b32_e32 v3, 0
	global_store_b64 v[0:1], v[2:3], off
.LBB23_3110:
	s_mov_b32 s0, 0
.LBB23_3111:
	s_delay_alu instid0(SALU_CYCLE_1)
	s_and_not1_b32 vcc_lo, exec_lo, s0
	s_cbranch_vccnz .LBB23_3113
; %bb.3112:
	v_cvt_f32_f64_e32 v2, v[8:9]
	s_delay_alu instid0(VALU_DEP_1) | instskip(NEXT) | instid1(VALU_DEP_1)
	v_cvt_f16_f32_e32 v2, v2
	v_and_b32_e32 v2, 0xffff, v2
	global_store_b32 v[0:1], v2, off
.LBB23_3113:
	s_mov_b32 s0, 0
.LBB23_3114:
	s_delay_alu instid0(SALU_CYCLE_1)
	s_and_not1_b32 vcc_lo, exec_lo, s0
	s_cbranch_vccnz .LBB23_3123
; %bb.3115:
	v_cmp_gt_i16_e32 vcc_lo, 6, v17
	s_mov_b32 s0, -1
	s_cbranch_vccnz .LBB23_3121
; %bb.3116:
	v_cmp_lt_i16_e32 vcc_lo, 6, v17
	s_cbranch_vccz .LBB23_3118
; %bb.3117:
	s_mov_b32 s0, 0
	global_store_b64 v[0:1], v[8:9], off
.LBB23_3118:
	s_and_not1_b32 vcc_lo, exec_lo, s0
	s_cbranch_vccnz .LBB23_3120
; %bb.3119:
	v_cvt_f32_f64_e32 v2, v[8:9]
	global_store_b32 v[0:1], v2, off
.LBB23_3120:
	s_mov_b32 s0, 0
.LBB23_3121:
	s_delay_alu instid0(SALU_CYCLE_1)
	s_and_not1_b32 vcc_lo, exec_lo, s0
	s_cbranch_vccnz .LBB23_3123
; %bb.3122:
	v_cvt_f32_f64_e32 v2, v[8:9]
	s_delay_alu instid0(VALU_DEP_1)
	v_cvt_f16_f32_e32 v2, v2
	global_store_b16 v[0:1], v2, off
.LBB23_3123:
	s_mov_b32 s0, 0
.LBB23_3124:
	s_delay_alu instid0(SALU_CYCLE_1)
	s_and_not1_b32 vcc_lo, exec_lo, s0
	s_cbranch_vccnz .LBB23_3140
; %bb.3125:
	v_cmp_gt_i16_e32 vcc_lo, 2, v17
	s_mov_b32 s0, -1
	s_cbranch_vccnz .LBB23_3135
; %bb.3126:
	v_cmp_gt_i16_e32 vcc_lo, 3, v17
	s_cbranch_vccnz .LBB23_3132
; %bb.3127:
	v_cmp_lt_i16_e32 vcc_lo, 3, v17
	s_cbranch_vccz .LBB23_3129
; %bb.3128:
	v_trunc_f64_e32 v[2:3], v[8:9]
	s_mov_b32 s0, 0
	s_delay_alu instid0(VALU_DEP_1) | instskip(NEXT) | instid1(VALU_DEP_1)
	v_ldexp_f64 v[4:5], v[2:3], 0xffffffe0
	v_floor_f64_e32 v[4:5], v[4:5]
	s_delay_alu instid0(VALU_DEP_1) | instskip(SKIP_1) | instid1(VALU_DEP_2)
	v_fma_f64 v[2:3], 0xc1f00000, v[4:5], v[2:3]
	v_cvt_i32_f64_e32 v4, v[4:5]
	v_cvt_u32_f64_e32 v3, v[2:3]
	global_store_b64 v[0:1], v[3:4], off
.LBB23_3129:
	s_and_not1_b32 vcc_lo, exec_lo, s0
	s_cbranch_vccnz .LBB23_3131
; %bb.3130:
	v_cvt_i32_f64_e32 v2, v[8:9]
	global_store_b32 v[0:1], v2, off
.LBB23_3131:
	s_mov_b32 s0, 0
.LBB23_3132:
	s_delay_alu instid0(SALU_CYCLE_1)
	s_and_not1_b32 vcc_lo, exec_lo, s0
	s_cbranch_vccnz .LBB23_3134
; %bb.3133:
	v_cvt_i32_f64_e32 v2, v[8:9]
	global_store_b16 v[0:1], v2, off
.LBB23_3134:
	s_mov_b32 s0, 0
.LBB23_3135:
	s_delay_alu instid0(SALU_CYCLE_1)
	s_and_not1_b32 vcc_lo, exec_lo, s0
	s_cbranch_vccnz .LBB23_3140
; %bb.3136:
	v_cmp_lt_i16_e32 vcc_lo, 0, v17
	s_mov_b32 s0, -1
	s_cbranch_vccz .LBB23_3138
; %bb.3137:
	v_cvt_i32_f64_e32 v2, v[8:9]
	s_mov_b32 s0, 0
	global_store_b8 v[0:1], v2, off
.LBB23_3138:
	s_and_not1_b32 vcc_lo, exec_lo, s0
	s_cbranch_vccnz .LBB23_3140
; %bb.3139:
	v_trunc_f64_e32 v[2:3], v[8:9]
	s_delay_alu instid0(VALU_DEP_1) | instskip(NEXT) | instid1(VALU_DEP_1)
	v_ldexp_f64 v[4:5], v[2:3], 0xffffffe0
	v_floor_f64_e32 v[4:5], v[4:5]
	s_delay_alu instid0(VALU_DEP_1) | instskip(NEXT) | instid1(VALU_DEP_1)
	v_fma_f64 v[2:3], 0xc1f00000, v[4:5], v[2:3]
	v_cvt_u32_f64_e32 v2, v[2:3]
	global_store_b8 v[0:1], v2, off
.LBB23_3140:
	s_mov_b32 s2, -1
.LBB23_3141:
	s_delay_alu instid0(SALU_CYCLE_1)
	s_and_not1_b32 vcc_lo, exec_lo, s2
	s_cbranch_vccnz .LBB23_3263
; %bb.3142:
	v_cmp_gt_i16_e32 vcc_lo, 11, v17
	v_add_co_u32 v0, s0, s4, v14
	s_delay_alu instid0(VALU_DEP_1)
	v_add_co_ci_u32_e64 v1, null, s5, 0, s0
	s_mov_b32 s1, 0
	s_mov_b32 s0, -1
	s_cbranch_vccnz .LBB23_3219
; %bb.3143:
	v_cmp_lt_i16_e32 vcc_lo, 25, v17
	s_mov_b32 s2, -1
	s_mov_b32 s0, 0
	s_cbranch_vccz .LBB23_3176
; %bb.3144:
	v_cmp_lt_i16_e32 vcc_lo, 28, v17
	s_cbranch_vccz .LBB23_3160
; %bb.3145:
	v_cmp_lt_i16_e32 vcc_lo, 43, v17
	;; [unrolled: 3-line block ×3, first 2 shown]
	s_cbranch_vccz .LBB23_3150
; %bb.3147:
	v_cmp_eq_u16_e32 vcc_lo, 46, v17
	s_mov_b32 s0, -1
	s_cbranch_vccz .LBB23_3149
; %bb.3148:
	v_cvt_f32_f64_e32 v2, v[12:13]
	s_mov_b32 s0, 0
	s_delay_alu instid0(VALU_DEP_1) | instskip(SKIP_1) | instid1(VALU_DEP_2)
	v_bfe_u32 v3, v2, 16, 1
	v_cmp_o_f32_e32 vcc_lo, v2, v2
	v_add3_u32 v3, v2, v3, 0x7fff
	s_delay_alu instid0(VALU_DEP_1) | instskip(NEXT) | instid1(VALU_DEP_1)
	v_lshrrev_b32_e32 v3, 16, v3
	v_cndmask_b32_e32 v2, 0x7fc0, v3, vcc_lo
	global_store_b32 v[0:1], v2, off
.LBB23_3149:
	s_mov_b32 s2, 0
.LBB23_3150:
	s_delay_alu instid0(SALU_CYCLE_1)
	s_and_b32 vcc_lo, exec_lo, s2
	s_cbranch_vccz .LBB23_3155
; %bb.3151:
	v_cmp_eq_u16_e32 vcc_lo, 44, v17
	s_mov_b32 s0, -1
	s_cbranch_vccz .LBB23_3155
; %bb.3152:
	v_cvt_f32_f64_e32 v2, v[12:13]
	v_mov_b32_e32 v3, 0xff
	s_mov_b32 s2, exec_lo
	s_delay_alu instid0(VALU_DEP_2) | instskip(NEXT) | instid1(VALU_DEP_1)
	v_bfe_u32 v4, v2, 23, 8
	v_cmpx_ne_u32_e32 0xff, v4
; %bb.3153:
	v_and_b32_e32 v3, 0x400000, v2
	v_and_or_b32 v4, 0x3fffff, v2, v4
	v_lshrrev_b32_e32 v2, 23, v2
	s_delay_alu instid0(VALU_DEP_3) | instskip(NEXT) | instid1(VALU_DEP_3)
	v_cmp_ne_u32_e32 vcc_lo, 0, v3
	v_cmp_ne_u32_e64 s0, 0, v4
	s_delay_alu instid0(VALU_DEP_1) | instskip(NEXT) | instid1(SALU_CYCLE_1)
	s_and_b32 s0, vcc_lo, s0
	v_cndmask_b32_e64 v3, 0, 1, s0
	s_delay_alu instid0(VALU_DEP_1)
	v_add_nc_u32_e32 v3, v2, v3
; %bb.3154:
	s_or_b32 exec_lo, exec_lo, s2
	s_mov_b32 s0, 0
	global_store_b8 v[0:1], v3, off
.LBB23_3155:
	s_mov_b32 s2, 0
.LBB23_3156:
	s_delay_alu instid0(SALU_CYCLE_1)
	s_and_b32 vcc_lo, exec_lo, s2
	s_cbranch_vccz .LBB23_3159
; %bb.3157:
	v_cmp_eq_u16_e32 vcc_lo, 29, v17
	s_mov_b32 s0, -1
	s_cbranch_vccz .LBB23_3159
; %bb.3158:
	v_trunc_f64_e32 v[2:3], v[12:13]
	s_mov_b32 s0, 0
	s_delay_alu instid0(VALU_DEP_1) | instskip(NEXT) | instid1(VALU_DEP_1)
	v_ldexp_f64 v[4:5], v[2:3], 0xffffffe0
	v_floor_f64_e32 v[4:5], v[4:5]
	s_delay_alu instid0(VALU_DEP_1) | instskip(SKIP_1) | instid1(VALU_DEP_2)
	v_fma_f64 v[2:3], 0xc1f00000, v[4:5], v[2:3]
	v_cvt_u32_f64_e32 v4, v[4:5]
	v_cvt_u32_f64_e32 v3, v[2:3]
	global_store_b64 v[0:1], v[3:4], off
.LBB23_3159:
	s_mov_b32 s2, 0
.LBB23_3160:
	s_delay_alu instid0(SALU_CYCLE_1)
	s_and_b32 vcc_lo, exec_lo, s2
	s_cbranch_vccz .LBB23_3175
; %bb.3161:
	v_cmp_gt_i16_e32 vcc_lo, 27, v17
	s_mov_b32 s2, -1
	s_cbranch_vccnz .LBB23_3167
; %bb.3162:
	v_cmp_lt_i16_e32 vcc_lo, 27, v17
	s_cbranch_vccz .LBB23_3164
; %bb.3163:
	v_cvt_u32_f64_e32 v2, v[12:13]
	s_mov_b32 s2, 0
	global_store_b32 v[0:1], v2, off
.LBB23_3164:
	s_and_not1_b32 vcc_lo, exec_lo, s2
	s_cbranch_vccnz .LBB23_3166
; %bb.3165:
	v_cvt_u32_f64_e32 v2, v[12:13]
	global_store_b16 v[0:1], v2, off
.LBB23_3166:
	s_mov_b32 s2, 0
.LBB23_3167:
	s_delay_alu instid0(SALU_CYCLE_1)
	s_and_not1_b32 vcc_lo, exec_lo, s2
	s_cbranch_vccnz .LBB23_3175
; %bb.3168:
	v_cvt_f32_f64_e32 v2, v[12:13]
	v_mov_b32_e32 v4, 0x80
	s_mov_b32 s2, exec_lo
	s_delay_alu instid0(VALU_DEP_2) | instskip(NEXT) | instid1(VALU_DEP_1)
	v_and_b32_e32 v3, 0x7fffffff, v2
	v_cmpx_gt_u32_e32 0x43800000, v3
	s_cbranch_execz .LBB23_3174
; %bb.3169:
	v_cmp_lt_u32_e32 vcc_lo, 0x3bffffff, v3
	s_mov_b32 s3, 0
                                        ; implicit-def: $vgpr3
	s_and_saveexec_b32 s4, vcc_lo
	s_delay_alu instid0(SALU_CYCLE_1)
	s_xor_b32 s4, exec_lo, s4
	s_cbranch_execz .LBB23_3290
; %bb.3170:
	v_bfe_u32 v3, v2, 20, 1
	s_mov_b32 s3, exec_lo
	s_delay_alu instid0(VALU_DEP_1) | instskip(NEXT) | instid1(VALU_DEP_1)
	v_add3_u32 v3, v2, v3, 0x487ffff
	v_lshrrev_b32_e32 v3, 20, v3
	s_or_saveexec_b32 s4, s4
                                        ; implicit-def: $sgpr5
	s_delay_alu instid0(SALU_CYCLE_1)
	s_xor_b32 exec_lo, exec_lo, s4
	s_cbranch_execnz .LBB23_3291
.LBB23_3171:
	s_or_b32 exec_lo, exec_lo, s4
	v_mov_b32_e32 v4, s5
	s_and_saveexec_b32 s4, s3
.LBB23_3172:
	v_lshrrev_b32_e32 v2, 24, v2
	s_delay_alu instid0(VALU_DEP_1)
	v_and_or_b32 v4, 0x80, v2, v3
.LBB23_3173:
	s_or_b32 exec_lo, exec_lo, s4
.LBB23_3174:
	s_delay_alu instid0(SALU_CYCLE_1)
	s_or_b32 exec_lo, exec_lo, s2
	global_store_b8 v[0:1], v4, off
.LBB23_3175:
	s_mov_b32 s2, 0
.LBB23_3176:
	s_delay_alu instid0(SALU_CYCLE_1)
	s_and_b32 vcc_lo, exec_lo, s2
	s_cbranch_vccz .LBB23_3216
; %bb.3177:
	v_cmp_lt_i16_e32 vcc_lo, 22, v17
	s_mov_b32 s1, -1
	s_cbranch_vccz .LBB23_3209
; %bb.3178:
	v_cmp_gt_i16_e32 vcc_lo, 24, v17
	s_cbranch_vccnz .LBB23_3198
; %bb.3179:
	v_cmp_lt_i16_e32 vcc_lo, 24, v17
	s_cbranch_vccz .LBB23_3187
; %bb.3180:
	v_cvt_f32_f64_e32 v2, v[12:13]
	v_mov_b32_e32 v4, 0x80
	s_mov_b32 s1, exec_lo
	s_delay_alu instid0(VALU_DEP_2) | instskip(NEXT) | instid1(VALU_DEP_1)
	v_and_b32_e32 v3, 0x7fffffff, v2
	v_cmpx_gt_u32_e32 0x47800000, v3
	s_cbranch_execz .LBB23_3186
; %bb.3181:
	v_cmp_lt_u32_e32 vcc_lo, 0x37ffffff, v3
	s_mov_b32 s2, 0
                                        ; implicit-def: $vgpr3
	s_and_saveexec_b32 s3, vcc_lo
	s_delay_alu instid0(SALU_CYCLE_1)
	s_xor_b32 s3, exec_lo, s3
	s_cbranch_execz .LBB23_3296
; %bb.3182:
	v_bfe_u32 v3, v2, 21, 1
	s_mov_b32 s2, exec_lo
	s_delay_alu instid0(VALU_DEP_1) | instskip(NEXT) | instid1(VALU_DEP_1)
	v_add3_u32 v3, v2, v3, 0x88fffff
	v_lshrrev_b32_e32 v3, 21, v3
	s_or_saveexec_b32 s3, s3
                                        ; implicit-def: $sgpr4
	s_delay_alu instid0(SALU_CYCLE_1)
	s_xor_b32 exec_lo, exec_lo, s3
	s_cbranch_execnz .LBB23_3297
.LBB23_3183:
	s_or_b32 exec_lo, exec_lo, s3
	v_mov_b32_e32 v4, s4
	s_and_saveexec_b32 s3, s2
.LBB23_3184:
	v_lshrrev_b32_e32 v2, 24, v2
	s_delay_alu instid0(VALU_DEP_1)
	v_and_or_b32 v4, 0x80, v2, v3
.LBB23_3185:
	s_or_b32 exec_lo, exec_lo, s3
.LBB23_3186:
	s_delay_alu instid0(SALU_CYCLE_1)
	s_or_b32 exec_lo, exec_lo, s1
	s_mov_b32 s1, 0
	global_store_b8 v[0:1], v4, off
.LBB23_3187:
	s_and_b32 vcc_lo, exec_lo, s1
	s_cbranch_vccz .LBB23_3197
; %bb.3188:
	v_cvt_f32_f64_e32 v2, v[12:13]
	s_mov_b32 s1, exec_lo
                                        ; implicit-def: $vgpr3
	s_delay_alu instid0(VALU_DEP_1) | instskip(NEXT) | instid1(VALU_DEP_1)
	v_and_b32_e32 v4, 0x7fffffff, v2
	v_cmpx_gt_u32_e32 0x43f00000, v4
	s_xor_b32 s1, exec_lo, s1
	s_cbranch_execz .LBB23_3194
; %bb.3189:
	s_mov_b32 s2, exec_lo
                                        ; implicit-def: $vgpr3
	v_cmpx_lt_u32_e32 0x3c7fffff, v4
	s_xor_b32 s2, exec_lo, s2
; %bb.3190:
	v_bfe_u32 v3, v2, 20, 1
	s_delay_alu instid0(VALU_DEP_1) | instskip(NEXT) | instid1(VALU_DEP_1)
	v_add3_u32 v3, v2, v3, 0x407ffff
	v_and_b32_e32 v4, 0xff00000, v3
	v_lshrrev_b32_e32 v3, 20, v3
	s_delay_alu instid0(VALU_DEP_2) | instskip(NEXT) | instid1(VALU_DEP_2)
	v_cmp_ne_u32_e32 vcc_lo, 0x7f00000, v4
	v_cndmask_b32_e32 v3, 0x7e, v3, vcc_lo
; %bb.3191:
	s_and_not1_saveexec_b32 s2, s2
; %bb.3192:
	v_add_f32_e64 v3, 0x46800000, |v2|
; %bb.3193:
	s_or_b32 exec_lo, exec_lo, s2
                                        ; implicit-def: $vgpr4
.LBB23_3194:
	s_and_not1_saveexec_b32 s1, s1
; %bb.3195:
	v_mov_b32_e32 v3, 0x7f
	v_cmp_lt_u32_e32 vcc_lo, 0x7f800000, v4
	s_delay_alu instid0(VALU_DEP_2)
	v_cndmask_b32_e32 v3, 0x7e, v3, vcc_lo
; %bb.3196:
	s_or_b32 exec_lo, exec_lo, s1
	v_lshrrev_b32_e32 v2, 24, v2
	s_delay_alu instid0(VALU_DEP_1)
	v_and_or_b32 v2, 0x80, v2, v3
	global_store_b8 v[0:1], v2, off
.LBB23_3197:
	s_mov_b32 s1, 0
.LBB23_3198:
	s_delay_alu instid0(SALU_CYCLE_1)
	s_and_not1_b32 vcc_lo, exec_lo, s1
	s_cbranch_vccnz .LBB23_3208
; %bb.3199:
	v_cvt_f32_f64_e32 v2, v[12:13]
	s_mov_b32 s1, exec_lo
                                        ; implicit-def: $vgpr3
	s_delay_alu instid0(VALU_DEP_1) | instskip(NEXT) | instid1(VALU_DEP_1)
	v_and_b32_e32 v4, 0x7fffffff, v2
	v_cmpx_gt_u32_e32 0x47800000, v4
	s_xor_b32 s1, exec_lo, s1
	s_cbranch_execz .LBB23_3205
; %bb.3200:
	s_mov_b32 s2, exec_lo
                                        ; implicit-def: $vgpr3
	v_cmpx_lt_u32_e32 0x387fffff, v4
	s_xor_b32 s2, exec_lo, s2
; %bb.3201:
	v_bfe_u32 v3, v2, 21, 1
	s_delay_alu instid0(VALU_DEP_1) | instskip(NEXT) | instid1(VALU_DEP_1)
	v_add3_u32 v3, v2, v3, 0x80fffff
	v_lshrrev_b32_e32 v3, 21, v3
; %bb.3202:
	s_and_not1_saveexec_b32 s2, s2
; %bb.3203:
	v_add_f32_e64 v3, 0x43000000, |v2|
; %bb.3204:
	s_or_b32 exec_lo, exec_lo, s2
                                        ; implicit-def: $vgpr4
.LBB23_3205:
	s_and_not1_saveexec_b32 s1, s1
; %bb.3206:
	v_mov_b32_e32 v3, 0x7f
	v_cmp_lt_u32_e32 vcc_lo, 0x7f800000, v4
	s_delay_alu instid0(VALU_DEP_2)
	v_cndmask_b32_e32 v3, 0x7c, v3, vcc_lo
; %bb.3207:
	s_or_b32 exec_lo, exec_lo, s1
	v_lshrrev_b32_e32 v2, 24, v2
	s_delay_alu instid0(VALU_DEP_1)
	v_and_or_b32 v2, 0x80, v2, v3
	global_store_b8 v[0:1], v2, off
.LBB23_3208:
	s_mov_b32 s1, 0
.LBB23_3209:
	s_delay_alu instid0(SALU_CYCLE_1)
	s_and_not1_b32 vcc_lo, exec_lo, s1
	s_mov_b32 s1, 0
	s_cbranch_vccnz .LBB23_3216
; %bb.3210:
	v_cmp_lt_i16_e32 vcc_lo, 14, v17
	s_mov_b32 s1, -1
	s_cbranch_vccz .LBB23_3214
; %bb.3211:
	v_cmp_eq_u16_e32 vcc_lo, 15, v17
	s_mov_b32 s0, -1
	s_cbranch_vccz .LBB23_3213
; %bb.3212:
	v_cvt_f32_f64_e32 v2, v[12:13]
	s_mov_b32 s0, 0
	s_delay_alu instid0(VALU_DEP_1) | instskip(SKIP_1) | instid1(VALU_DEP_2)
	v_bfe_u32 v3, v2, 16, 1
	v_cmp_o_f32_e32 vcc_lo, v2, v2
	v_add3_u32 v3, v2, v3, 0x7fff
	s_delay_alu instid0(VALU_DEP_1) | instskip(NEXT) | instid1(VALU_DEP_1)
	v_lshrrev_b32_e32 v3, 16, v3
	v_cndmask_b32_e32 v2, 0x7fc0, v3, vcc_lo
	global_store_b16 v[0:1], v2, off
.LBB23_3213:
	s_mov_b32 s1, 0
.LBB23_3214:
	s_delay_alu instid0(SALU_CYCLE_1)
	s_and_b32 vcc_lo, exec_lo, s1
	s_mov_b32 s1, 0
	s_cbranch_vccz .LBB23_3216
; %bb.3215:
	v_cmp_ne_u16_e64 s0, 11, v17
	s_mov_b32 s1, -1
.LBB23_3216:
	s_delay_alu instid0(VALU_DEP_1)
	s_and_b32 vcc_lo, exec_lo, s0
	s_cbranch_vccnz .LBB23_3294
.LBB23_3217:
	s_mov_b32 s0, 0
	s_branch .LBB23_3219
.LBB23_3218:
	s_mov_b32 s0, 0
	s_mov_b32 s1, 0
                                        ; implicit-def: $vgpr0_vgpr1
                                        ; implicit-def: $vgpr17
                                        ; implicit-def: $vgpr12_vgpr13
.LBB23_3219:
	s_and_b32 s2, s0, exec_lo
	s_and_not1_b32 s0, s8, exec_lo
	s_and_b32 s3, s10, exec_lo
	s_and_b32 s26, s1, exec_lo
	s_or_b32 s8, s0, s3
.LBB23_3220:
	s_or_b32 exec_lo, exec_lo, s9
	s_and_saveexec_b32 s0, s8
	s_cbranch_execz .LBB23_3223
; %bb.3221:
	; divergent unreachable
	s_or_b32 exec_lo, exec_lo, s0
	s_and_saveexec_b32 s0, s26
	s_delay_alu instid0(SALU_CYCLE_1)
	s_xor_b32 s0, exec_lo, s0
	s_cbranch_execnz .LBB23_3224
.LBB23_3222:
	s_or_b32 exec_lo, exec_lo, s0
	s_and_saveexec_b32 s0, s2
	s_cbranch_execnz .LBB23_3225
	s_branch .LBB23_3262
.LBB23_3223:
	s_or_b32 exec_lo, exec_lo, s0
	s_and_saveexec_b32 s0, s26
	s_delay_alu instid0(SALU_CYCLE_1)
	s_xor_b32 s0, exec_lo, s0
	s_cbranch_execz .LBB23_3222
.LBB23_3224:
	s_waitcnt vmcnt(0)
	s_delay_alu instid0(VALU_DEP_1)
	v_cmp_neq_f64_e32 vcc_lo, 0, v[12:13]
	v_cndmask_b32_e64 v2, 0, 1, vcc_lo
	global_store_b8 v[0:1], v2, off
	s_or_b32 exec_lo, exec_lo, s0
	s_and_saveexec_b32 s0, s2
	s_cbranch_execz .LBB23_3262
.LBB23_3225:
	s_waitcnt vmcnt(0)
	s_delay_alu instid0(VALU_DEP_1)
	v_cmp_gt_i16_e32 vcc_lo, 5, v17
	s_mov_b32 s0, -1
	s_cbranch_vccnz .LBB23_3246
; %bb.3226:
	v_cmp_gt_i16_e32 vcc_lo, 8, v17
	s_cbranch_vccnz .LBB23_3236
; %bb.3227:
	v_cmp_gt_i16_e32 vcc_lo, 9, v17
	s_cbranch_vccnz .LBB23_3233
; %bb.3228:
	v_cmp_lt_i16_e32 vcc_lo, 9, v17
	s_cbranch_vccz .LBB23_3230
; %bb.3229:
	v_mov_b32_e32 v14, 0
	s_mov_b32 s0, 0
	s_delay_alu instid0(VALU_DEP_1)
	v_mov_b32_e32 v15, v14
	global_store_b128 v[0:1], v[12:15], off
.LBB23_3230:
	s_and_not1_b32 vcc_lo, exec_lo, s0
	s_cbranch_vccnz .LBB23_3232
; %bb.3231:
	v_cvt_f32_f64_e32 v2, v[12:13]
	v_mov_b32_e32 v3, 0
	global_store_b64 v[0:1], v[2:3], off
.LBB23_3232:
	s_mov_b32 s0, 0
.LBB23_3233:
	s_delay_alu instid0(SALU_CYCLE_1)
	s_and_not1_b32 vcc_lo, exec_lo, s0
	s_cbranch_vccnz .LBB23_3235
; %bb.3234:
	s_delay_alu instid0(VALU_DEP_4) | instskip(NEXT) | instid1(VALU_DEP_1)
	v_cvt_f32_f64_e32 v2, v[12:13]
	v_cvt_f16_f32_e32 v2, v2
	s_delay_alu instid0(VALU_DEP_1)
	v_and_b32_e32 v2, 0xffff, v2
	global_store_b32 v[0:1], v2, off
.LBB23_3235:
	s_mov_b32 s0, 0
.LBB23_3236:
	s_delay_alu instid0(SALU_CYCLE_1)
	s_and_not1_b32 vcc_lo, exec_lo, s0
	s_cbranch_vccnz .LBB23_3245
; %bb.3237:
	v_cmp_gt_i16_e32 vcc_lo, 6, v17
	s_mov_b32 s0, -1
	s_cbranch_vccnz .LBB23_3243
; %bb.3238:
	v_cmp_lt_i16_e32 vcc_lo, 6, v17
	s_cbranch_vccz .LBB23_3240
; %bb.3239:
	s_mov_b32 s0, 0
	global_store_b64 v[0:1], v[12:13], off
.LBB23_3240:
	s_and_not1_b32 vcc_lo, exec_lo, s0
	s_cbranch_vccnz .LBB23_3242
; %bb.3241:
	v_cvt_f32_f64_e32 v2, v[12:13]
	global_store_b32 v[0:1], v2, off
.LBB23_3242:
	s_mov_b32 s0, 0
.LBB23_3243:
	s_delay_alu instid0(SALU_CYCLE_1)
	s_and_not1_b32 vcc_lo, exec_lo, s0
	s_cbranch_vccnz .LBB23_3245
; %bb.3244:
	s_delay_alu instid0(VALU_DEP_4) | instskip(NEXT) | instid1(VALU_DEP_1)
	v_cvt_f32_f64_e32 v2, v[12:13]
	v_cvt_f16_f32_e32 v2, v2
	global_store_b16 v[0:1], v2, off
.LBB23_3245:
	s_mov_b32 s0, 0
.LBB23_3246:
	s_delay_alu instid0(SALU_CYCLE_1)
	s_and_not1_b32 vcc_lo, exec_lo, s0
	s_cbranch_vccnz .LBB23_3262
; %bb.3247:
	v_cmp_gt_i16_e32 vcc_lo, 2, v17
	s_mov_b32 s0, -1
	s_cbranch_vccnz .LBB23_3257
; %bb.3248:
	v_cmp_gt_i16_e32 vcc_lo, 3, v17
	s_cbranch_vccnz .LBB23_3254
; %bb.3249:
	v_cmp_lt_i16_e32 vcc_lo, 3, v17
	s_cbranch_vccz .LBB23_3251
; %bb.3250:
	v_trunc_f64_e32 v[2:3], v[12:13]
	s_mov_b32 s0, 0
	s_delay_alu instid0(VALU_DEP_1) | instskip(NEXT) | instid1(VALU_DEP_1)
	v_ldexp_f64 v[4:5], v[2:3], 0xffffffe0
	v_floor_f64_e32 v[4:5], v[4:5]
	s_delay_alu instid0(VALU_DEP_1) | instskip(SKIP_1) | instid1(VALU_DEP_2)
	v_fma_f64 v[2:3], 0xc1f00000, v[4:5], v[2:3]
	v_cvt_i32_f64_e32 v4, v[4:5]
	v_cvt_u32_f64_e32 v3, v[2:3]
	global_store_b64 v[0:1], v[3:4], off
.LBB23_3251:
	s_and_not1_b32 vcc_lo, exec_lo, s0
	s_cbranch_vccnz .LBB23_3253
; %bb.3252:
	v_cvt_i32_f64_e32 v2, v[12:13]
	global_store_b32 v[0:1], v2, off
.LBB23_3253:
	s_mov_b32 s0, 0
.LBB23_3254:
	s_delay_alu instid0(SALU_CYCLE_1)
	s_and_not1_b32 vcc_lo, exec_lo, s0
	s_cbranch_vccnz .LBB23_3256
; %bb.3255:
	s_delay_alu instid0(VALU_DEP_4)
	v_cvt_i32_f64_e32 v2, v[12:13]
	global_store_b16 v[0:1], v2, off
.LBB23_3256:
	s_mov_b32 s0, 0
.LBB23_3257:
	s_delay_alu instid0(SALU_CYCLE_1)
	s_and_not1_b32 vcc_lo, exec_lo, s0
	s_cbranch_vccnz .LBB23_3262
; %bb.3258:
	v_cmp_lt_i16_e32 vcc_lo, 0, v17
	s_mov_b32 s0, -1
	s_cbranch_vccz .LBB23_3260
; %bb.3259:
	s_delay_alu instid0(VALU_DEP_4)
	v_cvt_i32_f64_e32 v2, v[12:13]
	s_mov_b32 s0, 0
	global_store_b8 v[0:1], v2, off
.LBB23_3260:
	s_and_not1_b32 vcc_lo, exec_lo, s0
	s_cbranch_vccnz .LBB23_3262
; %bb.3261:
	v_trunc_f64_e32 v[2:3], v[12:13]
	s_delay_alu instid0(VALU_DEP_1) | instskip(NEXT) | instid1(VALU_DEP_1)
	v_ldexp_f64 v[4:5], v[2:3], 0xffffffe0
	v_floor_f64_e32 v[4:5], v[4:5]
	s_delay_alu instid0(VALU_DEP_1) | instskip(NEXT) | instid1(VALU_DEP_1)
	v_fma_f64 v[2:3], 0xc1f00000, v[4:5], v[2:3]
	v_cvt_u32_f64_e32 v2, v[2:3]
	global_store_b8 v[0:1], v2, off
	s_nop 0
	s_sendmsg sendmsg(MSG_DEALLOC_VGPRS)
	s_endpgm
.LBB23_3262:
	s_nop 0
	s_sendmsg sendmsg(MSG_DEALLOC_VGPRS)
	s_endpgm
.LBB23_3263:
	s_mov_b32 s0, 0
	s_mov_b32 s1, 0
                                        ; implicit-def: $vgpr0_vgpr1
                                        ; implicit-def: $vgpr17
	s_branch .LBB23_3219
.LBB23_3264:
	s_cbranch_execnz .LBB23_3268
; %bb.3265:
	s_or_b32 s10, s10, exec_lo
                                        ; implicit-def: $vgpr17_vgpr18
	s_cbranch_execz .LBB23_2724
	s_branch .LBB23_2725
.LBB23_3266:
	s_or_saveexec_b32 s6, s6
                                        ; implicit-def: $sgpr7
	s_delay_alu instid0(SALU_CYCLE_1)
	s_xor_b32 exec_lo, exec_lo, s6
	s_cbranch_execz .LBB23_2816
.LBB23_3267:
	v_add_f32_e64 v3, 0x46000000, |v2|
	s_and_not1_b32 s3, s3, exec_lo
	s_mov_b32 s7, 0
	s_delay_alu instid0(VALU_DEP_1) | instskip(NEXT) | instid1(VALU_DEP_1)
	v_and_b32_e32 v3, 0xff, v3
	v_cmp_ne_u32_e32 vcc_lo, 0, v3
	s_and_b32 s11, vcc_lo, exec_lo
	s_delay_alu instid0(SALU_CYCLE_1)
	s_or_b32 s3, s3, s11
	s_or_b32 exec_lo, exec_lo, s6
	v_mov_b32_e32 v7, s7
	s_and_saveexec_b32 s6, s3
	s_cbranch_execnz .LBB23_2817
	s_branch .LBB23_2818
.LBB23_3268:
	s_trap 2
	s_sendmsg_rtn_b32 s0, sendmsg(MSG_RTN_GET_DOORBELL)
	s_mov_b32 ttmp2, m0
	s_waitcnt lgkmcnt(0)
	s_and_b32 s0, s0, 0x3ff
	s_delay_alu instid0(SALU_CYCLE_1) | instskip(NEXT) | instid1(SALU_CYCLE_1)
	s_bitset1_b32 s0, 10
	s_mov_b32 m0, s0
	s_sendmsg sendmsg(MSG_INTERRUPT)
	s_mov_b32 m0, ttmp2
.LBB23_3269:                            ; =>This Inner Loop Header: Depth=1
	s_sethalt 5
	s_branch .LBB23_3269
.LBB23_3270:
	s_cbranch_execnz .LBB23_3276
; %bb.3271:
	s_or_b32 s10, s10, exec_lo
	s_cbranch_execz .LBB23_2864
	s_branch .LBB23_2865
.LBB23_3272:
	s_or_saveexec_b32 s3, s3
                                        ; implicit-def: $sgpr6
	s_delay_alu instid0(SALU_CYCLE_1)
	s_xor_b32 exec_lo, exec_lo, s3
	s_cbranch_execz .LBB23_2829
.LBB23_3273:
	v_add_f32_e64 v3, 0x42800000, |v2|
	s_and_not1_b32 s2, s2, exec_lo
	s_mov_b32 s6, 0
	s_delay_alu instid0(VALU_DEP_1) | instskip(NEXT) | instid1(VALU_DEP_1)
	v_and_b32_e32 v3, 0xff, v3
	v_cmp_ne_u32_e32 vcc_lo, 0, v3
	s_and_b32 s7, vcc_lo, exec_lo
	s_delay_alu instid0(SALU_CYCLE_1)
	s_or_b32 s2, s2, s7
	s_or_b32 exec_lo, exec_lo, s3
	v_mov_b32_e32 v7, s6
	s_and_saveexec_b32 s3, s2
	s_cbranch_execnz .LBB23_2830
	s_branch .LBB23_2831
.LBB23_3274:
	s_or_saveexec_b32 s6, s6
                                        ; implicit-def: $sgpr7
	s_delay_alu instid0(SALU_CYCLE_1)
	s_xor_b32 exec_lo, exec_lo, s6
	s_cbranch_execz .LBB23_2934
.LBB23_3275:
	v_add_f32_e64 v3, 0x46000000, |v2|
	s_and_not1_b32 s3, s3, exec_lo
	s_mov_b32 s7, 0
	s_delay_alu instid0(VALU_DEP_1) | instskip(NEXT) | instid1(VALU_DEP_1)
	v_and_b32_e32 v3, 0xff, v3
	v_cmp_ne_u32_e32 vcc_lo, 0, v3
	s_and_b32 s11, vcc_lo, exec_lo
	s_delay_alu instid0(SALU_CYCLE_1)
	s_or_b32 s3, s3, s11
	s_or_b32 exec_lo, exec_lo, s6
	v_mov_b32_e32 v6, s7
	s_and_saveexec_b32 s6, s3
	s_cbranch_execnz .LBB23_2935
	s_branch .LBB23_2936
.LBB23_3276:
	s_trap 2
	s_sendmsg_rtn_b32 s0, sendmsg(MSG_RTN_GET_DOORBELL)
	s_mov_b32 ttmp2, m0
	s_waitcnt lgkmcnt(0)
	s_and_b32 s0, s0, 0x3ff
	s_delay_alu instid0(SALU_CYCLE_1) | instskip(NEXT) | instid1(SALU_CYCLE_1)
	s_bitset1_b32 s0, 10
	s_mov_b32 m0, s0
	s_sendmsg sendmsg(MSG_INTERRUPT)
	s_mov_b32 m0, ttmp2
.LBB23_3277:                            ; =>This Inner Loop Header: Depth=1
	s_sethalt 5
	s_branch .LBB23_3277
.LBB23_3278:
	s_cbranch_execnz .LBB23_3284
; %bb.3279:
	s_or_b32 s10, s10, exec_lo
	s_cbranch_execz .LBB23_2982
	s_branch .LBB23_2983
.LBB23_3280:
	s_or_saveexec_b32 s3, s3
                                        ; implicit-def: $sgpr6
	s_delay_alu instid0(SALU_CYCLE_1)
	s_xor_b32 exec_lo, exec_lo, s3
	s_cbranch_execz .LBB23_2947
.LBB23_3281:
	v_add_f32_e64 v3, 0x42800000, |v2|
	s_and_not1_b32 s2, s2, exec_lo
	s_mov_b32 s6, 0
	s_delay_alu instid0(VALU_DEP_1) | instskip(NEXT) | instid1(VALU_DEP_1)
	v_and_b32_e32 v3, 0xff, v3
	v_cmp_ne_u32_e32 vcc_lo, 0, v3
	s_and_b32 s7, vcc_lo, exec_lo
	s_delay_alu instid0(SALU_CYCLE_1)
	s_or_b32 s2, s2, s7
	s_or_b32 exec_lo, exec_lo, s3
	v_mov_b32_e32 v6, s6
	s_and_saveexec_b32 s3, s2
	s_cbranch_execnz .LBB23_2948
	s_branch .LBB23_2949
.LBB23_3282:
	s_or_saveexec_b32 s6, s6
                                        ; implicit-def: $sgpr7
	s_delay_alu instid0(SALU_CYCLE_1)
	s_xor_b32 exec_lo, exec_lo, s6
	s_cbranch_execz .LBB23_3052
.LBB23_3283:
	v_add_f32_e64 v3, 0x46000000, |v2|
	s_and_not1_b32 s3, s3, exec_lo
	s_mov_b32 s7, 0
	s_delay_alu instid0(VALU_DEP_1) | instskip(NEXT) | instid1(VALU_DEP_1)
	v_and_b32_e32 v3, 0xff, v3
	v_cmp_ne_u32_e32 vcc_lo, 0, v3
	s_and_b32 s11, vcc_lo, exec_lo
	s_delay_alu instid0(SALU_CYCLE_1)
	s_or_b32 s3, s3, s11
	s_or_b32 exec_lo, exec_lo, s6
	v_mov_b32_e32 v4, s7
	s_and_saveexec_b32 s6, s3
	s_cbranch_execnz .LBB23_3053
	s_branch .LBB23_3054
.LBB23_3284:
	s_trap 2
	s_sendmsg_rtn_b32 s0, sendmsg(MSG_RTN_GET_DOORBELL)
	s_mov_b32 ttmp2, m0
	s_waitcnt lgkmcnt(0)
	s_and_b32 s0, s0, 0x3ff
	s_delay_alu instid0(SALU_CYCLE_1) | instskip(NEXT) | instid1(SALU_CYCLE_1)
	s_bitset1_b32 s0, 10
	s_mov_b32 m0, s0
	s_sendmsg sendmsg(MSG_INTERRUPT)
	s_mov_b32 m0, ttmp2
.LBB23_3285:                            ; =>This Inner Loop Header: Depth=1
	s_sethalt 5
	s_branch .LBB23_3285
.LBB23_3286:
	s_cbranch_execnz .LBB23_3292
; %bb.3287:
	s_or_b32 s10, s10, exec_lo
	s_cbranch_execz .LBB23_3100
	s_branch .LBB23_3101
.LBB23_3288:
	s_or_saveexec_b32 s3, s3
                                        ; implicit-def: $sgpr6
	s_delay_alu instid0(SALU_CYCLE_1)
	s_xor_b32 exec_lo, exec_lo, s3
	s_cbranch_execz .LBB23_3065
.LBB23_3289:
	v_add_f32_e64 v3, 0x42800000, |v2|
	s_and_not1_b32 s2, s2, exec_lo
	s_mov_b32 s6, 0
	s_delay_alu instid0(VALU_DEP_1) | instskip(NEXT) | instid1(VALU_DEP_1)
	v_and_b32_e32 v3, 0xff, v3
	v_cmp_ne_u32_e32 vcc_lo, 0, v3
	s_and_b32 s7, vcc_lo, exec_lo
	s_delay_alu instid0(SALU_CYCLE_1)
	s_or_b32 s2, s2, s7
	s_or_b32 exec_lo, exec_lo, s3
	v_mov_b32_e32 v4, s6
	s_and_saveexec_b32 s3, s2
	s_cbranch_execnz .LBB23_3066
	s_branch .LBB23_3067
.LBB23_3290:
	s_or_saveexec_b32 s4, s4
                                        ; implicit-def: $sgpr5
	s_delay_alu instid0(SALU_CYCLE_1)
	s_xor_b32 exec_lo, exec_lo, s4
	s_cbranch_execz .LBB23_3171
.LBB23_3291:
	v_add_f32_e64 v3, 0x46000000, |v2|
	s_and_not1_b32 s3, s3, exec_lo
	s_mov_b32 s5, 0
	s_delay_alu instid0(VALU_DEP_1) | instskip(NEXT) | instid1(VALU_DEP_1)
	v_and_b32_e32 v3, 0xff, v3
	v_cmp_ne_u32_e32 vcc_lo, 0, v3
	s_and_b32 s6, vcc_lo, exec_lo
	s_delay_alu instid0(SALU_CYCLE_1)
	s_or_b32 s3, s3, s6
	s_or_b32 exec_lo, exec_lo, s4
	v_mov_b32_e32 v4, s5
	s_and_saveexec_b32 s4, s3
	s_cbranch_execnz .LBB23_3172
	s_branch .LBB23_3173
.LBB23_3292:
	s_trap 2
	s_sendmsg_rtn_b32 s0, sendmsg(MSG_RTN_GET_DOORBELL)
	s_mov_b32 ttmp2, m0
	s_waitcnt lgkmcnt(0)
	s_and_b32 s0, s0, 0x3ff
	s_delay_alu instid0(SALU_CYCLE_1) | instskip(NEXT) | instid1(SALU_CYCLE_1)
	s_bitset1_b32 s0, 10
	s_mov_b32 m0, s0
	s_sendmsg sendmsg(MSG_INTERRUPT)
	s_mov_b32 m0, ttmp2
.LBB23_3293:                            ; =>This Inner Loop Header: Depth=1
	s_sethalt 5
	s_branch .LBB23_3293
.LBB23_3294:
	s_cbranch_execnz .LBB23_3298
; %bb.3295:
	s_mov_b32 s1, 0
	s_or_b32 s10, s10, exec_lo
	s_branch .LBB23_3217
.LBB23_3296:
	s_or_saveexec_b32 s3, s3
                                        ; implicit-def: $sgpr4
	s_delay_alu instid0(SALU_CYCLE_1)
	s_xor_b32 exec_lo, exec_lo, s3
	s_cbranch_execz .LBB23_3183
.LBB23_3297:
	v_add_f32_e64 v3, 0x42800000, |v2|
	s_and_not1_b32 s2, s2, exec_lo
	s_mov_b32 s4, 0
	s_delay_alu instid0(VALU_DEP_1) | instskip(NEXT) | instid1(VALU_DEP_1)
	v_and_b32_e32 v3, 0xff, v3
	v_cmp_ne_u32_e32 vcc_lo, 0, v3
	s_and_b32 s5, vcc_lo, exec_lo
	s_delay_alu instid0(SALU_CYCLE_1)
	s_or_b32 s2, s2, s5
	s_or_b32 exec_lo, exec_lo, s3
	v_mov_b32_e32 v4, s4
	s_and_saveexec_b32 s3, s2
	s_cbranch_execnz .LBB23_3184
	s_branch .LBB23_3185
.LBB23_3298:
	s_trap 2
	s_sendmsg_rtn_b32 s0, sendmsg(MSG_RTN_GET_DOORBELL)
	s_mov_b32 ttmp2, m0
	s_waitcnt lgkmcnt(0)
	s_and_b32 s0, s0, 0x3ff
	s_delay_alu instid0(SALU_CYCLE_1) | instskip(NEXT) | instid1(SALU_CYCLE_1)
	s_bitset1_b32 s0, 10
	s_mov_b32 m0, s0
	s_sendmsg sendmsg(MSG_INTERRUPT)
	s_mov_b32 m0, ttmp2
.LBB23_3299:                            ; =>This Inner Loop Header: Depth=1
	s_sethalt 5
	s_branch .LBB23_3299
	.section	.rodata,"a",@progbits
	.p2align	6, 0x0
	.amdhsa_kernel _ZN2at6native32elementwise_kernel_manual_unrollILi128ELi4EZNS0_15gpu_kernel_implINS0_13BinaryFunctorIdddZZZNS0_12_GLOBAL__N_132hermite_polynomial_h_kernel_cudaERNS_18TensorIteratorBaseEENKUlvE_clEvENKUlvE_clEvEUlddE_EEEEvS6_RKT_EUlibE0_EEviT1_
		.amdhsa_group_segment_fixed_size 0
		.amdhsa_private_segment_fixed_size 0
		.amdhsa_kernarg_size 432
		.amdhsa_user_sgpr_count 15
		.amdhsa_user_sgpr_dispatch_ptr 0
		.amdhsa_user_sgpr_queue_ptr 0
		.amdhsa_user_sgpr_kernarg_segment_ptr 1
		.amdhsa_user_sgpr_dispatch_id 0
		.amdhsa_user_sgpr_private_segment_size 0
		.amdhsa_wavefront_size32 1
		.amdhsa_uses_dynamic_stack 0
		.amdhsa_enable_private_segment 0
		.amdhsa_system_sgpr_workgroup_id_x 1
		.amdhsa_system_sgpr_workgroup_id_y 0
		.amdhsa_system_sgpr_workgroup_id_z 0
		.amdhsa_system_sgpr_workgroup_info 0
		.amdhsa_system_vgpr_workitem_id 0
		.amdhsa_next_free_vgpr 25
		.amdhsa_next_free_sgpr 58
		.amdhsa_reserve_vcc 1
		.amdhsa_float_round_mode_32 0
		.amdhsa_float_round_mode_16_64 0
		.amdhsa_float_denorm_mode_32 3
		.amdhsa_float_denorm_mode_16_64 3
		.amdhsa_dx10_clamp 1
		.amdhsa_ieee_mode 1
		.amdhsa_fp16_overflow 0
		.amdhsa_workgroup_processor_mode 1
		.amdhsa_memory_ordered 1
		.amdhsa_forward_progress 0
		.amdhsa_shared_vgpr_count 0
		.amdhsa_exception_fp_ieee_invalid_op 0
		.amdhsa_exception_fp_denorm_src 0
		.amdhsa_exception_fp_ieee_div_zero 0
		.amdhsa_exception_fp_ieee_overflow 0
		.amdhsa_exception_fp_ieee_underflow 0
		.amdhsa_exception_fp_ieee_inexact 0
		.amdhsa_exception_int_div_zero 0
	.end_amdhsa_kernel
	.section	.text._ZN2at6native32elementwise_kernel_manual_unrollILi128ELi4EZNS0_15gpu_kernel_implINS0_13BinaryFunctorIdddZZZNS0_12_GLOBAL__N_132hermite_polynomial_h_kernel_cudaERNS_18TensorIteratorBaseEENKUlvE_clEvENKUlvE_clEvEUlddE_EEEEvS6_RKT_EUlibE0_EEviT1_,"axG",@progbits,_ZN2at6native32elementwise_kernel_manual_unrollILi128ELi4EZNS0_15gpu_kernel_implINS0_13BinaryFunctorIdddZZZNS0_12_GLOBAL__N_132hermite_polynomial_h_kernel_cudaERNS_18TensorIteratorBaseEENKUlvE_clEvENKUlvE_clEvEUlddE_EEEEvS6_RKT_EUlibE0_EEviT1_,comdat
.Lfunc_end23:
	.size	_ZN2at6native32elementwise_kernel_manual_unrollILi128ELi4EZNS0_15gpu_kernel_implINS0_13BinaryFunctorIdddZZZNS0_12_GLOBAL__N_132hermite_polynomial_h_kernel_cudaERNS_18TensorIteratorBaseEENKUlvE_clEvENKUlvE_clEvEUlddE_EEEEvS6_RKT_EUlibE0_EEviT1_, .Lfunc_end23-_ZN2at6native32elementwise_kernel_manual_unrollILi128ELi4EZNS0_15gpu_kernel_implINS0_13BinaryFunctorIdddZZZNS0_12_GLOBAL__N_132hermite_polynomial_h_kernel_cudaERNS_18TensorIteratorBaseEENKUlvE_clEvENKUlvE_clEvEUlddE_EEEEvS6_RKT_EUlibE0_EEviT1_
                                        ; -- End function
	.section	.AMDGPU.csdata,"",@progbits
; Kernel info:
; codeLenInByte = 61232
; NumSgprs: 60
; NumVgprs: 25
; ScratchSize: 0
; MemoryBound: 1
; FloatMode: 240
; IeeeMode: 1
; LDSByteSize: 0 bytes/workgroup (compile time only)
; SGPRBlocks: 7
; VGPRBlocks: 3
; NumSGPRsForWavesPerEU: 60
; NumVGPRsForWavesPerEU: 25
; Occupancy: 16
; WaveLimiterHint : 1
; COMPUTE_PGM_RSRC2:SCRATCH_EN: 0
; COMPUTE_PGM_RSRC2:USER_SGPR: 15
; COMPUTE_PGM_RSRC2:TRAP_HANDLER: 0
; COMPUTE_PGM_RSRC2:TGID_X_EN: 1
; COMPUTE_PGM_RSRC2:TGID_Y_EN: 0
; COMPUTE_PGM_RSRC2:TGID_Z_EN: 0
; COMPUTE_PGM_RSRC2:TIDIG_COMP_CNT: 0
	.section	.text._ZN2at6native29vectorized_elementwise_kernelILi16ENS0_13AUnaryFunctorIfffZZZNS0_12_GLOBAL__N_132hermite_polynomial_h_kernel_cudaERNS_18TensorIteratorBaseEENKUlvE_clEvENKUlvE0_clEvEUlffE_EESt5arrayIPcLm2EEEEviT0_T1_,"axG",@progbits,_ZN2at6native29vectorized_elementwise_kernelILi16ENS0_13AUnaryFunctorIfffZZZNS0_12_GLOBAL__N_132hermite_polynomial_h_kernel_cudaERNS_18TensorIteratorBaseEENKUlvE_clEvENKUlvE0_clEvEUlffE_EESt5arrayIPcLm2EEEEviT0_T1_,comdat
	.globl	_ZN2at6native29vectorized_elementwise_kernelILi16ENS0_13AUnaryFunctorIfffZZZNS0_12_GLOBAL__N_132hermite_polynomial_h_kernel_cudaERNS_18TensorIteratorBaseEENKUlvE_clEvENKUlvE0_clEvEUlffE_EESt5arrayIPcLm2EEEEviT0_T1_ ; -- Begin function _ZN2at6native29vectorized_elementwise_kernelILi16ENS0_13AUnaryFunctorIfffZZZNS0_12_GLOBAL__N_132hermite_polynomial_h_kernel_cudaERNS_18TensorIteratorBaseEENKUlvE_clEvENKUlvE0_clEvEUlffE_EESt5arrayIPcLm2EEEEviT0_T1_
	.p2align	8
	.type	_ZN2at6native29vectorized_elementwise_kernelILi16ENS0_13AUnaryFunctorIfffZZZNS0_12_GLOBAL__N_132hermite_polynomial_h_kernel_cudaERNS_18TensorIteratorBaseEENKUlvE_clEvENKUlvE0_clEvEUlffE_EESt5arrayIPcLm2EEEEviT0_T1_,@function
_ZN2at6native29vectorized_elementwise_kernelILi16ENS0_13AUnaryFunctorIfffZZZNS0_12_GLOBAL__N_132hermite_polynomial_h_kernel_cudaERNS_18TensorIteratorBaseEENKUlvE_clEvENKUlvE0_clEvEUlffE_EESt5arrayIPcLm2EEEEviT0_T1_: ; @_ZN2at6native29vectorized_elementwise_kernelILi16ENS0_13AUnaryFunctorIfffZZZNS0_12_GLOBAL__N_132hermite_polynomial_h_kernel_cudaERNS_18TensorIteratorBaseEENKUlvE_clEvENKUlvE0_clEvEUlffE_EESt5arrayIPcLm2EEEEviT0_T1_
; %bb.0:
	s_clause 0x2
	s_load_b32 s3, s[0:1], 0x0
	s_load_b32 s8, s[0:1], 0x8
	s_load_b128 s[4:7], s[0:1], 0x10
	s_lshl_b32 s2, s15, 10
	s_mov_b32 s0, -1
	s_waitcnt lgkmcnt(0)
	s_sub_i32 s10, s3, s2
	v_add_f32_e64 v8, s8, s8
	s_cmpk_gt_i32 s10, 0x3ff
	s_cbranch_scc0 .LBB24_50
; %bb.1:
	s_ashr_i32 s3, s2, 31
	v_lshlrev_b32_e32 v7, 4, v0
	s_lshl_b64 s[0:1], s[2:3], 2
	s_mov_b32 s3, exec_lo
	s_add_u32 s12, s6, s0
	s_addc_u32 s13, s7, s1
	global_load_b128 v[1:4], v7, s[12:13]
	s_waitcnt vmcnt(0)
	v_trunc_f32_e32 v5, v1
	s_delay_alu instid0(VALU_DEP_1) | instskip(NEXT) | instid1(VALU_DEP_1)
	v_mul_f32_e64 v6, 0x2f800000, |v5|
	v_floor_f32_e32 v6, v6
	s_delay_alu instid0(VALU_DEP_1) | instskip(SKIP_2) | instid1(VALU_DEP_3)
	v_fma_f32 v9, 0xcf800000, v6, |v5|
	v_ashrrev_i32_e32 v5, 31, v5
	v_cvt_u32_f32_e32 v6, v6
	v_cvt_u32_f32_e32 v9, v9
	s_delay_alu instid0(VALU_DEP_2) | instskip(NEXT) | instid1(VALU_DEP_2)
	v_xor_b32_e32 v6, v6, v5
	v_xor_b32_e32 v9, v9, v5
	s_delay_alu instid0(VALU_DEP_1) | instskip(NEXT) | instid1(VALU_DEP_3)
	v_sub_co_u32 v9, vcc_lo, v9, v5
	v_sub_co_ci_u32_e32 v5, vcc_lo, v6, v5, vcc_lo
	v_cmp_class_f32_e64 vcc_lo, v1, 0x1f8
	s_delay_alu instid0(VALU_DEP_2) | instskip(NEXT) | instid1(VALU_DEP_4)
	v_dual_mov_b32 v1, 0 :: v_dual_cndmask_b32 v6, -1, v5
	v_cndmask_b32_e32 v5, -1, v9, vcc_lo
	v_add_f32_e64 v9, s8, s8
	s_delay_alu instid0(VALU_DEP_2)
	v_cmpx_lt_i64_e32 -1, v[5:6]
	s_cbranch_execz .LBB24_13
; %bb.2:
	v_mov_b32_e32 v1, 1.0
	s_mov_b32 s11, exec_lo
	v_cmpx_lt_i64_e32 0, v[5:6]
	s_cbranch_execz .LBB24_12
; %bb.3:
                                        ; implicit-def: $vgpr1
	s_mov_b32 s8, exec_lo
	v_cmpx_ne_u64_e32 1, v[5:6]
	s_xor_b32 s12, exec_lo, s8
	s_cbranch_execz .LBB24_9
; %bb.4:
	v_mov_b32_e32 v1, 0x7fc00000
	s_mov_b32 s13, exec_lo
	v_cmpx_gt_u64_e32 0x81, v[5:6]
	s_cbranch_execz .LBB24_8
; %bb.5:
	v_lshlrev_b64 v[5:6], 1, v[5:6]
	v_dual_mov_b32 v10, 1.0 :: v_dual_mov_b32 v1, v9
	s_mov_b64 s[8:9], 2
	s_mov_b32 s14, 0
	.p2align	6
.LBB24_6:                               ; =>This Inner Loop Header: Depth=1
	s_clz_i32_u32 s15, s9
	s_delay_alu instid0(SALU_CYCLE_1) | instskip(NEXT) | instid1(SALU_CYCLE_1)
	s_min_u32 s15, s15, 32
	s_lshl_b64 s[16:17], s[8:9], s15
	s_sub_i32 s15, 32, s15
	s_min_u32 s16, s16, 1
	s_delay_alu instid0(SALU_CYCLE_1) | instskip(SKIP_3) | instid1(SALU_CYCLE_1)
	s_or_b32 s16, s17, s16
	s_add_u32 s8, s8, 2
	v_cvt_f32_u32_e32 v11, s16
	s_addc_u32 s9, s9, 0
	v_cmp_ge_u64_e32 vcc_lo, s[8:9], v[5:6]
	s_delay_alu instid0(VALU_DEP_2) | instskip(SKIP_1) | instid1(VALU_DEP_1)
	v_ldexp_f32 v11, v11, s15
	s_or_b32 s14, vcc_lo, s14
	v_dual_mul_f32 v11, v10, v11 :: v_dual_mov_b32 v10, v1
	s_delay_alu instid0(VALU_DEP_1)
	v_fma_f32 v1, v9, v1, -v11
	s_and_not1_b32 exec_lo, exec_lo, s14
	s_cbranch_execnz .LBB24_6
; %bb.7:
	s_or_b32 exec_lo, exec_lo, s14
.LBB24_8:
	s_delay_alu instid0(SALU_CYCLE_1)
	s_or_b32 exec_lo, exec_lo, s13
.LBB24_9:
	s_and_not1_saveexec_b32 s8, s12
; %bb.10:
	v_mov_b32_e32 v1, v9
; %bb.11:
	s_or_b32 exec_lo, exec_lo, s8
.LBB24_12:
	s_delay_alu instid0(SALU_CYCLE_1)
	s_or_b32 exec_lo, exec_lo, s11
.LBB24_13:
	s_delay_alu instid0(SALU_CYCLE_1) | instskip(SKIP_2) | instid1(VALU_DEP_1)
	s_or_b32 exec_lo, exec_lo, s3
	v_trunc_f32_e32 v5, v2
	s_mov_b32 s3, exec_lo
	v_mul_f32_e64 v6, 0x2f800000, |v5|
	s_delay_alu instid0(VALU_DEP_1) | instskip(NEXT) | instid1(VALU_DEP_1)
	v_floor_f32_e32 v6, v6
	v_fma_f32 v10, 0xcf800000, v6, |v5|
	v_ashrrev_i32_e32 v5, 31, v5
	v_cvt_u32_f32_e32 v6, v6
	s_delay_alu instid0(VALU_DEP_3) | instskip(NEXT) | instid1(VALU_DEP_2)
	v_cvt_u32_f32_e32 v10, v10
	v_xor_b32_e32 v6, v6, v5
	s_delay_alu instid0(VALU_DEP_2) | instskip(NEXT) | instid1(VALU_DEP_1)
	v_xor_b32_e32 v10, v10, v5
	v_sub_co_u32 v10, vcc_lo, v10, v5
	s_delay_alu instid0(VALU_DEP_3) | instskip(SKIP_2) | instid1(VALU_DEP_3)
	v_sub_co_ci_u32_e32 v5, vcc_lo, v6, v5, vcc_lo
	v_cmp_class_f32_e64 vcc_lo, v2, 0x1f8
	v_mov_b32_e32 v2, 0
	v_dual_cndmask_b32 v6, -1, v5 :: v_dual_cndmask_b32 v5, -1, v10
	s_delay_alu instid0(VALU_DEP_1)
	v_cmpx_lt_i64_e32 -1, v[5:6]
	s_cbranch_execz .LBB24_25
; %bb.14:
	v_mov_b32_e32 v2, 1.0
	s_mov_b32 s11, exec_lo
	v_cmpx_lt_i64_e32 0, v[5:6]
	s_cbranch_execz .LBB24_24
; %bb.15:
	s_mov_b32 s8, exec_lo
	v_cmpx_ne_u64_e32 1, v[5:6]
	s_xor_b32 s12, exec_lo, s8
	s_cbranch_execz .LBB24_21
; %bb.16:
	v_mov_b32_e32 v2, 0x7fc00000
	s_mov_b32 s13, exec_lo
	v_cmpx_gt_u64_e32 0x81, v[5:6]
	s_cbranch_execz .LBB24_20
; %bb.17:
	v_lshlrev_b64 v[5:6], 1, v[5:6]
	v_mov_b32_e32 v10, 1.0
	v_mov_b32_e32 v2, v9
	s_mov_b64 s[8:9], 2
	s_mov_b32 s14, 0
	.p2align	6
.LBB24_18:                              ; =>This Inner Loop Header: Depth=1
	s_clz_i32_u32 s15, s9
	s_delay_alu instid0(SALU_CYCLE_1) | instskip(NEXT) | instid1(SALU_CYCLE_1)
	s_min_u32 s15, s15, 32
	s_lshl_b64 s[16:17], s[8:9], s15
	s_sub_i32 s15, 32, s15
	s_min_u32 s16, s16, 1
	s_delay_alu instid0(SALU_CYCLE_1) | instskip(SKIP_3) | instid1(SALU_CYCLE_1)
	s_or_b32 s16, s17, s16
	s_add_u32 s8, s8, 2
	v_cvt_f32_u32_e32 v11, s16
	s_addc_u32 s9, s9, 0
	v_cmp_ge_u64_e32 vcc_lo, s[8:9], v[5:6]
	s_delay_alu instid0(VALU_DEP_2) | instskip(SKIP_1) | instid1(VALU_DEP_1)
	v_ldexp_f32 v11, v11, s15
	s_or_b32 s14, vcc_lo, s14
	v_mul_f32_e32 v11, v10, v11
	v_mov_b32_e32 v10, v2
	s_delay_alu instid0(VALU_DEP_2)
	v_fma_f32 v2, v9, v2, -v11
	s_and_not1_b32 exec_lo, exec_lo, s14
	s_cbranch_execnz .LBB24_18
; %bb.19:
	s_or_b32 exec_lo, exec_lo, s14
.LBB24_20:
	s_delay_alu instid0(SALU_CYCLE_1)
	s_or_b32 exec_lo, exec_lo, s13
.LBB24_21:
	s_and_not1_saveexec_b32 s8, s12
; %bb.22:
	v_mov_b32_e32 v2, v9
; %bb.23:
	s_or_b32 exec_lo, exec_lo, s8
.LBB24_24:
	s_delay_alu instid0(SALU_CYCLE_1)
	s_or_b32 exec_lo, exec_lo, s11
.LBB24_25:
	s_delay_alu instid0(SALU_CYCLE_1) | instskip(SKIP_2) | instid1(VALU_DEP_1)
	s_or_b32 exec_lo, exec_lo, s3
	v_trunc_f32_e32 v5, v3
	s_mov_b32 s3, exec_lo
	v_mul_f32_e64 v6, 0x2f800000, |v5|
	s_delay_alu instid0(VALU_DEP_1) | instskip(NEXT) | instid1(VALU_DEP_1)
	v_floor_f32_e32 v6, v6
	v_fma_f32 v10, 0xcf800000, v6, |v5|
	v_ashrrev_i32_e32 v5, 31, v5
	v_cvt_u32_f32_e32 v6, v6
	s_delay_alu instid0(VALU_DEP_3) | instskip(NEXT) | instid1(VALU_DEP_2)
	v_cvt_u32_f32_e32 v10, v10
	v_xor_b32_e32 v6, v6, v5
	s_delay_alu instid0(VALU_DEP_2) | instskip(NEXT) | instid1(VALU_DEP_1)
	v_xor_b32_e32 v10, v10, v5
	v_sub_co_u32 v10, vcc_lo, v10, v5
	s_delay_alu instid0(VALU_DEP_3) | instskip(SKIP_1) | instid1(VALU_DEP_2)
	v_sub_co_ci_u32_e32 v5, vcc_lo, v6, v5, vcc_lo
	v_cmp_class_f32_e64 vcc_lo, v3, 0x1f8
	v_dual_mov_b32 v3, 0 :: v_dual_cndmask_b32 v6, -1, v5
	s_delay_alu instid0(VALU_DEP_4) | instskip(NEXT) | instid1(VALU_DEP_1)
	v_cndmask_b32_e32 v5, -1, v10, vcc_lo
	v_cmpx_lt_i64_e32 -1, v[5:6]
	s_cbranch_execz .LBB24_37
; %bb.26:
	v_mov_b32_e32 v3, 1.0
	s_mov_b32 s11, exec_lo
	v_cmpx_lt_i64_e32 0, v[5:6]
	s_cbranch_execz .LBB24_36
; %bb.27:
	s_mov_b32 s8, exec_lo
	v_cmpx_ne_u64_e32 1, v[5:6]
	s_xor_b32 s12, exec_lo, s8
	s_cbranch_execz .LBB24_33
; %bb.28:
	v_mov_b32_e32 v3, 0x7fc00000
	s_mov_b32 s13, exec_lo
	v_cmpx_gt_u64_e32 0x81, v[5:6]
	s_cbranch_execz .LBB24_32
; %bb.29:
	v_lshlrev_b64 v[5:6], 1, v[5:6]
	v_dual_mov_b32 v10, 1.0 :: v_dual_mov_b32 v3, v9
	s_mov_b64 s[8:9], 2
	s_mov_b32 s14, 0
	.p2align	6
.LBB24_30:                              ; =>This Inner Loop Header: Depth=1
	s_clz_i32_u32 s15, s9
	s_delay_alu instid0(SALU_CYCLE_1) | instskip(NEXT) | instid1(SALU_CYCLE_1)
	s_min_u32 s15, s15, 32
	s_lshl_b64 s[16:17], s[8:9], s15
	s_sub_i32 s15, 32, s15
	s_min_u32 s16, s16, 1
	s_delay_alu instid0(SALU_CYCLE_1) | instskip(SKIP_3) | instid1(SALU_CYCLE_1)
	s_or_b32 s16, s17, s16
	s_add_u32 s8, s8, 2
	v_cvt_f32_u32_e32 v11, s16
	s_addc_u32 s9, s9, 0
	v_cmp_ge_u64_e32 vcc_lo, s[8:9], v[5:6]
	s_delay_alu instid0(VALU_DEP_2) | instskip(SKIP_1) | instid1(VALU_DEP_1)
	v_ldexp_f32 v11, v11, s15
	s_or_b32 s14, vcc_lo, s14
	v_dual_mul_f32 v11, v10, v11 :: v_dual_mov_b32 v10, v3
	s_delay_alu instid0(VALU_DEP_1)
	v_fma_f32 v3, v9, v3, -v11
	s_and_not1_b32 exec_lo, exec_lo, s14
	s_cbranch_execnz .LBB24_30
; %bb.31:
	s_or_b32 exec_lo, exec_lo, s14
.LBB24_32:
	s_delay_alu instid0(SALU_CYCLE_1)
	s_or_b32 exec_lo, exec_lo, s13
.LBB24_33:
	s_and_not1_saveexec_b32 s8, s12
; %bb.34:
	v_mov_b32_e32 v3, v9
; %bb.35:
	s_or_b32 exec_lo, exec_lo, s8
.LBB24_36:
	s_delay_alu instid0(SALU_CYCLE_1)
	s_or_b32 exec_lo, exec_lo, s11
.LBB24_37:
	s_delay_alu instid0(SALU_CYCLE_1) | instskip(SKIP_2) | instid1(VALU_DEP_1)
	s_or_b32 exec_lo, exec_lo, s3
	v_trunc_f32_e32 v5, v4
	s_mov_b32 s3, exec_lo
	v_mul_f32_e64 v6, 0x2f800000, |v5|
	s_delay_alu instid0(VALU_DEP_1) | instskip(NEXT) | instid1(VALU_DEP_1)
	v_floor_f32_e32 v6, v6
	v_fma_f32 v10, 0xcf800000, v6, |v5|
	v_ashrrev_i32_e32 v5, 31, v5
	v_cvt_u32_f32_e32 v6, v6
	s_delay_alu instid0(VALU_DEP_3) | instskip(NEXT) | instid1(VALU_DEP_2)
	v_cvt_u32_f32_e32 v10, v10
	v_xor_b32_e32 v6, v6, v5
	s_delay_alu instid0(VALU_DEP_2) | instskip(NEXT) | instid1(VALU_DEP_1)
	v_xor_b32_e32 v10, v10, v5
	v_sub_co_u32 v10, vcc_lo, v10, v5
	s_delay_alu instid0(VALU_DEP_3) | instskip(SKIP_2) | instid1(VALU_DEP_3)
	v_sub_co_ci_u32_e32 v5, vcc_lo, v6, v5, vcc_lo
	v_cmp_class_f32_e64 vcc_lo, v4, 0x1f8
	v_mov_b32_e32 v4, 0
	v_dual_cndmask_b32 v6, -1, v5 :: v_dual_cndmask_b32 v5, -1, v10
	s_delay_alu instid0(VALU_DEP_1)
	v_cmpx_lt_i64_e32 -1, v[5:6]
	s_cbranch_execz .LBB24_49
; %bb.38:
	v_mov_b32_e32 v4, 1.0
	s_mov_b32 s11, exec_lo
	v_cmpx_lt_i64_e32 0, v[5:6]
	s_cbranch_execz .LBB24_48
; %bb.39:
	s_mov_b32 s8, exec_lo
	v_cmpx_ne_u64_e32 1, v[5:6]
	s_xor_b32 s12, exec_lo, s8
	s_cbranch_execz .LBB24_45
; %bb.40:
	v_mov_b32_e32 v4, 0x7fc00000
	s_mov_b32 s13, exec_lo
	v_cmpx_gt_u64_e32 0x81, v[5:6]
	s_cbranch_execz .LBB24_44
; %bb.41:
	v_lshlrev_b64 v[5:6], 1, v[5:6]
	v_mov_b32_e32 v10, 1.0
	v_mov_b32_e32 v4, v9
	s_mov_b64 s[8:9], 2
	s_mov_b32 s14, 0
	.p2align	6
.LBB24_42:                              ; =>This Inner Loop Header: Depth=1
	s_clz_i32_u32 s15, s9
	s_delay_alu instid0(SALU_CYCLE_1) | instskip(NEXT) | instid1(SALU_CYCLE_1)
	s_min_u32 s15, s15, 32
	s_lshl_b64 s[16:17], s[8:9], s15
	s_sub_i32 s15, 32, s15
	s_min_u32 s16, s16, 1
	s_delay_alu instid0(SALU_CYCLE_1) | instskip(SKIP_3) | instid1(SALU_CYCLE_1)
	s_or_b32 s16, s17, s16
	s_add_u32 s8, s8, 2
	v_cvt_f32_u32_e32 v11, s16
	s_addc_u32 s9, s9, 0
	v_cmp_ge_u64_e32 vcc_lo, s[8:9], v[5:6]
	s_delay_alu instid0(VALU_DEP_2) | instskip(SKIP_1) | instid1(VALU_DEP_1)
	v_ldexp_f32 v11, v11, s15
	s_or_b32 s14, vcc_lo, s14
	v_dual_mul_f32 v11, v10, v11 :: v_dual_mov_b32 v10, v4
	s_delay_alu instid0(VALU_DEP_1)
	v_fma_f32 v4, v9, v4, -v11
	s_and_not1_b32 exec_lo, exec_lo, s14
	s_cbranch_execnz .LBB24_42
; %bb.43:
	s_or_b32 exec_lo, exec_lo, s14
.LBB24_44:
	s_delay_alu instid0(SALU_CYCLE_1)
	s_or_b32 exec_lo, exec_lo, s13
                                        ; implicit-def: $vgpr9
.LBB24_45:
	s_and_not1_saveexec_b32 s8, s12
; %bb.46:
	v_mov_b32_e32 v4, v9
; %bb.47:
	s_or_b32 exec_lo, exec_lo, s8
.LBB24_48:
	s_delay_alu instid0(SALU_CYCLE_1)
	s_or_b32 exec_lo, exec_lo, s11
.LBB24_49:
	s_delay_alu instid0(SALU_CYCLE_1)
	s_or_b32 exec_lo, exec_lo, s3
	s_add_u32 s8, s4, s0
	s_addc_u32 s9, s5, s1
	s_mov_b32 s0, 0
	global_store_b128 v7, v[1:4], s[8:9]
.LBB24_50:
	s_and_b32 vcc_lo, exec_lo, s0
	s_cbranch_vccz .LBB24_107
; %bb.51:
	v_cmp_gt_i32_e32 vcc_lo, s10, v0
	v_dual_mov_b32 v7, 0 :: v_dual_mov_b32 v6, 0
	v_or_b32_e32 v5, s2, v0
	v_or_b32_e32 v9, 0x100, v0
	v_mov_b32_e32 v1, v0
	s_and_saveexec_b32 s1, vcc_lo
	s_cbranch_execz .LBB24_53
; %bb.52:
	v_mov_b32_e32 v6, 0
	s_delay_alu instid0(VALU_DEP_1) | instskip(NEXT) | instid1(VALU_DEP_1)
	v_lshlrev_b64 v[1:2], 2, v[5:6]
	v_add_co_u32 v1, s0, s6, v1
	s_delay_alu instid0(VALU_DEP_1)
	v_add_co_ci_u32_e64 v2, s0, s7, v2, s0
	global_load_b32 v6, v[1:2], off
	v_or_b32_e32 v1, 0x100, v0
.LBB24_53:
	s_or_b32 exec_lo, exec_lo, s1
	s_delay_alu instid0(SALU_CYCLE_1) | instskip(NEXT) | instid1(VALU_DEP_1)
	s_mov_b32 s1, exec_lo
	v_cmpx_gt_i32_e64 s10, v1
	s_cbranch_execz .LBB24_55
; %bb.54:
	v_dual_mov_b32 v3, 0 :: v_dual_add_nc_u32 v2, s2, v1
	v_add_nc_u32_e32 v1, 0x100, v1
	s_delay_alu instid0(VALU_DEP_2) | instskip(NEXT) | instid1(VALU_DEP_1)
	v_lshlrev_b64 v[2:3], 2, v[2:3]
	v_add_co_u32 v2, s0, s6, v2
	s_delay_alu instid0(VALU_DEP_1)
	v_add_co_ci_u32_e64 v3, s0, s7, v3, s0
	global_load_b32 v7, v[2:3], off
.LBB24_55:
	s_or_b32 exec_lo, exec_lo, s1
	v_dual_mov_b32 v10, 0 :: v_dual_mov_b32 v11, 0
	s_mov_b32 s1, exec_lo
	v_cmpx_gt_i32_e64 s10, v1
	s_cbranch_execnz .LBB24_59
; %bb.56:
	s_or_b32 exec_lo, exec_lo, s1
	s_delay_alu instid0(SALU_CYCLE_1)
	s_mov_b32 s1, exec_lo
	v_cmpx_gt_i32_e64 s10, v1
	s_cbranch_execnz .LBB24_60
.LBB24_57:
	s_or_b32 exec_lo, exec_lo, s1
                                        ; implicit-def: $vgpr1_vgpr2_vgpr3_vgpr4
	s_and_saveexec_b32 s1, vcc_lo
	s_cbranch_execnz .LBB24_61
.LBB24_58:
	s_or_b32 exec_lo, exec_lo, s1
	s_delay_alu instid0(SALU_CYCLE_1)
	s_mov_b32 s1, exec_lo
	v_cmpx_gt_i32_e64 s10, v9
	s_cbranch_execnz .LBB24_74
	s_branch .LBB24_87
.LBB24_59:
	v_dual_mov_b32 v3, 0 :: v_dual_add_nc_u32 v2, s2, v1
	v_add_nc_u32_e32 v1, 0x100, v1
	s_delay_alu instid0(VALU_DEP_2) | instskip(NEXT) | instid1(VALU_DEP_1)
	v_lshlrev_b64 v[2:3], 2, v[2:3]
	v_add_co_u32 v2, s0, s6, v2
	s_delay_alu instid0(VALU_DEP_1) | instskip(SKIP_2) | instid1(SALU_CYCLE_1)
	v_add_co_ci_u32_e64 v3, s0, s7, v3, s0
	global_load_b32 v11, v[2:3], off
	s_or_b32 exec_lo, exec_lo, s1
	s_mov_b32 s1, exec_lo
	v_cmpx_gt_i32_e64 s10, v1
	s_cbranch_execz .LBB24_57
.LBB24_60:
	v_dual_mov_b32 v2, 0 :: v_dual_add_nc_u32 v1, s2, v1
	s_delay_alu instid0(VALU_DEP_1) | instskip(NEXT) | instid1(VALU_DEP_1)
	v_lshlrev_b64 v[1:2], 2, v[1:2]
	v_add_co_u32 v1, s0, s6, v1
	s_delay_alu instid0(VALU_DEP_1)
	v_add_co_ci_u32_e64 v2, s0, s7, v2, s0
	global_load_b32 v10, v[1:2], off
	s_or_b32 exec_lo, exec_lo, s1
                                        ; implicit-def: $vgpr1_vgpr2_vgpr3_vgpr4
	s_and_saveexec_b32 s1, vcc_lo
	s_cbranch_execz .LBB24_58
.LBB24_61:
	s_waitcnt vmcnt(0)
	v_trunc_f32_e32 v1, v6
	s_mov_b32 s3, exec_lo
	s_delay_alu instid0(VALU_DEP_1) | instskip(NEXT) | instid1(VALU_DEP_1)
	v_mul_f32_e64 v2, 0x2f800000, |v1|
	v_floor_f32_e32 v2, v2
	s_delay_alu instid0(VALU_DEP_1) | instskip(SKIP_2) | instid1(VALU_DEP_3)
	v_fma_f32 v3, 0xcf800000, v2, |v1|
	v_ashrrev_i32_e32 v1, 31, v1
	v_cvt_u32_f32_e32 v2, v2
	v_cvt_u32_f32_e32 v3, v3
	s_delay_alu instid0(VALU_DEP_2) | instskip(NEXT) | instid1(VALU_DEP_2)
	v_xor_b32_e32 v2, v2, v1
	v_xor_b32_e32 v3, v3, v1
	s_delay_alu instid0(VALU_DEP_1) | instskip(NEXT) | instid1(VALU_DEP_1)
	v_sub_co_u32 v4, s0, v3, v1
	v_sub_co_ci_u32_e64 v1, s0, v2, v1, s0
	v_cmp_class_f32_e64 s0, v6, 0x1f8
	s_delay_alu instid0(VALU_DEP_1) | instskip(NEXT) | instid1(VALU_DEP_4)
	v_cndmask_b32_e64 v3, -1, v1, s0
	v_cndmask_b32_e64 v2, -1, v4, s0
	v_mov_b32_e32 v1, 0
	s_delay_alu instid0(VALU_DEP_2)
	v_cmpx_lt_i64_e32 -1, v[2:3]
	s_cbranch_execz .LBB24_73
; %bb.62:
	v_mov_b32_e32 v1, 1.0
	s_mov_b32 s8, exec_lo
	v_cmpx_lt_i64_e32 0, v[2:3]
	s_cbranch_execz .LBB24_72
; %bb.63:
                                        ; implicit-def: $vgpr1
	s_mov_b32 s6, exec_lo
	v_cmpx_ne_u64_e32 1, v[2:3]
	s_xor_b32 s9, exec_lo, s6
	s_cbranch_execz .LBB24_69
; %bb.64:
	v_mov_b32_e32 v1, 0x7fc00000
	s_mov_b32 s11, exec_lo
	v_cmpx_gt_u64_e32 0x81, v[2:3]
	s_cbranch_execz .LBB24_68
; %bb.65:
	v_lshlrev_b64 v[2:3], 1, v[2:3]
	v_dual_mov_b32 v4, 1.0 :: v_dual_mov_b32 v1, v8
	s_mov_b64 s[6:7], 2
	s_mov_b32 s12, 0
	.p2align	6
.LBB24_66:                              ; =>This Inner Loop Header: Depth=1
	s_clz_i32_u32 s0, s7
	s_delay_alu instid0(SALU_CYCLE_1) | instskip(NEXT) | instid1(SALU_CYCLE_1)
	s_min_u32 s0, s0, 32
	s_lshl_b64 s[14:15], s[6:7], s0
	s_sub_i32 s0, 32, s0
	s_min_u32 s13, s14, 1
	s_delay_alu instid0(SALU_CYCLE_1) | instskip(SKIP_3) | instid1(VALU_DEP_1)
	s_or_b32 s13, s15, s13
	s_add_u32 s6, s6, 2
	v_cvt_f32_u32_e32 v6, s13
	s_addc_u32 s7, s7, 0
	v_ldexp_f32 v6, v6, s0
	v_cmp_ge_u64_e64 s0, s[6:7], v[2:3]
	s_delay_alu instid0(VALU_DEP_2) | instskip(SKIP_1) | instid1(VALU_DEP_3)
	v_mul_f32_e32 v6, v4, v6
	v_mov_b32_e32 v4, v1
	s_or_b32 s12, s0, s12
	s_delay_alu instid0(VALU_DEP_2)
	v_fma_f32 v1, v8, v1, -v6
	s_and_not1_b32 exec_lo, exec_lo, s12
	s_cbranch_execnz .LBB24_66
; %bb.67:
	s_or_b32 exec_lo, exec_lo, s12
.LBB24_68:
	s_delay_alu instid0(SALU_CYCLE_1)
	s_or_b32 exec_lo, exec_lo, s11
.LBB24_69:
	s_and_not1_saveexec_b32 s0, s9
; %bb.70:
	v_mov_b32_e32 v1, v8
; %bb.71:
	s_or_b32 exec_lo, exec_lo, s0
.LBB24_72:
	s_delay_alu instid0(SALU_CYCLE_1)
	s_or_b32 exec_lo, exec_lo, s8
.LBB24_73:
	s_delay_alu instid0(SALU_CYCLE_1) | instskip(NEXT) | instid1(SALU_CYCLE_1)
	s_or_b32 exec_lo, exec_lo, s3
	s_or_b32 exec_lo, exec_lo, s1
	s_delay_alu instid0(SALU_CYCLE_1)
	s_mov_b32 s1, exec_lo
	v_cmpx_gt_i32_e64 s10, v9
	s_cbranch_execz .LBB24_87
.LBB24_74:
	s_waitcnt vmcnt(0)
	v_trunc_f32_e32 v2, v7
	s_mov_b32 s3, exec_lo
	s_delay_alu instid0(VALU_DEP_1) | instskip(NEXT) | instid1(VALU_DEP_1)
	v_mul_f32_e64 v6, 0x2f800000, |v2|
	v_floor_f32_e32 v6, v6
	s_delay_alu instid0(VALU_DEP_1) | instskip(SKIP_2) | instid1(VALU_DEP_3)
	v_fma_f32 v12, 0xcf800000, v6, |v2|
	v_ashrrev_i32_e32 v2, 31, v2
	v_cvt_u32_f32_e32 v6, v6
	v_cvt_u32_f32_e32 v12, v12
	s_delay_alu instid0(VALU_DEP_2) | instskip(NEXT) | instid1(VALU_DEP_2)
	v_xor_b32_e32 v6, v6, v2
	v_xor_b32_e32 v12, v12, v2
	s_delay_alu instid0(VALU_DEP_1) | instskip(NEXT) | instid1(VALU_DEP_1)
	v_sub_co_u32 v12, s0, v12, v2
	v_sub_co_ci_u32_e64 v2, s0, v6, v2, s0
	v_cmp_class_f32_e64 s0, v7, 0x1f8
	s_delay_alu instid0(VALU_DEP_1) | instskip(NEXT) | instid1(VALU_DEP_4)
	v_cndmask_b32_e64 v7, -1, v2, s0
	v_cndmask_b32_e64 v6, -1, v12, s0
	v_mov_b32_e32 v2, 0
	s_delay_alu instid0(VALU_DEP_2)
	v_cmpx_lt_i64_e32 -1, v[6:7]
	s_cbranch_execz .LBB24_86
; %bb.75:
	v_mov_b32_e32 v2, 1.0
	s_mov_b32 s8, exec_lo
	v_cmpx_lt_i64_e32 0, v[6:7]
	s_cbranch_execz .LBB24_85
; %bb.76:
	s_mov_b32 s6, exec_lo
	v_cmpx_ne_u64_e32 1, v[6:7]
	s_xor_b32 s9, exec_lo, s6
	s_cbranch_execz .LBB24_82
; %bb.77:
	v_mov_b32_e32 v2, 0x7fc00000
	s_mov_b32 s11, exec_lo
	v_cmpx_gt_u64_e32 0x81, v[6:7]
	s_cbranch_execz .LBB24_81
; %bb.78:
	v_lshlrev_b64 v[6:7], 1, v[6:7]
	v_mov_b32_e32 v12, 1.0
	v_mov_b32_e32 v2, v8
	s_mov_b64 s[6:7], 2
	s_mov_b32 s12, 0
	.p2align	6
.LBB24_79:                              ; =>This Inner Loop Header: Depth=1
	s_clz_i32_u32 s0, s7
	s_delay_alu instid0(SALU_CYCLE_1) | instskip(NEXT) | instid1(SALU_CYCLE_1)
	s_min_u32 s0, s0, 32
	s_lshl_b64 s[14:15], s[6:7], s0
	s_sub_i32 s0, 32, s0
	s_min_u32 s13, s14, 1
	s_delay_alu instid0(SALU_CYCLE_1) | instskip(SKIP_3) | instid1(VALU_DEP_1)
	s_or_b32 s13, s15, s13
	s_add_u32 s6, s6, 2
	v_cvt_f32_u32_e32 v13, s13
	s_addc_u32 s7, s7, 0
	v_ldexp_f32 v13, v13, s0
	v_cmp_ge_u64_e64 s0, s[6:7], v[6:7]
	s_delay_alu instid0(VALU_DEP_2) | instskip(NEXT) | instid1(VALU_DEP_2)
	v_dual_mul_f32 v13, v12, v13 :: v_dual_mov_b32 v12, v2
	s_or_b32 s12, s0, s12
	s_delay_alu instid0(VALU_DEP_1)
	v_fma_f32 v2, v8, v2, -v13
	s_and_not1_b32 exec_lo, exec_lo, s12
	s_cbranch_execnz .LBB24_79
; %bb.80:
	s_or_b32 exec_lo, exec_lo, s12
.LBB24_81:
	s_delay_alu instid0(SALU_CYCLE_1)
	s_or_b32 exec_lo, exec_lo, s11
.LBB24_82:
	s_and_not1_saveexec_b32 s0, s9
; %bb.83:
	v_mov_b32_e32 v2, v8
; %bb.84:
	s_or_b32 exec_lo, exec_lo, s0
.LBB24_85:
	s_delay_alu instid0(SALU_CYCLE_1)
	s_or_b32 exec_lo, exec_lo, s8
.LBB24_86:
	s_delay_alu instid0(SALU_CYCLE_1)
	s_or_b32 exec_lo, exec_lo, s3
.LBB24_87:
	s_delay_alu instid0(SALU_CYCLE_1) | instskip(SKIP_3) | instid1(VALU_DEP_1)
	s_or_b32 exec_lo, exec_lo, s1
	s_waitcnt vmcnt(0)
	v_or_b32_e32 v6, 0x200, v0
	s_mov_b32 s1, exec_lo
	v_cmpx_gt_i32_e64 s10, v6
	s_cbranch_execz .LBB24_101
; %bb.88:
	v_trunc_f32_e32 v3, v11
	s_mov_b32 s3, exec_lo
	s_delay_alu instid0(VALU_DEP_1) | instskip(NEXT) | instid1(VALU_DEP_1)
	v_mul_f32_e64 v6, 0x2f800000, |v3|
	v_floor_f32_e32 v6, v6
	s_delay_alu instid0(VALU_DEP_1) | instskip(SKIP_2) | instid1(VALU_DEP_3)
	v_fma_f32 v7, 0xcf800000, v6, |v3|
	v_ashrrev_i32_e32 v3, 31, v3
	v_cvt_u32_f32_e32 v6, v6
	v_cvt_u32_f32_e32 v7, v7
	s_delay_alu instid0(VALU_DEP_2) | instskip(NEXT) | instid1(VALU_DEP_2)
	v_xor_b32_e32 v6, v6, v3
	v_xor_b32_e32 v7, v7, v3
	s_delay_alu instid0(VALU_DEP_1) | instskip(NEXT) | instid1(VALU_DEP_1)
	v_sub_co_u32 v12, s0, v7, v3
	v_sub_co_ci_u32_e64 v3, s0, v6, v3, s0
	v_cmp_class_f32_e64 s0, v11, 0x1f8
	s_delay_alu instid0(VALU_DEP_1) | instskip(NEXT) | instid1(VALU_DEP_4)
	v_cndmask_b32_e64 v7, -1, v3, s0
	v_cndmask_b32_e64 v6, -1, v12, s0
	v_mov_b32_e32 v3, 0
	s_delay_alu instid0(VALU_DEP_2)
	v_cmpx_lt_i64_e32 -1, v[6:7]
	s_cbranch_execz .LBB24_100
; %bb.89:
	v_mov_b32_e32 v3, 1.0
	s_mov_b32 s8, exec_lo
	v_cmpx_lt_i64_e32 0, v[6:7]
	s_cbranch_execz .LBB24_99
; %bb.90:
	s_mov_b32 s6, exec_lo
	v_cmpx_ne_u64_e32 1, v[6:7]
	s_xor_b32 s9, exec_lo, s6
	s_cbranch_execz .LBB24_96
; %bb.91:
	v_mov_b32_e32 v3, 0x7fc00000
	s_mov_b32 s11, exec_lo
	v_cmpx_gt_u64_e32 0x81, v[6:7]
	s_cbranch_execz .LBB24_95
; %bb.92:
	v_lshlrev_b64 v[6:7], 1, v[6:7]
	v_mov_b32_e32 v11, 1.0
	v_mov_b32_e32 v3, v8
	s_mov_b64 s[6:7], 2
	s_mov_b32 s12, 0
	.p2align	6
.LBB24_93:                              ; =>This Inner Loop Header: Depth=1
	s_clz_i32_u32 s0, s7
	s_delay_alu instid0(SALU_CYCLE_1) | instskip(NEXT) | instid1(SALU_CYCLE_1)
	s_min_u32 s0, s0, 32
	s_lshl_b64 s[14:15], s[6:7], s0
	s_sub_i32 s0, 32, s0
	s_min_u32 s13, s14, 1
	s_delay_alu instid0(SALU_CYCLE_1) | instskip(SKIP_3) | instid1(VALU_DEP_1)
	s_or_b32 s13, s15, s13
	s_add_u32 s6, s6, 2
	v_cvt_f32_u32_e32 v12, s13
	s_addc_u32 s7, s7, 0
	v_ldexp_f32 v12, v12, s0
	v_cmp_ge_u64_e64 s0, s[6:7], v[6:7]
	s_delay_alu instid0(VALU_DEP_2) | instskip(SKIP_1) | instid1(VALU_DEP_3)
	v_mul_f32_e32 v12, v11, v12
	v_mov_b32_e32 v11, v3
	s_or_b32 s12, s0, s12
	s_delay_alu instid0(VALU_DEP_2)
	v_fma_f32 v3, v8, v3, -v12
	s_and_not1_b32 exec_lo, exec_lo, s12
	s_cbranch_execnz .LBB24_93
; %bb.94:
	s_or_b32 exec_lo, exec_lo, s12
.LBB24_95:
	s_delay_alu instid0(SALU_CYCLE_1)
	s_or_b32 exec_lo, exec_lo, s11
.LBB24_96:
	s_and_not1_saveexec_b32 s0, s9
; %bb.97:
	v_mov_b32_e32 v3, v8
; %bb.98:
	s_or_b32 exec_lo, exec_lo, s0
.LBB24_99:
	s_delay_alu instid0(SALU_CYCLE_1)
	s_or_b32 exec_lo, exec_lo, s8
.LBB24_100:
	s_delay_alu instid0(SALU_CYCLE_1)
	s_or_b32 exec_lo, exec_lo, s3
.LBB24_101:
	s_delay_alu instid0(SALU_CYCLE_1) | instskip(SKIP_2) | instid1(VALU_DEP_1)
	s_or_b32 exec_lo, exec_lo, s1
	v_or_b32_e32 v6, 0x300, v0
	s_mov_b32 s1, exec_lo
	v_cmpx_gt_i32_e64 s10, v6
	s_cbranch_execnz .LBB24_108
; %bb.102:
	s_or_b32 exec_lo, exec_lo, s1
	s_and_saveexec_b32 s0, vcc_lo
	s_delay_alu instid0(SALU_CYCLE_1)
	s_xor_b32 s0, exec_lo, s0
	s_cbranch_execnz .LBB24_121
.LBB24_103:
	s_or_b32 exec_lo, exec_lo, s0
	s_delay_alu instid0(SALU_CYCLE_1)
	s_mov_b32 s0, exec_lo
	v_cmpx_gt_i32_e64 s10, v0
	s_cbranch_execnz .LBB24_122
.LBB24_104:
	s_or_b32 exec_lo, exec_lo, s0
	s_delay_alu instid0(SALU_CYCLE_1)
	s_mov_b32 s0, exec_lo
	v_cmpx_gt_i32_e64 s10, v0
	s_cbranch_execnz .LBB24_123
.LBB24_105:
	s_or_b32 exec_lo, exec_lo, s0
	s_delay_alu instid0(SALU_CYCLE_1)
	s_mov_b32 s0, exec_lo
	v_cmpx_gt_i32_e64 s10, v0
	s_cbranch_execz .LBB24_107
.LBB24_106:
	v_dual_mov_b32 v1, 0 :: v_dual_add_nc_u32 v0, s2, v0
	s_delay_alu instid0(VALU_DEP_1) | instskip(NEXT) | instid1(VALU_DEP_1)
	v_lshlrev_b64 v[0:1], 2, v[0:1]
	v_add_co_u32 v0, vcc_lo, s4, v0
	s_delay_alu instid0(VALU_DEP_2)
	v_add_co_ci_u32_e32 v1, vcc_lo, s5, v1, vcc_lo
	global_store_b32 v[0:1], v4, off
.LBB24_107:
	s_nop 0
	s_sendmsg sendmsg(MSG_DEALLOC_VGPRS)
	s_endpgm
.LBB24_108:
	v_trunc_f32_e32 v4, v10
	s_mov_b32 s3, exec_lo
	s_delay_alu instid0(VALU_DEP_1) | instskip(NEXT) | instid1(VALU_DEP_1)
	v_mul_f32_e64 v6, 0x2f800000, |v4|
	v_floor_f32_e32 v6, v6
	s_delay_alu instid0(VALU_DEP_1) | instskip(SKIP_2) | instid1(VALU_DEP_3)
	v_fma_f32 v7, 0xcf800000, v6, |v4|
	v_ashrrev_i32_e32 v4, 31, v4
	v_cvt_u32_f32_e32 v6, v6
	v_cvt_u32_f32_e32 v7, v7
	s_delay_alu instid0(VALU_DEP_2) | instskip(NEXT) | instid1(VALU_DEP_2)
	v_xor_b32_e32 v6, v6, v4
	v_xor_b32_e32 v7, v7, v4
	s_delay_alu instid0(VALU_DEP_1) | instskip(NEXT) | instid1(VALU_DEP_1)
	v_sub_co_u32 v11, s0, v7, v4
	v_sub_co_ci_u32_e64 v4, s0, v6, v4, s0
	v_cmp_class_f32_e64 s0, v10, 0x1f8
	s_delay_alu instid0(VALU_DEP_1) | instskip(NEXT) | instid1(VALU_DEP_4)
	v_cndmask_b32_e64 v7, -1, v4, s0
	v_cndmask_b32_e64 v6, -1, v11, s0
	v_mov_b32_e32 v4, 0
	s_delay_alu instid0(VALU_DEP_2)
	v_cmpx_lt_i64_e32 -1, v[6:7]
	s_cbranch_execz .LBB24_120
; %bb.109:
	v_mov_b32_e32 v4, 1.0
	s_mov_b32 s8, exec_lo
	v_cmpx_lt_i64_e32 0, v[6:7]
	s_cbranch_execz .LBB24_119
; %bb.110:
	s_mov_b32 s6, exec_lo
	v_cmpx_ne_u64_e32 1, v[6:7]
	s_xor_b32 s9, exec_lo, s6
	s_cbranch_execz .LBB24_116
; %bb.111:
	v_mov_b32_e32 v4, 0x7fc00000
	s_mov_b32 s11, exec_lo
	v_cmpx_gt_u64_e32 0x81, v[6:7]
	s_cbranch_execz .LBB24_115
; %bb.112:
	v_lshlrev_b64 v[6:7], 1, v[6:7]
	v_mov_b32_e32 v10, 1.0
	v_mov_b32_e32 v4, v8
	s_mov_b64 s[6:7], 2
	s_mov_b32 s12, 0
	.p2align	6
.LBB24_113:                             ; =>This Inner Loop Header: Depth=1
	s_clz_i32_u32 s0, s7
	s_delay_alu instid0(SALU_CYCLE_1) | instskip(NEXT) | instid1(SALU_CYCLE_1)
	s_min_u32 s0, s0, 32
	s_lshl_b64 s[14:15], s[6:7], s0
	s_sub_i32 s0, 32, s0
	s_min_u32 s13, s14, 1
	s_delay_alu instid0(SALU_CYCLE_1) | instskip(SKIP_3) | instid1(VALU_DEP_1)
	s_or_b32 s13, s15, s13
	s_add_u32 s6, s6, 2
	v_cvt_f32_u32_e32 v11, s13
	s_addc_u32 s7, s7, 0
	v_ldexp_f32 v11, v11, s0
	v_cmp_ge_u64_e64 s0, s[6:7], v[6:7]
	s_delay_alu instid0(VALU_DEP_2) | instskip(NEXT) | instid1(VALU_DEP_2)
	v_dual_mul_f32 v11, v10, v11 :: v_dual_mov_b32 v10, v4
	s_or_b32 s12, s0, s12
	s_delay_alu instid0(VALU_DEP_1)
	v_fma_f32 v4, v8, v4, -v11
	s_and_not1_b32 exec_lo, exec_lo, s12
	s_cbranch_execnz .LBB24_113
; %bb.114:
	s_or_b32 exec_lo, exec_lo, s12
.LBB24_115:
	s_delay_alu instid0(SALU_CYCLE_1)
	s_or_b32 exec_lo, exec_lo, s11
                                        ; implicit-def: $vgpr8
.LBB24_116:
	s_and_not1_saveexec_b32 s0, s9
; %bb.117:
	v_mov_b32_e32 v4, v8
; %bb.118:
	s_or_b32 exec_lo, exec_lo, s0
.LBB24_119:
	s_delay_alu instid0(SALU_CYCLE_1)
	s_or_b32 exec_lo, exec_lo, s8
.LBB24_120:
	s_delay_alu instid0(SALU_CYCLE_1) | instskip(NEXT) | instid1(SALU_CYCLE_1)
	s_or_b32 exec_lo, exec_lo, s3
	s_or_b32 exec_lo, exec_lo, s1
	s_and_saveexec_b32 s0, vcc_lo
	s_delay_alu instid0(SALU_CYCLE_1)
	s_xor_b32 s0, exec_lo, s0
	s_cbranch_execz .LBB24_103
.LBB24_121:
	v_mov_b32_e32 v6, 0
	v_mov_b32_e32 v0, v9
	s_delay_alu instid0(VALU_DEP_2) | instskip(NEXT) | instid1(VALU_DEP_1)
	v_lshlrev_b64 v[5:6], 2, v[5:6]
	v_add_co_u32 v5, vcc_lo, s4, v5
	s_delay_alu instid0(VALU_DEP_2) | instskip(SKIP_2) | instid1(SALU_CYCLE_1)
	v_add_co_ci_u32_e32 v6, vcc_lo, s5, v6, vcc_lo
	global_store_b32 v[5:6], v1, off
	s_or_b32 exec_lo, exec_lo, s0
	s_mov_b32 s0, exec_lo
	v_cmpx_gt_i32_e64 s10, v0
	s_cbranch_execz .LBB24_104
.LBB24_122:
	v_dual_mov_b32 v6, 0 :: v_dual_add_nc_u32 v5, s2, v0
	v_add_nc_u32_e32 v0, 0x100, v0
	s_delay_alu instid0(VALU_DEP_2) | instskip(NEXT) | instid1(VALU_DEP_1)
	v_lshlrev_b64 v[5:6], 2, v[5:6]
	v_add_co_u32 v5, vcc_lo, s4, v5
	s_delay_alu instid0(VALU_DEP_2) | instskip(SKIP_2) | instid1(SALU_CYCLE_1)
	v_add_co_ci_u32_e32 v6, vcc_lo, s5, v6, vcc_lo
	global_store_b32 v[5:6], v2, off
	s_or_b32 exec_lo, exec_lo, s0
	s_mov_b32 s0, exec_lo
	v_cmpx_gt_i32_e64 s10, v0
	s_cbranch_execz .LBB24_105
.LBB24_123:
	v_dual_mov_b32 v2, 0 :: v_dual_add_nc_u32 v1, s2, v0
	v_add_nc_u32_e32 v0, 0x100, v0
	s_delay_alu instid0(VALU_DEP_2) | instskip(NEXT) | instid1(VALU_DEP_1)
	v_lshlrev_b64 v[1:2], 2, v[1:2]
	v_add_co_u32 v1, vcc_lo, s4, v1
	s_delay_alu instid0(VALU_DEP_2) | instskip(SKIP_2) | instid1(SALU_CYCLE_1)
	v_add_co_ci_u32_e32 v2, vcc_lo, s5, v2, vcc_lo
	global_store_b32 v[1:2], v3, off
	s_or_b32 exec_lo, exec_lo, s0
	s_mov_b32 s0, exec_lo
	v_cmpx_gt_i32_e64 s10, v0
	s_cbranch_execnz .LBB24_106
	s_branch .LBB24_107
	.section	.rodata,"a",@progbits
	.p2align	6, 0x0
	.amdhsa_kernel _ZN2at6native29vectorized_elementwise_kernelILi16ENS0_13AUnaryFunctorIfffZZZNS0_12_GLOBAL__N_132hermite_polynomial_h_kernel_cudaERNS_18TensorIteratorBaseEENKUlvE_clEvENKUlvE0_clEvEUlffE_EESt5arrayIPcLm2EEEEviT0_T1_
		.amdhsa_group_segment_fixed_size 0
		.amdhsa_private_segment_fixed_size 0
		.amdhsa_kernarg_size 32
		.amdhsa_user_sgpr_count 15
		.amdhsa_user_sgpr_dispatch_ptr 0
		.amdhsa_user_sgpr_queue_ptr 0
		.amdhsa_user_sgpr_kernarg_segment_ptr 1
		.amdhsa_user_sgpr_dispatch_id 0
		.amdhsa_user_sgpr_private_segment_size 0
		.amdhsa_wavefront_size32 1
		.amdhsa_uses_dynamic_stack 0
		.amdhsa_enable_private_segment 0
		.amdhsa_system_sgpr_workgroup_id_x 1
		.amdhsa_system_sgpr_workgroup_id_y 0
		.amdhsa_system_sgpr_workgroup_id_z 0
		.amdhsa_system_sgpr_workgroup_info 0
		.amdhsa_system_vgpr_workitem_id 0
		.amdhsa_next_free_vgpr 14
		.amdhsa_next_free_sgpr 18
		.amdhsa_reserve_vcc 1
		.amdhsa_float_round_mode_32 0
		.amdhsa_float_round_mode_16_64 0
		.amdhsa_float_denorm_mode_32 3
		.amdhsa_float_denorm_mode_16_64 3
		.amdhsa_dx10_clamp 1
		.amdhsa_ieee_mode 1
		.amdhsa_fp16_overflow 0
		.amdhsa_workgroup_processor_mode 1
		.amdhsa_memory_ordered 1
		.amdhsa_forward_progress 0
		.amdhsa_shared_vgpr_count 0
		.amdhsa_exception_fp_ieee_invalid_op 0
		.amdhsa_exception_fp_denorm_src 0
		.amdhsa_exception_fp_ieee_div_zero 0
		.amdhsa_exception_fp_ieee_overflow 0
		.amdhsa_exception_fp_ieee_underflow 0
		.amdhsa_exception_fp_ieee_inexact 0
		.amdhsa_exception_int_div_zero 0
	.end_amdhsa_kernel
	.section	.text._ZN2at6native29vectorized_elementwise_kernelILi16ENS0_13AUnaryFunctorIfffZZZNS0_12_GLOBAL__N_132hermite_polynomial_h_kernel_cudaERNS_18TensorIteratorBaseEENKUlvE_clEvENKUlvE0_clEvEUlffE_EESt5arrayIPcLm2EEEEviT0_T1_,"axG",@progbits,_ZN2at6native29vectorized_elementwise_kernelILi16ENS0_13AUnaryFunctorIfffZZZNS0_12_GLOBAL__N_132hermite_polynomial_h_kernel_cudaERNS_18TensorIteratorBaseEENKUlvE_clEvENKUlvE0_clEvEUlffE_EESt5arrayIPcLm2EEEEviT0_T1_,comdat
.Lfunc_end24:
	.size	_ZN2at6native29vectorized_elementwise_kernelILi16ENS0_13AUnaryFunctorIfffZZZNS0_12_GLOBAL__N_132hermite_polynomial_h_kernel_cudaERNS_18TensorIteratorBaseEENKUlvE_clEvENKUlvE0_clEvEUlffE_EESt5arrayIPcLm2EEEEviT0_T1_, .Lfunc_end24-_ZN2at6native29vectorized_elementwise_kernelILi16ENS0_13AUnaryFunctorIfffZZZNS0_12_GLOBAL__N_132hermite_polynomial_h_kernel_cudaERNS_18TensorIteratorBaseEENKUlvE_clEvENKUlvE0_clEvEUlffE_EESt5arrayIPcLm2EEEEviT0_T1_
                                        ; -- End function
	.section	.AMDGPU.csdata,"",@progbits
; Kernel info:
; codeLenInByte = 3744
; NumSgprs: 20
; NumVgprs: 14
; ScratchSize: 0
; MemoryBound: 0
; FloatMode: 240
; IeeeMode: 1
; LDSByteSize: 0 bytes/workgroup (compile time only)
; SGPRBlocks: 2
; VGPRBlocks: 1
; NumSGPRsForWavesPerEU: 20
; NumVGPRsForWavesPerEU: 14
; Occupancy: 16
; WaveLimiterHint : 0
; COMPUTE_PGM_RSRC2:SCRATCH_EN: 0
; COMPUTE_PGM_RSRC2:USER_SGPR: 15
; COMPUTE_PGM_RSRC2:TRAP_HANDLER: 0
; COMPUTE_PGM_RSRC2:TGID_X_EN: 1
; COMPUTE_PGM_RSRC2:TGID_Y_EN: 0
; COMPUTE_PGM_RSRC2:TGID_Z_EN: 0
; COMPUTE_PGM_RSRC2:TIDIG_COMP_CNT: 0
	.section	.text._ZN2at6native29vectorized_elementwise_kernelILi8ENS0_13AUnaryFunctorIfffZZZNS0_12_GLOBAL__N_132hermite_polynomial_h_kernel_cudaERNS_18TensorIteratorBaseEENKUlvE_clEvENKUlvE0_clEvEUlffE_EESt5arrayIPcLm2EEEEviT0_T1_,"axG",@progbits,_ZN2at6native29vectorized_elementwise_kernelILi8ENS0_13AUnaryFunctorIfffZZZNS0_12_GLOBAL__N_132hermite_polynomial_h_kernel_cudaERNS_18TensorIteratorBaseEENKUlvE_clEvENKUlvE0_clEvEUlffE_EESt5arrayIPcLm2EEEEviT0_T1_,comdat
	.globl	_ZN2at6native29vectorized_elementwise_kernelILi8ENS0_13AUnaryFunctorIfffZZZNS0_12_GLOBAL__N_132hermite_polynomial_h_kernel_cudaERNS_18TensorIteratorBaseEENKUlvE_clEvENKUlvE0_clEvEUlffE_EESt5arrayIPcLm2EEEEviT0_T1_ ; -- Begin function _ZN2at6native29vectorized_elementwise_kernelILi8ENS0_13AUnaryFunctorIfffZZZNS0_12_GLOBAL__N_132hermite_polynomial_h_kernel_cudaERNS_18TensorIteratorBaseEENKUlvE_clEvENKUlvE0_clEvEUlffE_EESt5arrayIPcLm2EEEEviT0_T1_
	.p2align	8
	.type	_ZN2at6native29vectorized_elementwise_kernelILi8ENS0_13AUnaryFunctorIfffZZZNS0_12_GLOBAL__N_132hermite_polynomial_h_kernel_cudaERNS_18TensorIteratorBaseEENKUlvE_clEvENKUlvE0_clEvEUlffE_EESt5arrayIPcLm2EEEEviT0_T1_,@function
_ZN2at6native29vectorized_elementwise_kernelILi8ENS0_13AUnaryFunctorIfffZZZNS0_12_GLOBAL__N_132hermite_polynomial_h_kernel_cudaERNS_18TensorIteratorBaseEENKUlvE_clEvENKUlvE0_clEvEUlffE_EESt5arrayIPcLm2EEEEviT0_T1_: ; @_ZN2at6native29vectorized_elementwise_kernelILi8ENS0_13AUnaryFunctorIfffZZZNS0_12_GLOBAL__N_132hermite_polynomial_h_kernel_cudaERNS_18TensorIteratorBaseEENKUlvE_clEvENKUlvE0_clEvEUlffE_EESt5arrayIPcLm2EEEEviT0_T1_
; %bb.0:
	s_clause 0x2
	s_load_b32 s3, s[0:1], 0x0
	s_load_b32 s8, s[0:1], 0x8
	s_load_b128 s[4:7], s[0:1], 0x10
	s_lshl_b32 s2, s15, 10
	s_mov_b32 s0, -1
	s_waitcnt lgkmcnt(0)
	s_sub_i32 s10, s3, s2
	v_add_f32_e64 v8, s8, s8
	s_cmpk_gt_i32 s10, 0x3ff
	s_cbranch_scc0 .LBB25_50
; %bb.1:
	s_ashr_i32 s3, s2, 31
	v_lshlrev_b32_e32 v7, 4, v0
	s_lshl_b64 s[0:1], s[2:3], 2
	s_mov_b32 s3, exec_lo
	s_add_u32 s12, s6, s0
	s_addc_u32 s13, s7, s1
	global_load_b128 v[1:4], v7, s[12:13]
	s_waitcnt vmcnt(0)
	v_trunc_f32_e32 v5, v1
	s_delay_alu instid0(VALU_DEP_1) | instskip(NEXT) | instid1(VALU_DEP_1)
	v_mul_f32_e64 v6, 0x2f800000, |v5|
	v_floor_f32_e32 v6, v6
	s_delay_alu instid0(VALU_DEP_1) | instskip(SKIP_2) | instid1(VALU_DEP_3)
	v_fma_f32 v9, 0xcf800000, v6, |v5|
	v_ashrrev_i32_e32 v5, 31, v5
	v_cvt_u32_f32_e32 v6, v6
	v_cvt_u32_f32_e32 v9, v9
	s_delay_alu instid0(VALU_DEP_2) | instskip(NEXT) | instid1(VALU_DEP_2)
	v_xor_b32_e32 v6, v6, v5
	v_xor_b32_e32 v9, v9, v5
	s_delay_alu instid0(VALU_DEP_1) | instskip(NEXT) | instid1(VALU_DEP_3)
	v_sub_co_u32 v9, vcc_lo, v9, v5
	v_sub_co_ci_u32_e32 v5, vcc_lo, v6, v5, vcc_lo
	v_cmp_class_f32_e64 vcc_lo, v1, 0x1f8
	s_delay_alu instid0(VALU_DEP_2) | instskip(NEXT) | instid1(VALU_DEP_4)
	v_dual_mov_b32 v1, 0 :: v_dual_cndmask_b32 v6, -1, v5
	v_cndmask_b32_e32 v5, -1, v9, vcc_lo
	v_add_f32_e64 v9, s8, s8
	s_delay_alu instid0(VALU_DEP_2)
	v_cmpx_lt_i64_e32 -1, v[5:6]
	s_cbranch_execz .LBB25_13
; %bb.2:
	v_mov_b32_e32 v1, 1.0
	s_mov_b32 s11, exec_lo
	v_cmpx_lt_i64_e32 0, v[5:6]
	s_cbranch_execz .LBB25_12
; %bb.3:
                                        ; implicit-def: $vgpr1
	s_mov_b32 s8, exec_lo
	v_cmpx_ne_u64_e32 1, v[5:6]
	s_xor_b32 s12, exec_lo, s8
	s_cbranch_execz .LBB25_9
; %bb.4:
	v_mov_b32_e32 v1, 0x7fc00000
	s_mov_b32 s13, exec_lo
	v_cmpx_gt_u64_e32 0x81, v[5:6]
	s_cbranch_execz .LBB25_8
; %bb.5:
	v_lshlrev_b64 v[5:6], 1, v[5:6]
	v_dual_mov_b32 v10, 1.0 :: v_dual_mov_b32 v1, v9
	s_mov_b64 s[8:9], 2
	s_mov_b32 s14, 0
	.p2align	6
.LBB25_6:                               ; =>This Inner Loop Header: Depth=1
	s_clz_i32_u32 s15, s9
	s_delay_alu instid0(SALU_CYCLE_1) | instskip(NEXT) | instid1(SALU_CYCLE_1)
	s_min_u32 s15, s15, 32
	s_lshl_b64 s[16:17], s[8:9], s15
	s_sub_i32 s15, 32, s15
	s_min_u32 s16, s16, 1
	s_delay_alu instid0(SALU_CYCLE_1) | instskip(SKIP_3) | instid1(SALU_CYCLE_1)
	s_or_b32 s16, s17, s16
	s_add_u32 s8, s8, 2
	v_cvt_f32_u32_e32 v11, s16
	s_addc_u32 s9, s9, 0
	v_cmp_ge_u64_e32 vcc_lo, s[8:9], v[5:6]
	s_delay_alu instid0(VALU_DEP_2) | instskip(SKIP_1) | instid1(VALU_DEP_1)
	v_ldexp_f32 v11, v11, s15
	s_or_b32 s14, vcc_lo, s14
	v_dual_mul_f32 v11, v10, v11 :: v_dual_mov_b32 v10, v1
	s_delay_alu instid0(VALU_DEP_1)
	v_fma_f32 v1, v9, v1, -v11
	s_and_not1_b32 exec_lo, exec_lo, s14
	s_cbranch_execnz .LBB25_6
; %bb.7:
	s_or_b32 exec_lo, exec_lo, s14
.LBB25_8:
	s_delay_alu instid0(SALU_CYCLE_1)
	s_or_b32 exec_lo, exec_lo, s13
.LBB25_9:
	s_and_not1_saveexec_b32 s8, s12
; %bb.10:
	v_mov_b32_e32 v1, v9
; %bb.11:
	s_or_b32 exec_lo, exec_lo, s8
.LBB25_12:
	s_delay_alu instid0(SALU_CYCLE_1)
	s_or_b32 exec_lo, exec_lo, s11
.LBB25_13:
	s_delay_alu instid0(SALU_CYCLE_1) | instskip(SKIP_2) | instid1(VALU_DEP_1)
	s_or_b32 exec_lo, exec_lo, s3
	v_trunc_f32_e32 v5, v2
	s_mov_b32 s3, exec_lo
	v_mul_f32_e64 v6, 0x2f800000, |v5|
	s_delay_alu instid0(VALU_DEP_1) | instskip(NEXT) | instid1(VALU_DEP_1)
	v_floor_f32_e32 v6, v6
	v_fma_f32 v10, 0xcf800000, v6, |v5|
	v_ashrrev_i32_e32 v5, 31, v5
	v_cvt_u32_f32_e32 v6, v6
	s_delay_alu instid0(VALU_DEP_3) | instskip(NEXT) | instid1(VALU_DEP_2)
	v_cvt_u32_f32_e32 v10, v10
	v_xor_b32_e32 v6, v6, v5
	s_delay_alu instid0(VALU_DEP_2) | instskip(NEXT) | instid1(VALU_DEP_1)
	v_xor_b32_e32 v10, v10, v5
	v_sub_co_u32 v10, vcc_lo, v10, v5
	s_delay_alu instid0(VALU_DEP_3) | instskip(SKIP_2) | instid1(VALU_DEP_3)
	v_sub_co_ci_u32_e32 v5, vcc_lo, v6, v5, vcc_lo
	v_cmp_class_f32_e64 vcc_lo, v2, 0x1f8
	v_mov_b32_e32 v2, 0
	v_dual_cndmask_b32 v6, -1, v5 :: v_dual_cndmask_b32 v5, -1, v10
	s_delay_alu instid0(VALU_DEP_1)
	v_cmpx_lt_i64_e32 -1, v[5:6]
	s_cbranch_execz .LBB25_25
; %bb.14:
	v_mov_b32_e32 v2, 1.0
	s_mov_b32 s11, exec_lo
	v_cmpx_lt_i64_e32 0, v[5:6]
	s_cbranch_execz .LBB25_24
; %bb.15:
	s_mov_b32 s8, exec_lo
	v_cmpx_ne_u64_e32 1, v[5:6]
	s_xor_b32 s12, exec_lo, s8
	s_cbranch_execz .LBB25_21
; %bb.16:
	v_mov_b32_e32 v2, 0x7fc00000
	s_mov_b32 s13, exec_lo
	v_cmpx_gt_u64_e32 0x81, v[5:6]
	s_cbranch_execz .LBB25_20
; %bb.17:
	v_lshlrev_b64 v[5:6], 1, v[5:6]
	v_mov_b32_e32 v10, 1.0
	v_mov_b32_e32 v2, v9
	s_mov_b64 s[8:9], 2
	s_mov_b32 s14, 0
	.p2align	6
.LBB25_18:                              ; =>This Inner Loop Header: Depth=1
	s_clz_i32_u32 s15, s9
	s_delay_alu instid0(SALU_CYCLE_1) | instskip(NEXT) | instid1(SALU_CYCLE_1)
	s_min_u32 s15, s15, 32
	s_lshl_b64 s[16:17], s[8:9], s15
	s_sub_i32 s15, 32, s15
	s_min_u32 s16, s16, 1
	s_delay_alu instid0(SALU_CYCLE_1) | instskip(SKIP_3) | instid1(SALU_CYCLE_1)
	s_or_b32 s16, s17, s16
	s_add_u32 s8, s8, 2
	v_cvt_f32_u32_e32 v11, s16
	s_addc_u32 s9, s9, 0
	v_cmp_ge_u64_e32 vcc_lo, s[8:9], v[5:6]
	s_delay_alu instid0(VALU_DEP_2) | instskip(SKIP_1) | instid1(VALU_DEP_1)
	v_ldexp_f32 v11, v11, s15
	s_or_b32 s14, vcc_lo, s14
	v_mul_f32_e32 v11, v10, v11
	v_mov_b32_e32 v10, v2
	s_delay_alu instid0(VALU_DEP_2)
	v_fma_f32 v2, v9, v2, -v11
	s_and_not1_b32 exec_lo, exec_lo, s14
	s_cbranch_execnz .LBB25_18
; %bb.19:
	s_or_b32 exec_lo, exec_lo, s14
.LBB25_20:
	s_delay_alu instid0(SALU_CYCLE_1)
	s_or_b32 exec_lo, exec_lo, s13
.LBB25_21:
	s_and_not1_saveexec_b32 s8, s12
; %bb.22:
	v_mov_b32_e32 v2, v9
; %bb.23:
	s_or_b32 exec_lo, exec_lo, s8
.LBB25_24:
	s_delay_alu instid0(SALU_CYCLE_1)
	s_or_b32 exec_lo, exec_lo, s11
.LBB25_25:
	s_delay_alu instid0(SALU_CYCLE_1) | instskip(SKIP_2) | instid1(VALU_DEP_1)
	s_or_b32 exec_lo, exec_lo, s3
	v_trunc_f32_e32 v5, v3
	s_mov_b32 s3, exec_lo
	v_mul_f32_e64 v6, 0x2f800000, |v5|
	s_delay_alu instid0(VALU_DEP_1) | instskip(NEXT) | instid1(VALU_DEP_1)
	v_floor_f32_e32 v6, v6
	v_fma_f32 v10, 0xcf800000, v6, |v5|
	v_ashrrev_i32_e32 v5, 31, v5
	v_cvt_u32_f32_e32 v6, v6
	s_delay_alu instid0(VALU_DEP_3) | instskip(NEXT) | instid1(VALU_DEP_2)
	v_cvt_u32_f32_e32 v10, v10
	v_xor_b32_e32 v6, v6, v5
	s_delay_alu instid0(VALU_DEP_2) | instskip(NEXT) | instid1(VALU_DEP_1)
	v_xor_b32_e32 v10, v10, v5
	v_sub_co_u32 v10, vcc_lo, v10, v5
	s_delay_alu instid0(VALU_DEP_3) | instskip(SKIP_1) | instid1(VALU_DEP_2)
	v_sub_co_ci_u32_e32 v5, vcc_lo, v6, v5, vcc_lo
	v_cmp_class_f32_e64 vcc_lo, v3, 0x1f8
	v_dual_mov_b32 v3, 0 :: v_dual_cndmask_b32 v6, -1, v5
	s_delay_alu instid0(VALU_DEP_4) | instskip(NEXT) | instid1(VALU_DEP_1)
	v_cndmask_b32_e32 v5, -1, v10, vcc_lo
	v_cmpx_lt_i64_e32 -1, v[5:6]
	s_cbranch_execz .LBB25_37
; %bb.26:
	v_mov_b32_e32 v3, 1.0
	s_mov_b32 s11, exec_lo
	v_cmpx_lt_i64_e32 0, v[5:6]
	s_cbranch_execz .LBB25_36
; %bb.27:
	s_mov_b32 s8, exec_lo
	v_cmpx_ne_u64_e32 1, v[5:6]
	s_xor_b32 s12, exec_lo, s8
	s_cbranch_execz .LBB25_33
; %bb.28:
	v_mov_b32_e32 v3, 0x7fc00000
	s_mov_b32 s13, exec_lo
	v_cmpx_gt_u64_e32 0x81, v[5:6]
	s_cbranch_execz .LBB25_32
; %bb.29:
	v_lshlrev_b64 v[5:6], 1, v[5:6]
	v_dual_mov_b32 v10, 1.0 :: v_dual_mov_b32 v3, v9
	s_mov_b64 s[8:9], 2
	s_mov_b32 s14, 0
	.p2align	6
.LBB25_30:                              ; =>This Inner Loop Header: Depth=1
	s_clz_i32_u32 s15, s9
	s_delay_alu instid0(SALU_CYCLE_1) | instskip(NEXT) | instid1(SALU_CYCLE_1)
	s_min_u32 s15, s15, 32
	s_lshl_b64 s[16:17], s[8:9], s15
	s_sub_i32 s15, 32, s15
	s_min_u32 s16, s16, 1
	s_delay_alu instid0(SALU_CYCLE_1) | instskip(SKIP_3) | instid1(SALU_CYCLE_1)
	s_or_b32 s16, s17, s16
	s_add_u32 s8, s8, 2
	v_cvt_f32_u32_e32 v11, s16
	s_addc_u32 s9, s9, 0
	v_cmp_ge_u64_e32 vcc_lo, s[8:9], v[5:6]
	s_delay_alu instid0(VALU_DEP_2) | instskip(SKIP_1) | instid1(VALU_DEP_1)
	v_ldexp_f32 v11, v11, s15
	s_or_b32 s14, vcc_lo, s14
	v_dual_mul_f32 v11, v10, v11 :: v_dual_mov_b32 v10, v3
	s_delay_alu instid0(VALU_DEP_1)
	v_fma_f32 v3, v9, v3, -v11
	s_and_not1_b32 exec_lo, exec_lo, s14
	s_cbranch_execnz .LBB25_30
; %bb.31:
	s_or_b32 exec_lo, exec_lo, s14
.LBB25_32:
	s_delay_alu instid0(SALU_CYCLE_1)
	s_or_b32 exec_lo, exec_lo, s13
.LBB25_33:
	s_and_not1_saveexec_b32 s8, s12
; %bb.34:
	v_mov_b32_e32 v3, v9
; %bb.35:
	s_or_b32 exec_lo, exec_lo, s8
.LBB25_36:
	s_delay_alu instid0(SALU_CYCLE_1)
	s_or_b32 exec_lo, exec_lo, s11
.LBB25_37:
	s_delay_alu instid0(SALU_CYCLE_1) | instskip(SKIP_2) | instid1(VALU_DEP_1)
	s_or_b32 exec_lo, exec_lo, s3
	v_trunc_f32_e32 v5, v4
	s_mov_b32 s3, exec_lo
	v_mul_f32_e64 v6, 0x2f800000, |v5|
	s_delay_alu instid0(VALU_DEP_1) | instskip(NEXT) | instid1(VALU_DEP_1)
	v_floor_f32_e32 v6, v6
	v_fma_f32 v10, 0xcf800000, v6, |v5|
	v_ashrrev_i32_e32 v5, 31, v5
	v_cvt_u32_f32_e32 v6, v6
	s_delay_alu instid0(VALU_DEP_3) | instskip(NEXT) | instid1(VALU_DEP_2)
	v_cvt_u32_f32_e32 v10, v10
	v_xor_b32_e32 v6, v6, v5
	s_delay_alu instid0(VALU_DEP_2) | instskip(NEXT) | instid1(VALU_DEP_1)
	v_xor_b32_e32 v10, v10, v5
	v_sub_co_u32 v10, vcc_lo, v10, v5
	s_delay_alu instid0(VALU_DEP_3) | instskip(SKIP_2) | instid1(VALU_DEP_3)
	v_sub_co_ci_u32_e32 v5, vcc_lo, v6, v5, vcc_lo
	v_cmp_class_f32_e64 vcc_lo, v4, 0x1f8
	v_mov_b32_e32 v4, 0
	v_dual_cndmask_b32 v6, -1, v5 :: v_dual_cndmask_b32 v5, -1, v10
	s_delay_alu instid0(VALU_DEP_1)
	v_cmpx_lt_i64_e32 -1, v[5:6]
	s_cbranch_execz .LBB25_49
; %bb.38:
	v_mov_b32_e32 v4, 1.0
	s_mov_b32 s11, exec_lo
	v_cmpx_lt_i64_e32 0, v[5:6]
	s_cbranch_execz .LBB25_48
; %bb.39:
	s_mov_b32 s8, exec_lo
	v_cmpx_ne_u64_e32 1, v[5:6]
	s_xor_b32 s12, exec_lo, s8
	s_cbranch_execz .LBB25_45
; %bb.40:
	v_mov_b32_e32 v4, 0x7fc00000
	s_mov_b32 s13, exec_lo
	v_cmpx_gt_u64_e32 0x81, v[5:6]
	s_cbranch_execz .LBB25_44
; %bb.41:
	v_lshlrev_b64 v[5:6], 1, v[5:6]
	v_mov_b32_e32 v10, 1.0
	v_mov_b32_e32 v4, v9
	s_mov_b64 s[8:9], 2
	s_mov_b32 s14, 0
	.p2align	6
.LBB25_42:                              ; =>This Inner Loop Header: Depth=1
	s_clz_i32_u32 s15, s9
	s_delay_alu instid0(SALU_CYCLE_1) | instskip(NEXT) | instid1(SALU_CYCLE_1)
	s_min_u32 s15, s15, 32
	s_lshl_b64 s[16:17], s[8:9], s15
	s_sub_i32 s15, 32, s15
	s_min_u32 s16, s16, 1
	s_delay_alu instid0(SALU_CYCLE_1) | instskip(SKIP_3) | instid1(SALU_CYCLE_1)
	s_or_b32 s16, s17, s16
	s_add_u32 s8, s8, 2
	v_cvt_f32_u32_e32 v11, s16
	s_addc_u32 s9, s9, 0
	v_cmp_ge_u64_e32 vcc_lo, s[8:9], v[5:6]
	s_delay_alu instid0(VALU_DEP_2) | instskip(SKIP_1) | instid1(VALU_DEP_1)
	v_ldexp_f32 v11, v11, s15
	s_or_b32 s14, vcc_lo, s14
	v_dual_mul_f32 v11, v10, v11 :: v_dual_mov_b32 v10, v4
	s_delay_alu instid0(VALU_DEP_1)
	v_fma_f32 v4, v9, v4, -v11
	s_and_not1_b32 exec_lo, exec_lo, s14
	s_cbranch_execnz .LBB25_42
; %bb.43:
	s_or_b32 exec_lo, exec_lo, s14
.LBB25_44:
	s_delay_alu instid0(SALU_CYCLE_1)
	s_or_b32 exec_lo, exec_lo, s13
                                        ; implicit-def: $vgpr9
.LBB25_45:
	s_and_not1_saveexec_b32 s8, s12
; %bb.46:
	v_mov_b32_e32 v4, v9
; %bb.47:
	s_or_b32 exec_lo, exec_lo, s8
.LBB25_48:
	s_delay_alu instid0(SALU_CYCLE_1)
	s_or_b32 exec_lo, exec_lo, s11
.LBB25_49:
	s_delay_alu instid0(SALU_CYCLE_1)
	s_or_b32 exec_lo, exec_lo, s3
	s_add_u32 s8, s4, s0
	s_addc_u32 s9, s5, s1
	s_mov_b32 s0, 0
	global_store_b128 v7, v[1:4], s[8:9]
.LBB25_50:
	s_and_b32 vcc_lo, exec_lo, s0
	s_cbranch_vccz .LBB25_107
; %bb.51:
	v_cmp_gt_i32_e32 vcc_lo, s10, v0
	v_dual_mov_b32 v7, 0 :: v_dual_mov_b32 v6, 0
	v_or_b32_e32 v5, s2, v0
	v_or_b32_e32 v9, 0x100, v0
	v_mov_b32_e32 v1, v0
	s_and_saveexec_b32 s1, vcc_lo
	s_cbranch_execz .LBB25_53
; %bb.52:
	v_mov_b32_e32 v6, 0
	s_delay_alu instid0(VALU_DEP_1) | instskip(NEXT) | instid1(VALU_DEP_1)
	v_lshlrev_b64 v[1:2], 2, v[5:6]
	v_add_co_u32 v1, s0, s6, v1
	s_delay_alu instid0(VALU_DEP_1)
	v_add_co_ci_u32_e64 v2, s0, s7, v2, s0
	global_load_b32 v6, v[1:2], off
	v_or_b32_e32 v1, 0x100, v0
.LBB25_53:
	s_or_b32 exec_lo, exec_lo, s1
	s_delay_alu instid0(SALU_CYCLE_1) | instskip(NEXT) | instid1(VALU_DEP_1)
	s_mov_b32 s1, exec_lo
	v_cmpx_gt_i32_e64 s10, v1
	s_cbranch_execz .LBB25_55
; %bb.54:
	v_dual_mov_b32 v3, 0 :: v_dual_add_nc_u32 v2, s2, v1
	v_add_nc_u32_e32 v1, 0x100, v1
	s_delay_alu instid0(VALU_DEP_2) | instskip(NEXT) | instid1(VALU_DEP_1)
	v_lshlrev_b64 v[2:3], 2, v[2:3]
	v_add_co_u32 v2, s0, s6, v2
	s_delay_alu instid0(VALU_DEP_1)
	v_add_co_ci_u32_e64 v3, s0, s7, v3, s0
	global_load_b32 v7, v[2:3], off
.LBB25_55:
	s_or_b32 exec_lo, exec_lo, s1
	v_dual_mov_b32 v10, 0 :: v_dual_mov_b32 v11, 0
	s_mov_b32 s1, exec_lo
	v_cmpx_gt_i32_e64 s10, v1
	s_cbranch_execnz .LBB25_59
; %bb.56:
	s_or_b32 exec_lo, exec_lo, s1
	s_delay_alu instid0(SALU_CYCLE_1)
	s_mov_b32 s1, exec_lo
	v_cmpx_gt_i32_e64 s10, v1
	s_cbranch_execnz .LBB25_60
.LBB25_57:
	s_or_b32 exec_lo, exec_lo, s1
                                        ; implicit-def: $vgpr1_vgpr2_vgpr3_vgpr4
	s_and_saveexec_b32 s1, vcc_lo
	s_cbranch_execnz .LBB25_61
.LBB25_58:
	s_or_b32 exec_lo, exec_lo, s1
	s_delay_alu instid0(SALU_CYCLE_1)
	s_mov_b32 s1, exec_lo
	v_cmpx_gt_i32_e64 s10, v9
	s_cbranch_execnz .LBB25_74
	s_branch .LBB25_87
.LBB25_59:
	v_dual_mov_b32 v3, 0 :: v_dual_add_nc_u32 v2, s2, v1
	v_add_nc_u32_e32 v1, 0x100, v1
	s_delay_alu instid0(VALU_DEP_2) | instskip(NEXT) | instid1(VALU_DEP_1)
	v_lshlrev_b64 v[2:3], 2, v[2:3]
	v_add_co_u32 v2, s0, s6, v2
	s_delay_alu instid0(VALU_DEP_1) | instskip(SKIP_2) | instid1(SALU_CYCLE_1)
	v_add_co_ci_u32_e64 v3, s0, s7, v3, s0
	global_load_b32 v11, v[2:3], off
	s_or_b32 exec_lo, exec_lo, s1
	s_mov_b32 s1, exec_lo
	v_cmpx_gt_i32_e64 s10, v1
	s_cbranch_execz .LBB25_57
.LBB25_60:
	v_dual_mov_b32 v2, 0 :: v_dual_add_nc_u32 v1, s2, v1
	s_delay_alu instid0(VALU_DEP_1) | instskip(NEXT) | instid1(VALU_DEP_1)
	v_lshlrev_b64 v[1:2], 2, v[1:2]
	v_add_co_u32 v1, s0, s6, v1
	s_delay_alu instid0(VALU_DEP_1)
	v_add_co_ci_u32_e64 v2, s0, s7, v2, s0
	global_load_b32 v10, v[1:2], off
	s_or_b32 exec_lo, exec_lo, s1
                                        ; implicit-def: $vgpr1_vgpr2_vgpr3_vgpr4
	s_and_saveexec_b32 s1, vcc_lo
	s_cbranch_execz .LBB25_58
.LBB25_61:
	s_waitcnt vmcnt(0)
	v_trunc_f32_e32 v1, v6
	s_mov_b32 s3, exec_lo
	s_delay_alu instid0(VALU_DEP_1) | instskip(NEXT) | instid1(VALU_DEP_1)
	v_mul_f32_e64 v2, 0x2f800000, |v1|
	v_floor_f32_e32 v2, v2
	s_delay_alu instid0(VALU_DEP_1) | instskip(SKIP_2) | instid1(VALU_DEP_3)
	v_fma_f32 v3, 0xcf800000, v2, |v1|
	v_ashrrev_i32_e32 v1, 31, v1
	v_cvt_u32_f32_e32 v2, v2
	v_cvt_u32_f32_e32 v3, v3
	s_delay_alu instid0(VALU_DEP_2) | instskip(NEXT) | instid1(VALU_DEP_2)
	v_xor_b32_e32 v2, v2, v1
	v_xor_b32_e32 v3, v3, v1
	s_delay_alu instid0(VALU_DEP_1) | instskip(NEXT) | instid1(VALU_DEP_1)
	v_sub_co_u32 v4, s0, v3, v1
	v_sub_co_ci_u32_e64 v1, s0, v2, v1, s0
	v_cmp_class_f32_e64 s0, v6, 0x1f8
	s_delay_alu instid0(VALU_DEP_1) | instskip(NEXT) | instid1(VALU_DEP_4)
	v_cndmask_b32_e64 v3, -1, v1, s0
	v_cndmask_b32_e64 v2, -1, v4, s0
	v_mov_b32_e32 v1, 0
	s_delay_alu instid0(VALU_DEP_2)
	v_cmpx_lt_i64_e32 -1, v[2:3]
	s_cbranch_execz .LBB25_73
; %bb.62:
	v_mov_b32_e32 v1, 1.0
	s_mov_b32 s8, exec_lo
	v_cmpx_lt_i64_e32 0, v[2:3]
	s_cbranch_execz .LBB25_72
; %bb.63:
                                        ; implicit-def: $vgpr1
	s_mov_b32 s6, exec_lo
	v_cmpx_ne_u64_e32 1, v[2:3]
	s_xor_b32 s9, exec_lo, s6
	s_cbranch_execz .LBB25_69
; %bb.64:
	v_mov_b32_e32 v1, 0x7fc00000
	s_mov_b32 s11, exec_lo
	v_cmpx_gt_u64_e32 0x81, v[2:3]
	s_cbranch_execz .LBB25_68
; %bb.65:
	v_lshlrev_b64 v[2:3], 1, v[2:3]
	v_dual_mov_b32 v4, 1.0 :: v_dual_mov_b32 v1, v8
	s_mov_b64 s[6:7], 2
	s_mov_b32 s12, 0
	.p2align	6
.LBB25_66:                              ; =>This Inner Loop Header: Depth=1
	s_clz_i32_u32 s0, s7
	s_delay_alu instid0(SALU_CYCLE_1) | instskip(NEXT) | instid1(SALU_CYCLE_1)
	s_min_u32 s0, s0, 32
	s_lshl_b64 s[14:15], s[6:7], s0
	s_sub_i32 s0, 32, s0
	s_min_u32 s13, s14, 1
	s_delay_alu instid0(SALU_CYCLE_1) | instskip(SKIP_3) | instid1(VALU_DEP_1)
	s_or_b32 s13, s15, s13
	s_add_u32 s6, s6, 2
	v_cvt_f32_u32_e32 v6, s13
	s_addc_u32 s7, s7, 0
	v_ldexp_f32 v6, v6, s0
	v_cmp_ge_u64_e64 s0, s[6:7], v[2:3]
	s_delay_alu instid0(VALU_DEP_2) | instskip(SKIP_1) | instid1(VALU_DEP_3)
	v_mul_f32_e32 v6, v4, v6
	v_mov_b32_e32 v4, v1
	s_or_b32 s12, s0, s12
	s_delay_alu instid0(VALU_DEP_2)
	v_fma_f32 v1, v8, v1, -v6
	s_and_not1_b32 exec_lo, exec_lo, s12
	s_cbranch_execnz .LBB25_66
; %bb.67:
	s_or_b32 exec_lo, exec_lo, s12
.LBB25_68:
	s_delay_alu instid0(SALU_CYCLE_1)
	s_or_b32 exec_lo, exec_lo, s11
.LBB25_69:
	s_and_not1_saveexec_b32 s0, s9
; %bb.70:
	v_mov_b32_e32 v1, v8
; %bb.71:
	s_or_b32 exec_lo, exec_lo, s0
.LBB25_72:
	s_delay_alu instid0(SALU_CYCLE_1)
	s_or_b32 exec_lo, exec_lo, s8
.LBB25_73:
	s_delay_alu instid0(SALU_CYCLE_1) | instskip(NEXT) | instid1(SALU_CYCLE_1)
	s_or_b32 exec_lo, exec_lo, s3
	s_or_b32 exec_lo, exec_lo, s1
	s_delay_alu instid0(SALU_CYCLE_1)
	s_mov_b32 s1, exec_lo
	v_cmpx_gt_i32_e64 s10, v9
	s_cbranch_execz .LBB25_87
.LBB25_74:
	s_waitcnt vmcnt(0)
	v_trunc_f32_e32 v2, v7
	s_mov_b32 s3, exec_lo
	s_delay_alu instid0(VALU_DEP_1) | instskip(NEXT) | instid1(VALU_DEP_1)
	v_mul_f32_e64 v6, 0x2f800000, |v2|
	v_floor_f32_e32 v6, v6
	s_delay_alu instid0(VALU_DEP_1) | instskip(SKIP_2) | instid1(VALU_DEP_3)
	v_fma_f32 v12, 0xcf800000, v6, |v2|
	v_ashrrev_i32_e32 v2, 31, v2
	v_cvt_u32_f32_e32 v6, v6
	v_cvt_u32_f32_e32 v12, v12
	s_delay_alu instid0(VALU_DEP_2) | instskip(NEXT) | instid1(VALU_DEP_2)
	v_xor_b32_e32 v6, v6, v2
	v_xor_b32_e32 v12, v12, v2
	s_delay_alu instid0(VALU_DEP_1) | instskip(NEXT) | instid1(VALU_DEP_1)
	v_sub_co_u32 v12, s0, v12, v2
	v_sub_co_ci_u32_e64 v2, s0, v6, v2, s0
	v_cmp_class_f32_e64 s0, v7, 0x1f8
	s_delay_alu instid0(VALU_DEP_1) | instskip(NEXT) | instid1(VALU_DEP_4)
	v_cndmask_b32_e64 v7, -1, v2, s0
	v_cndmask_b32_e64 v6, -1, v12, s0
	v_mov_b32_e32 v2, 0
	s_delay_alu instid0(VALU_DEP_2)
	v_cmpx_lt_i64_e32 -1, v[6:7]
	s_cbranch_execz .LBB25_86
; %bb.75:
	v_mov_b32_e32 v2, 1.0
	s_mov_b32 s8, exec_lo
	v_cmpx_lt_i64_e32 0, v[6:7]
	s_cbranch_execz .LBB25_85
; %bb.76:
	s_mov_b32 s6, exec_lo
	v_cmpx_ne_u64_e32 1, v[6:7]
	s_xor_b32 s9, exec_lo, s6
	s_cbranch_execz .LBB25_82
; %bb.77:
	v_mov_b32_e32 v2, 0x7fc00000
	s_mov_b32 s11, exec_lo
	v_cmpx_gt_u64_e32 0x81, v[6:7]
	s_cbranch_execz .LBB25_81
; %bb.78:
	v_lshlrev_b64 v[6:7], 1, v[6:7]
	v_mov_b32_e32 v12, 1.0
	v_mov_b32_e32 v2, v8
	s_mov_b64 s[6:7], 2
	s_mov_b32 s12, 0
	.p2align	6
.LBB25_79:                              ; =>This Inner Loop Header: Depth=1
	s_clz_i32_u32 s0, s7
	s_delay_alu instid0(SALU_CYCLE_1) | instskip(NEXT) | instid1(SALU_CYCLE_1)
	s_min_u32 s0, s0, 32
	s_lshl_b64 s[14:15], s[6:7], s0
	s_sub_i32 s0, 32, s0
	s_min_u32 s13, s14, 1
	s_delay_alu instid0(SALU_CYCLE_1) | instskip(SKIP_3) | instid1(VALU_DEP_1)
	s_or_b32 s13, s15, s13
	s_add_u32 s6, s6, 2
	v_cvt_f32_u32_e32 v13, s13
	s_addc_u32 s7, s7, 0
	v_ldexp_f32 v13, v13, s0
	v_cmp_ge_u64_e64 s0, s[6:7], v[6:7]
	s_delay_alu instid0(VALU_DEP_2) | instskip(NEXT) | instid1(VALU_DEP_2)
	v_dual_mul_f32 v13, v12, v13 :: v_dual_mov_b32 v12, v2
	s_or_b32 s12, s0, s12
	s_delay_alu instid0(VALU_DEP_1)
	v_fma_f32 v2, v8, v2, -v13
	s_and_not1_b32 exec_lo, exec_lo, s12
	s_cbranch_execnz .LBB25_79
; %bb.80:
	s_or_b32 exec_lo, exec_lo, s12
.LBB25_81:
	s_delay_alu instid0(SALU_CYCLE_1)
	s_or_b32 exec_lo, exec_lo, s11
.LBB25_82:
	s_and_not1_saveexec_b32 s0, s9
; %bb.83:
	v_mov_b32_e32 v2, v8
; %bb.84:
	s_or_b32 exec_lo, exec_lo, s0
.LBB25_85:
	s_delay_alu instid0(SALU_CYCLE_1)
	s_or_b32 exec_lo, exec_lo, s8
.LBB25_86:
	s_delay_alu instid0(SALU_CYCLE_1)
	s_or_b32 exec_lo, exec_lo, s3
.LBB25_87:
	s_delay_alu instid0(SALU_CYCLE_1) | instskip(SKIP_3) | instid1(VALU_DEP_1)
	s_or_b32 exec_lo, exec_lo, s1
	s_waitcnt vmcnt(0)
	v_or_b32_e32 v6, 0x200, v0
	s_mov_b32 s1, exec_lo
	v_cmpx_gt_i32_e64 s10, v6
	s_cbranch_execz .LBB25_101
; %bb.88:
	v_trunc_f32_e32 v3, v11
	s_mov_b32 s3, exec_lo
	s_delay_alu instid0(VALU_DEP_1) | instskip(NEXT) | instid1(VALU_DEP_1)
	v_mul_f32_e64 v6, 0x2f800000, |v3|
	v_floor_f32_e32 v6, v6
	s_delay_alu instid0(VALU_DEP_1) | instskip(SKIP_2) | instid1(VALU_DEP_3)
	v_fma_f32 v7, 0xcf800000, v6, |v3|
	v_ashrrev_i32_e32 v3, 31, v3
	v_cvt_u32_f32_e32 v6, v6
	v_cvt_u32_f32_e32 v7, v7
	s_delay_alu instid0(VALU_DEP_2) | instskip(NEXT) | instid1(VALU_DEP_2)
	v_xor_b32_e32 v6, v6, v3
	v_xor_b32_e32 v7, v7, v3
	s_delay_alu instid0(VALU_DEP_1) | instskip(NEXT) | instid1(VALU_DEP_1)
	v_sub_co_u32 v12, s0, v7, v3
	v_sub_co_ci_u32_e64 v3, s0, v6, v3, s0
	v_cmp_class_f32_e64 s0, v11, 0x1f8
	s_delay_alu instid0(VALU_DEP_1) | instskip(NEXT) | instid1(VALU_DEP_4)
	v_cndmask_b32_e64 v7, -1, v3, s0
	v_cndmask_b32_e64 v6, -1, v12, s0
	v_mov_b32_e32 v3, 0
	s_delay_alu instid0(VALU_DEP_2)
	v_cmpx_lt_i64_e32 -1, v[6:7]
	s_cbranch_execz .LBB25_100
; %bb.89:
	v_mov_b32_e32 v3, 1.0
	s_mov_b32 s8, exec_lo
	v_cmpx_lt_i64_e32 0, v[6:7]
	s_cbranch_execz .LBB25_99
; %bb.90:
	s_mov_b32 s6, exec_lo
	v_cmpx_ne_u64_e32 1, v[6:7]
	s_xor_b32 s9, exec_lo, s6
	s_cbranch_execz .LBB25_96
; %bb.91:
	v_mov_b32_e32 v3, 0x7fc00000
	s_mov_b32 s11, exec_lo
	v_cmpx_gt_u64_e32 0x81, v[6:7]
	s_cbranch_execz .LBB25_95
; %bb.92:
	v_lshlrev_b64 v[6:7], 1, v[6:7]
	v_mov_b32_e32 v11, 1.0
	v_mov_b32_e32 v3, v8
	s_mov_b64 s[6:7], 2
	s_mov_b32 s12, 0
	.p2align	6
.LBB25_93:                              ; =>This Inner Loop Header: Depth=1
	s_clz_i32_u32 s0, s7
	s_delay_alu instid0(SALU_CYCLE_1) | instskip(NEXT) | instid1(SALU_CYCLE_1)
	s_min_u32 s0, s0, 32
	s_lshl_b64 s[14:15], s[6:7], s0
	s_sub_i32 s0, 32, s0
	s_min_u32 s13, s14, 1
	s_delay_alu instid0(SALU_CYCLE_1) | instskip(SKIP_3) | instid1(VALU_DEP_1)
	s_or_b32 s13, s15, s13
	s_add_u32 s6, s6, 2
	v_cvt_f32_u32_e32 v12, s13
	s_addc_u32 s7, s7, 0
	v_ldexp_f32 v12, v12, s0
	v_cmp_ge_u64_e64 s0, s[6:7], v[6:7]
	s_delay_alu instid0(VALU_DEP_2) | instskip(SKIP_1) | instid1(VALU_DEP_3)
	v_mul_f32_e32 v12, v11, v12
	v_mov_b32_e32 v11, v3
	s_or_b32 s12, s0, s12
	s_delay_alu instid0(VALU_DEP_2)
	v_fma_f32 v3, v8, v3, -v12
	s_and_not1_b32 exec_lo, exec_lo, s12
	s_cbranch_execnz .LBB25_93
; %bb.94:
	s_or_b32 exec_lo, exec_lo, s12
.LBB25_95:
	s_delay_alu instid0(SALU_CYCLE_1)
	s_or_b32 exec_lo, exec_lo, s11
.LBB25_96:
	s_and_not1_saveexec_b32 s0, s9
; %bb.97:
	v_mov_b32_e32 v3, v8
; %bb.98:
	s_or_b32 exec_lo, exec_lo, s0
.LBB25_99:
	s_delay_alu instid0(SALU_CYCLE_1)
	s_or_b32 exec_lo, exec_lo, s8
.LBB25_100:
	s_delay_alu instid0(SALU_CYCLE_1)
	s_or_b32 exec_lo, exec_lo, s3
.LBB25_101:
	s_delay_alu instid0(SALU_CYCLE_1) | instskip(SKIP_2) | instid1(VALU_DEP_1)
	s_or_b32 exec_lo, exec_lo, s1
	v_or_b32_e32 v6, 0x300, v0
	s_mov_b32 s1, exec_lo
	v_cmpx_gt_i32_e64 s10, v6
	s_cbranch_execnz .LBB25_108
; %bb.102:
	s_or_b32 exec_lo, exec_lo, s1
	s_and_saveexec_b32 s0, vcc_lo
	s_delay_alu instid0(SALU_CYCLE_1)
	s_xor_b32 s0, exec_lo, s0
	s_cbranch_execnz .LBB25_121
.LBB25_103:
	s_or_b32 exec_lo, exec_lo, s0
	s_delay_alu instid0(SALU_CYCLE_1)
	s_mov_b32 s0, exec_lo
	v_cmpx_gt_i32_e64 s10, v0
	s_cbranch_execnz .LBB25_122
.LBB25_104:
	s_or_b32 exec_lo, exec_lo, s0
	s_delay_alu instid0(SALU_CYCLE_1)
	s_mov_b32 s0, exec_lo
	v_cmpx_gt_i32_e64 s10, v0
	s_cbranch_execnz .LBB25_123
.LBB25_105:
	s_or_b32 exec_lo, exec_lo, s0
	s_delay_alu instid0(SALU_CYCLE_1)
	s_mov_b32 s0, exec_lo
	v_cmpx_gt_i32_e64 s10, v0
	s_cbranch_execz .LBB25_107
.LBB25_106:
	v_dual_mov_b32 v1, 0 :: v_dual_add_nc_u32 v0, s2, v0
	s_delay_alu instid0(VALU_DEP_1) | instskip(NEXT) | instid1(VALU_DEP_1)
	v_lshlrev_b64 v[0:1], 2, v[0:1]
	v_add_co_u32 v0, vcc_lo, s4, v0
	s_delay_alu instid0(VALU_DEP_2)
	v_add_co_ci_u32_e32 v1, vcc_lo, s5, v1, vcc_lo
	global_store_b32 v[0:1], v4, off
.LBB25_107:
	s_nop 0
	s_sendmsg sendmsg(MSG_DEALLOC_VGPRS)
	s_endpgm
.LBB25_108:
	v_trunc_f32_e32 v4, v10
	s_mov_b32 s3, exec_lo
	s_delay_alu instid0(VALU_DEP_1) | instskip(NEXT) | instid1(VALU_DEP_1)
	v_mul_f32_e64 v6, 0x2f800000, |v4|
	v_floor_f32_e32 v6, v6
	s_delay_alu instid0(VALU_DEP_1) | instskip(SKIP_2) | instid1(VALU_DEP_3)
	v_fma_f32 v7, 0xcf800000, v6, |v4|
	v_ashrrev_i32_e32 v4, 31, v4
	v_cvt_u32_f32_e32 v6, v6
	v_cvt_u32_f32_e32 v7, v7
	s_delay_alu instid0(VALU_DEP_2) | instskip(NEXT) | instid1(VALU_DEP_2)
	v_xor_b32_e32 v6, v6, v4
	v_xor_b32_e32 v7, v7, v4
	s_delay_alu instid0(VALU_DEP_1) | instskip(NEXT) | instid1(VALU_DEP_1)
	v_sub_co_u32 v11, s0, v7, v4
	v_sub_co_ci_u32_e64 v4, s0, v6, v4, s0
	v_cmp_class_f32_e64 s0, v10, 0x1f8
	s_delay_alu instid0(VALU_DEP_1) | instskip(NEXT) | instid1(VALU_DEP_4)
	v_cndmask_b32_e64 v7, -1, v4, s0
	v_cndmask_b32_e64 v6, -1, v11, s0
	v_mov_b32_e32 v4, 0
	s_delay_alu instid0(VALU_DEP_2)
	v_cmpx_lt_i64_e32 -1, v[6:7]
	s_cbranch_execz .LBB25_120
; %bb.109:
	v_mov_b32_e32 v4, 1.0
	s_mov_b32 s8, exec_lo
	v_cmpx_lt_i64_e32 0, v[6:7]
	s_cbranch_execz .LBB25_119
; %bb.110:
	s_mov_b32 s6, exec_lo
	v_cmpx_ne_u64_e32 1, v[6:7]
	s_xor_b32 s9, exec_lo, s6
	s_cbranch_execz .LBB25_116
; %bb.111:
	v_mov_b32_e32 v4, 0x7fc00000
	s_mov_b32 s11, exec_lo
	v_cmpx_gt_u64_e32 0x81, v[6:7]
	s_cbranch_execz .LBB25_115
; %bb.112:
	v_lshlrev_b64 v[6:7], 1, v[6:7]
	v_mov_b32_e32 v10, 1.0
	v_mov_b32_e32 v4, v8
	s_mov_b64 s[6:7], 2
	s_mov_b32 s12, 0
	.p2align	6
.LBB25_113:                             ; =>This Inner Loop Header: Depth=1
	s_clz_i32_u32 s0, s7
	s_delay_alu instid0(SALU_CYCLE_1) | instskip(NEXT) | instid1(SALU_CYCLE_1)
	s_min_u32 s0, s0, 32
	s_lshl_b64 s[14:15], s[6:7], s0
	s_sub_i32 s0, 32, s0
	s_min_u32 s13, s14, 1
	s_delay_alu instid0(SALU_CYCLE_1) | instskip(SKIP_3) | instid1(VALU_DEP_1)
	s_or_b32 s13, s15, s13
	s_add_u32 s6, s6, 2
	v_cvt_f32_u32_e32 v11, s13
	s_addc_u32 s7, s7, 0
	v_ldexp_f32 v11, v11, s0
	v_cmp_ge_u64_e64 s0, s[6:7], v[6:7]
	s_delay_alu instid0(VALU_DEP_2) | instskip(NEXT) | instid1(VALU_DEP_2)
	v_dual_mul_f32 v11, v10, v11 :: v_dual_mov_b32 v10, v4
	s_or_b32 s12, s0, s12
	s_delay_alu instid0(VALU_DEP_1)
	v_fma_f32 v4, v8, v4, -v11
	s_and_not1_b32 exec_lo, exec_lo, s12
	s_cbranch_execnz .LBB25_113
; %bb.114:
	s_or_b32 exec_lo, exec_lo, s12
.LBB25_115:
	s_delay_alu instid0(SALU_CYCLE_1)
	s_or_b32 exec_lo, exec_lo, s11
                                        ; implicit-def: $vgpr8
.LBB25_116:
	s_and_not1_saveexec_b32 s0, s9
; %bb.117:
	v_mov_b32_e32 v4, v8
; %bb.118:
	s_or_b32 exec_lo, exec_lo, s0
.LBB25_119:
	s_delay_alu instid0(SALU_CYCLE_1)
	s_or_b32 exec_lo, exec_lo, s8
.LBB25_120:
	s_delay_alu instid0(SALU_CYCLE_1) | instskip(NEXT) | instid1(SALU_CYCLE_1)
	s_or_b32 exec_lo, exec_lo, s3
	s_or_b32 exec_lo, exec_lo, s1
	s_and_saveexec_b32 s0, vcc_lo
	s_delay_alu instid0(SALU_CYCLE_1)
	s_xor_b32 s0, exec_lo, s0
	s_cbranch_execz .LBB25_103
.LBB25_121:
	v_mov_b32_e32 v6, 0
	v_mov_b32_e32 v0, v9
	s_delay_alu instid0(VALU_DEP_2) | instskip(NEXT) | instid1(VALU_DEP_1)
	v_lshlrev_b64 v[5:6], 2, v[5:6]
	v_add_co_u32 v5, vcc_lo, s4, v5
	s_delay_alu instid0(VALU_DEP_2) | instskip(SKIP_2) | instid1(SALU_CYCLE_1)
	v_add_co_ci_u32_e32 v6, vcc_lo, s5, v6, vcc_lo
	global_store_b32 v[5:6], v1, off
	s_or_b32 exec_lo, exec_lo, s0
	s_mov_b32 s0, exec_lo
	v_cmpx_gt_i32_e64 s10, v0
	s_cbranch_execz .LBB25_104
.LBB25_122:
	v_dual_mov_b32 v6, 0 :: v_dual_add_nc_u32 v5, s2, v0
	v_add_nc_u32_e32 v0, 0x100, v0
	s_delay_alu instid0(VALU_DEP_2) | instskip(NEXT) | instid1(VALU_DEP_1)
	v_lshlrev_b64 v[5:6], 2, v[5:6]
	v_add_co_u32 v5, vcc_lo, s4, v5
	s_delay_alu instid0(VALU_DEP_2) | instskip(SKIP_2) | instid1(SALU_CYCLE_1)
	v_add_co_ci_u32_e32 v6, vcc_lo, s5, v6, vcc_lo
	global_store_b32 v[5:6], v2, off
	s_or_b32 exec_lo, exec_lo, s0
	s_mov_b32 s0, exec_lo
	v_cmpx_gt_i32_e64 s10, v0
	s_cbranch_execz .LBB25_105
.LBB25_123:
	v_dual_mov_b32 v2, 0 :: v_dual_add_nc_u32 v1, s2, v0
	v_add_nc_u32_e32 v0, 0x100, v0
	s_delay_alu instid0(VALU_DEP_2) | instskip(NEXT) | instid1(VALU_DEP_1)
	v_lshlrev_b64 v[1:2], 2, v[1:2]
	v_add_co_u32 v1, vcc_lo, s4, v1
	s_delay_alu instid0(VALU_DEP_2) | instskip(SKIP_2) | instid1(SALU_CYCLE_1)
	v_add_co_ci_u32_e32 v2, vcc_lo, s5, v2, vcc_lo
	global_store_b32 v[1:2], v3, off
	s_or_b32 exec_lo, exec_lo, s0
	s_mov_b32 s0, exec_lo
	v_cmpx_gt_i32_e64 s10, v0
	s_cbranch_execnz .LBB25_106
	s_branch .LBB25_107
	.section	.rodata,"a",@progbits
	.p2align	6, 0x0
	.amdhsa_kernel _ZN2at6native29vectorized_elementwise_kernelILi8ENS0_13AUnaryFunctorIfffZZZNS0_12_GLOBAL__N_132hermite_polynomial_h_kernel_cudaERNS_18TensorIteratorBaseEENKUlvE_clEvENKUlvE0_clEvEUlffE_EESt5arrayIPcLm2EEEEviT0_T1_
		.amdhsa_group_segment_fixed_size 0
		.amdhsa_private_segment_fixed_size 0
		.amdhsa_kernarg_size 32
		.amdhsa_user_sgpr_count 15
		.amdhsa_user_sgpr_dispatch_ptr 0
		.amdhsa_user_sgpr_queue_ptr 0
		.amdhsa_user_sgpr_kernarg_segment_ptr 1
		.amdhsa_user_sgpr_dispatch_id 0
		.amdhsa_user_sgpr_private_segment_size 0
		.amdhsa_wavefront_size32 1
		.amdhsa_uses_dynamic_stack 0
		.amdhsa_enable_private_segment 0
		.amdhsa_system_sgpr_workgroup_id_x 1
		.amdhsa_system_sgpr_workgroup_id_y 0
		.amdhsa_system_sgpr_workgroup_id_z 0
		.amdhsa_system_sgpr_workgroup_info 0
		.amdhsa_system_vgpr_workitem_id 0
		.amdhsa_next_free_vgpr 14
		.amdhsa_next_free_sgpr 18
		.amdhsa_reserve_vcc 1
		.amdhsa_float_round_mode_32 0
		.amdhsa_float_round_mode_16_64 0
		.amdhsa_float_denorm_mode_32 3
		.amdhsa_float_denorm_mode_16_64 3
		.amdhsa_dx10_clamp 1
		.amdhsa_ieee_mode 1
		.amdhsa_fp16_overflow 0
		.amdhsa_workgroup_processor_mode 1
		.amdhsa_memory_ordered 1
		.amdhsa_forward_progress 0
		.amdhsa_shared_vgpr_count 0
		.amdhsa_exception_fp_ieee_invalid_op 0
		.amdhsa_exception_fp_denorm_src 0
		.amdhsa_exception_fp_ieee_div_zero 0
		.amdhsa_exception_fp_ieee_overflow 0
		.amdhsa_exception_fp_ieee_underflow 0
		.amdhsa_exception_fp_ieee_inexact 0
		.amdhsa_exception_int_div_zero 0
	.end_amdhsa_kernel
	.section	.text._ZN2at6native29vectorized_elementwise_kernelILi8ENS0_13AUnaryFunctorIfffZZZNS0_12_GLOBAL__N_132hermite_polynomial_h_kernel_cudaERNS_18TensorIteratorBaseEENKUlvE_clEvENKUlvE0_clEvEUlffE_EESt5arrayIPcLm2EEEEviT0_T1_,"axG",@progbits,_ZN2at6native29vectorized_elementwise_kernelILi8ENS0_13AUnaryFunctorIfffZZZNS0_12_GLOBAL__N_132hermite_polynomial_h_kernel_cudaERNS_18TensorIteratorBaseEENKUlvE_clEvENKUlvE0_clEvEUlffE_EESt5arrayIPcLm2EEEEviT0_T1_,comdat
.Lfunc_end25:
	.size	_ZN2at6native29vectorized_elementwise_kernelILi8ENS0_13AUnaryFunctorIfffZZZNS0_12_GLOBAL__N_132hermite_polynomial_h_kernel_cudaERNS_18TensorIteratorBaseEENKUlvE_clEvENKUlvE0_clEvEUlffE_EESt5arrayIPcLm2EEEEviT0_T1_, .Lfunc_end25-_ZN2at6native29vectorized_elementwise_kernelILi8ENS0_13AUnaryFunctorIfffZZZNS0_12_GLOBAL__N_132hermite_polynomial_h_kernel_cudaERNS_18TensorIteratorBaseEENKUlvE_clEvENKUlvE0_clEvEUlffE_EESt5arrayIPcLm2EEEEviT0_T1_
                                        ; -- End function
	.section	.AMDGPU.csdata,"",@progbits
; Kernel info:
; codeLenInByte = 3744
; NumSgprs: 20
; NumVgprs: 14
; ScratchSize: 0
; MemoryBound: 0
; FloatMode: 240
; IeeeMode: 1
; LDSByteSize: 0 bytes/workgroup (compile time only)
; SGPRBlocks: 2
; VGPRBlocks: 1
; NumSGPRsForWavesPerEU: 20
; NumVGPRsForWavesPerEU: 14
; Occupancy: 16
; WaveLimiterHint : 0
; COMPUTE_PGM_RSRC2:SCRATCH_EN: 0
; COMPUTE_PGM_RSRC2:USER_SGPR: 15
; COMPUTE_PGM_RSRC2:TRAP_HANDLER: 0
; COMPUTE_PGM_RSRC2:TGID_X_EN: 1
; COMPUTE_PGM_RSRC2:TGID_Y_EN: 0
; COMPUTE_PGM_RSRC2:TGID_Z_EN: 0
; COMPUTE_PGM_RSRC2:TIDIG_COMP_CNT: 0
	.section	.text._ZN2at6native29vectorized_elementwise_kernelILi4ENS0_13AUnaryFunctorIfffZZZNS0_12_GLOBAL__N_132hermite_polynomial_h_kernel_cudaERNS_18TensorIteratorBaseEENKUlvE_clEvENKUlvE0_clEvEUlffE_EESt5arrayIPcLm2EEEEviT0_T1_,"axG",@progbits,_ZN2at6native29vectorized_elementwise_kernelILi4ENS0_13AUnaryFunctorIfffZZZNS0_12_GLOBAL__N_132hermite_polynomial_h_kernel_cudaERNS_18TensorIteratorBaseEENKUlvE_clEvENKUlvE0_clEvEUlffE_EESt5arrayIPcLm2EEEEviT0_T1_,comdat
	.globl	_ZN2at6native29vectorized_elementwise_kernelILi4ENS0_13AUnaryFunctorIfffZZZNS0_12_GLOBAL__N_132hermite_polynomial_h_kernel_cudaERNS_18TensorIteratorBaseEENKUlvE_clEvENKUlvE0_clEvEUlffE_EESt5arrayIPcLm2EEEEviT0_T1_ ; -- Begin function _ZN2at6native29vectorized_elementwise_kernelILi4ENS0_13AUnaryFunctorIfffZZZNS0_12_GLOBAL__N_132hermite_polynomial_h_kernel_cudaERNS_18TensorIteratorBaseEENKUlvE_clEvENKUlvE0_clEvEUlffE_EESt5arrayIPcLm2EEEEviT0_T1_
	.p2align	8
	.type	_ZN2at6native29vectorized_elementwise_kernelILi4ENS0_13AUnaryFunctorIfffZZZNS0_12_GLOBAL__N_132hermite_polynomial_h_kernel_cudaERNS_18TensorIteratorBaseEENKUlvE_clEvENKUlvE0_clEvEUlffE_EESt5arrayIPcLm2EEEEviT0_T1_,@function
_ZN2at6native29vectorized_elementwise_kernelILi4ENS0_13AUnaryFunctorIfffZZZNS0_12_GLOBAL__N_132hermite_polynomial_h_kernel_cudaERNS_18TensorIteratorBaseEENKUlvE_clEvENKUlvE0_clEvEUlffE_EESt5arrayIPcLm2EEEEviT0_T1_: ; @_ZN2at6native29vectorized_elementwise_kernelILi4ENS0_13AUnaryFunctorIfffZZZNS0_12_GLOBAL__N_132hermite_polynomial_h_kernel_cudaERNS_18TensorIteratorBaseEENKUlvE_clEvENKUlvE0_clEvEUlffE_EESt5arrayIPcLm2EEEEviT0_T1_
; %bb.0:
	s_clause 0x2
	s_load_b32 s3, s[0:1], 0x0
	s_load_b32 s8, s[0:1], 0x8
	s_load_b128 s[4:7], s[0:1], 0x10
	s_lshl_b32 s2, s15, 10
	s_mov_b32 s0, -1
	s_waitcnt lgkmcnt(0)
	s_sub_i32 s10, s3, s2
	v_add_f32_e64 v8, s8, s8
	s_cmpk_gt_i32 s10, 0x3ff
	s_cbranch_scc0 .LBB26_50
; %bb.1:
	s_ashr_i32 s3, s2, 31
	v_lshlrev_b32_e32 v7, 4, v0
	s_lshl_b64 s[0:1], s[2:3], 2
	s_mov_b32 s3, exec_lo
	s_add_u32 s12, s6, s0
	s_addc_u32 s13, s7, s1
	global_load_b128 v[1:4], v7, s[12:13]
	s_waitcnt vmcnt(0)
	v_trunc_f32_e32 v5, v1
	s_delay_alu instid0(VALU_DEP_1) | instskip(NEXT) | instid1(VALU_DEP_1)
	v_mul_f32_e64 v6, 0x2f800000, |v5|
	v_floor_f32_e32 v6, v6
	s_delay_alu instid0(VALU_DEP_1) | instskip(SKIP_2) | instid1(VALU_DEP_3)
	v_fma_f32 v9, 0xcf800000, v6, |v5|
	v_ashrrev_i32_e32 v5, 31, v5
	v_cvt_u32_f32_e32 v6, v6
	v_cvt_u32_f32_e32 v9, v9
	s_delay_alu instid0(VALU_DEP_2) | instskip(NEXT) | instid1(VALU_DEP_2)
	v_xor_b32_e32 v6, v6, v5
	v_xor_b32_e32 v9, v9, v5
	s_delay_alu instid0(VALU_DEP_1) | instskip(NEXT) | instid1(VALU_DEP_3)
	v_sub_co_u32 v9, vcc_lo, v9, v5
	v_sub_co_ci_u32_e32 v5, vcc_lo, v6, v5, vcc_lo
	v_cmp_class_f32_e64 vcc_lo, v1, 0x1f8
	s_delay_alu instid0(VALU_DEP_2) | instskip(NEXT) | instid1(VALU_DEP_4)
	v_dual_mov_b32 v1, 0 :: v_dual_cndmask_b32 v6, -1, v5
	v_cndmask_b32_e32 v5, -1, v9, vcc_lo
	v_add_f32_e64 v9, s8, s8
	s_delay_alu instid0(VALU_DEP_2)
	v_cmpx_lt_i64_e32 -1, v[5:6]
	s_cbranch_execz .LBB26_13
; %bb.2:
	v_mov_b32_e32 v1, 1.0
	s_mov_b32 s11, exec_lo
	v_cmpx_lt_i64_e32 0, v[5:6]
	s_cbranch_execz .LBB26_12
; %bb.3:
                                        ; implicit-def: $vgpr1
	s_mov_b32 s8, exec_lo
	v_cmpx_ne_u64_e32 1, v[5:6]
	s_xor_b32 s12, exec_lo, s8
	s_cbranch_execz .LBB26_9
; %bb.4:
	v_mov_b32_e32 v1, 0x7fc00000
	s_mov_b32 s13, exec_lo
	v_cmpx_gt_u64_e32 0x81, v[5:6]
	s_cbranch_execz .LBB26_8
; %bb.5:
	v_lshlrev_b64 v[5:6], 1, v[5:6]
	v_dual_mov_b32 v10, 1.0 :: v_dual_mov_b32 v1, v9
	s_mov_b64 s[8:9], 2
	s_mov_b32 s14, 0
	.p2align	6
.LBB26_6:                               ; =>This Inner Loop Header: Depth=1
	s_clz_i32_u32 s15, s9
	s_delay_alu instid0(SALU_CYCLE_1) | instskip(NEXT) | instid1(SALU_CYCLE_1)
	s_min_u32 s15, s15, 32
	s_lshl_b64 s[16:17], s[8:9], s15
	s_sub_i32 s15, 32, s15
	s_min_u32 s16, s16, 1
	s_delay_alu instid0(SALU_CYCLE_1) | instskip(SKIP_3) | instid1(SALU_CYCLE_1)
	s_or_b32 s16, s17, s16
	s_add_u32 s8, s8, 2
	v_cvt_f32_u32_e32 v11, s16
	s_addc_u32 s9, s9, 0
	v_cmp_ge_u64_e32 vcc_lo, s[8:9], v[5:6]
	s_delay_alu instid0(VALU_DEP_2) | instskip(SKIP_1) | instid1(VALU_DEP_1)
	v_ldexp_f32 v11, v11, s15
	s_or_b32 s14, vcc_lo, s14
	v_dual_mul_f32 v11, v10, v11 :: v_dual_mov_b32 v10, v1
	s_delay_alu instid0(VALU_DEP_1)
	v_fma_f32 v1, v9, v1, -v11
	s_and_not1_b32 exec_lo, exec_lo, s14
	s_cbranch_execnz .LBB26_6
; %bb.7:
	s_or_b32 exec_lo, exec_lo, s14
.LBB26_8:
	s_delay_alu instid0(SALU_CYCLE_1)
	s_or_b32 exec_lo, exec_lo, s13
.LBB26_9:
	s_and_not1_saveexec_b32 s8, s12
; %bb.10:
	v_mov_b32_e32 v1, v9
; %bb.11:
	s_or_b32 exec_lo, exec_lo, s8
.LBB26_12:
	s_delay_alu instid0(SALU_CYCLE_1)
	s_or_b32 exec_lo, exec_lo, s11
.LBB26_13:
	s_delay_alu instid0(SALU_CYCLE_1) | instskip(SKIP_2) | instid1(VALU_DEP_1)
	s_or_b32 exec_lo, exec_lo, s3
	v_trunc_f32_e32 v5, v2
	s_mov_b32 s3, exec_lo
	v_mul_f32_e64 v6, 0x2f800000, |v5|
	s_delay_alu instid0(VALU_DEP_1) | instskip(NEXT) | instid1(VALU_DEP_1)
	v_floor_f32_e32 v6, v6
	v_fma_f32 v10, 0xcf800000, v6, |v5|
	v_ashrrev_i32_e32 v5, 31, v5
	v_cvt_u32_f32_e32 v6, v6
	s_delay_alu instid0(VALU_DEP_3) | instskip(NEXT) | instid1(VALU_DEP_2)
	v_cvt_u32_f32_e32 v10, v10
	v_xor_b32_e32 v6, v6, v5
	s_delay_alu instid0(VALU_DEP_2) | instskip(NEXT) | instid1(VALU_DEP_1)
	v_xor_b32_e32 v10, v10, v5
	v_sub_co_u32 v10, vcc_lo, v10, v5
	s_delay_alu instid0(VALU_DEP_3) | instskip(SKIP_2) | instid1(VALU_DEP_3)
	v_sub_co_ci_u32_e32 v5, vcc_lo, v6, v5, vcc_lo
	v_cmp_class_f32_e64 vcc_lo, v2, 0x1f8
	v_mov_b32_e32 v2, 0
	v_dual_cndmask_b32 v6, -1, v5 :: v_dual_cndmask_b32 v5, -1, v10
	s_delay_alu instid0(VALU_DEP_1)
	v_cmpx_lt_i64_e32 -1, v[5:6]
	s_cbranch_execz .LBB26_25
; %bb.14:
	v_mov_b32_e32 v2, 1.0
	s_mov_b32 s11, exec_lo
	v_cmpx_lt_i64_e32 0, v[5:6]
	s_cbranch_execz .LBB26_24
; %bb.15:
	s_mov_b32 s8, exec_lo
	v_cmpx_ne_u64_e32 1, v[5:6]
	s_xor_b32 s12, exec_lo, s8
	s_cbranch_execz .LBB26_21
; %bb.16:
	v_mov_b32_e32 v2, 0x7fc00000
	s_mov_b32 s13, exec_lo
	v_cmpx_gt_u64_e32 0x81, v[5:6]
	s_cbranch_execz .LBB26_20
; %bb.17:
	v_lshlrev_b64 v[5:6], 1, v[5:6]
	v_mov_b32_e32 v10, 1.0
	v_mov_b32_e32 v2, v9
	s_mov_b64 s[8:9], 2
	s_mov_b32 s14, 0
	.p2align	6
.LBB26_18:                              ; =>This Inner Loop Header: Depth=1
	s_clz_i32_u32 s15, s9
	s_delay_alu instid0(SALU_CYCLE_1) | instskip(NEXT) | instid1(SALU_CYCLE_1)
	s_min_u32 s15, s15, 32
	s_lshl_b64 s[16:17], s[8:9], s15
	s_sub_i32 s15, 32, s15
	s_min_u32 s16, s16, 1
	s_delay_alu instid0(SALU_CYCLE_1) | instskip(SKIP_3) | instid1(SALU_CYCLE_1)
	s_or_b32 s16, s17, s16
	s_add_u32 s8, s8, 2
	v_cvt_f32_u32_e32 v11, s16
	s_addc_u32 s9, s9, 0
	v_cmp_ge_u64_e32 vcc_lo, s[8:9], v[5:6]
	s_delay_alu instid0(VALU_DEP_2) | instskip(SKIP_1) | instid1(VALU_DEP_1)
	v_ldexp_f32 v11, v11, s15
	s_or_b32 s14, vcc_lo, s14
	v_mul_f32_e32 v11, v10, v11
	v_mov_b32_e32 v10, v2
	s_delay_alu instid0(VALU_DEP_2)
	v_fma_f32 v2, v9, v2, -v11
	s_and_not1_b32 exec_lo, exec_lo, s14
	s_cbranch_execnz .LBB26_18
; %bb.19:
	s_or_b32 exec_lo, exec_lo, s14
.LBB26_20:
	s_delay_alu instid0(SALU_CYCLE_1)
	s_or_b32 exec_lo, exec_lo, s13
.LBB26_21:
	s_and_not1_saveexec_b32 s8, s12
; %bb.22:
	v_mov_b32_e32 v2, v9
; %bb.23:
	s_or_b32 exec_lo, exec_lo, s8
.LBB26_24:
	s_delay_alu instid0(SALU_CYCLE_1)
	s_or_b32 exec_lo, exec_lo, s11
.LBB26_25:
	s_delay_alu instid0(SALU_CYCLE_1) | instskip(SKIP_2) | instid1(VALU_DEP_1)
	s_or_b32 exec_lo, exec_lo, s3
	v_trunc_f32_e32 v5, v3
	s_mov_b32 s3, exec_lo
	v_mul_f32_e64 v6, 0x2f800000, |v5|
	s_delay_alu instid0(VALU_DEP_1) | instskip(NEXT) | instid1(VALU_DEP_1)
	v_floor_f32_e32 v6, v6
	v_fma_f32 v10, 0xcf800000, v6, |v5|
	v_ashrrev_i32_e32 v5, 31, v5
	v_cvt_u32_f32_e32 v6, v6
	s_delay_alu instid0(VALU_DEP_3) | instskip(NEXT) | instid1(VALU_DEP_2)
	v_cvt_u32_f32_e32 v10, v10
	v_xor_b32_e32 v6, v6, v5
	s_delay_alu instid0(VALU_DEP_2) | instskip(NEXT) | instid1(VALU_DEP_1)
	v_xor_b32_e32 v10, v10, v5
	v_sub_co_u32 v10, vcc_lo, v10, v5
	s_delay_alu instid0(VALU_DEP_3) | instskip(SKIP_1) | instid1(VALU_DEP_2)
	v_sub_co_ci_u32_e32 v5, vcc_lo, v6, v5, vcc_lo
	v_cmp_class_f32_e64 vcc_lo, v3, 0x1f8
	v_dual_mov_b32 v3, 0 :: v_dual_cndmask_b32 v6, -1, v5
	s_delay_alu instid0(VALU_DEP_4) | instskip(NEXT) | instid1(VALU_DEP_1)
	v_cndmask_b32_e32 v5, -1, v10, vcc_lo
	v_cmpx_lt_i64_e32 -1, v[5:6]
	s_cbranch_execz .LBB26_37
; %bb.26:
	v_mov_b32_e32 v3, 1.0
	s_mov_b32 s11, exec_lo
	v_cmpx_lt_i64_e32 0, v[5:6]
	s_cbranch_execz .LBB26_36
; %bb.27:
	s_mov_b32 s8, exec_lo
	v_cmpx_ne_u64_e32 1, v[5:6]
	s_xor_b32 s12, exec_lo, s8
	s_cbranch_execz .LBB26_33
; %bb.28:
	v_mov_b32_e32 v3, 0x7fc00000
	s_mov_b32 s13, exec_lo
	v_cmpx_gt_u64_e32 0x81, v[5:6]
	s_cbranch_execz .LBB26_32
; %bb.29:
	v_lshlrev_b64 v[5:6], 1, v[5:6]
	v_dual_mov_b32 v10, 1.0 :: v_dual_mov_b32 v3, v9
	s_mov_b64 s[8:9], 2
	s_mov_b32 s14, 0
	.p2align	6
.LBB26_30:                              ; =>This Inner Loop Header: Depth=1
	s_clz_i32_u32 s15, s9
	s_delay_alu instid0(SALU_CYCLE_1) | instskip(NEXT) | instid1(SALU_CYCLE_1)
	s_min_u32 s15, s15, 32
	s_lshl_b64 s[16:17], s[8:9], s15
	s_sub_i32 s15, 32, s15
	s_min_u32 s16, s16, 1
	s_delay_alu instid0(SALU_CYCLE_1) | instskip(SKIP_3) | instid1(SALU_CYCLE_1)
	s_or_b32 s16, s17, s16
	s_add_u32 s8, s8, 2
	v_cvt_f32_u32_e32 v11, s16
	s_addc_u32 s9, s9, 0
	v_cmp_ge_u64_e32 vcc_lo, s[8:9], v[5:6]
	s_delay_alu instid0(VALU_DEP_2) | instskip(SKIP_1) | instid1(VALU_DEP_1)
	v_ldexp_f32 v11, v11, s15
	s_or_b32 s14, vcc_lo, s14
	v_dual_mul_f32 v11, v10, v11 :: v_dual_mov_b32 v10, v3
	s_delay_alu instid0(VALU_DEP_1)
	v_fma_f32 v3, v9, v3, -v11
	s_and_not1_b32 exec_lo, exec_lo, s14
	s_cbranch_execnz .LBB26_30
; %bb.31:
	s_or_b32 exec_lo, exec_lo, s14
.LBB26_32:
	s_delay_alu instid0(SALU_CYCLE_1)
	s_or_b32 exec_lo, exec_lo, s13
.LBB26_33:
	s_and_not1_saveexec_b32 s8, s12
; %bb.34:
	v_mov_b32_e32 v3, v9
; %bb.35:
	s_or_b32 exec_lo, exec_lo, s8
.LBB26_36:
	s_delay_alu instid0(SALU_CYCLE_1)
	s_or_b32 exec_lo, exec_lo, s11
.LBB26_37:
	s_delay_alu instid0(SALU_CYCLE_1) | instskip(SKIP_2) | instid1(VALU_DEP_1)
	s_or_b32 exec_lo, exec_lo, s3
	v_trunc_f32_e32 v5, v4
	s_mov_b32 s3, exec_lo
	v_mul_f32_e64 v6, 0x2f800000, |v5|
	s_delay_alu instid0(VALU_DEP_1) | instskip(NEXT) | instid1(VALU_DEP_1)
	v_floor_f32_e32 v6, v6
	v_fma_f32 v10, 0xcf800000, v6, |v5|
	v_ashrrev_i32_e32 v5, 31, v5
	v_cvt_u32_f32_e32 v6, v6
	s_delay_alu instid0(VALU_DEP_3) | instskip(NEXT) | instid1(VALU_DEP_2)
	v_cvt_u32_f32_e32 v10, v10
	v_xor_b32_e32 v6, v6, v5
	s_delay_alu instid0(VALU_DEP_2) | instskip(NEXT) | instid1(VALU_DEP_1)
	v_xor_b32_e32 v10, v10, v5
	v_sub_co_u32 v10, vcc_lo, v10, v5
	s_delay_alu instid0(VALU_DEP_3) | instskip(SKIP_2) | instid1(VALU_DEP_3)
	v_sub_co_ci_u32_e32 v5, vcc_lo, v6, v5, vcc_lo
	v_cmp_class_f32_e64 vcc_lo, v4, 0x1f8
	v_mov_b32_e32 v4, 0
	v_dual_cndmask_b32 v6, -1, v5 :: v_dual_cndmask_b32 v5, -1, v10
	s_delay_alu instid0(VALU_DEP_1)
	v_cmpx_lt_i64_e32 -1, v[5:6]
	s_cbranch_execz .LBB26_49
; %bb.38:
	v_mov_b32_e32 v4, 1.0
	s_mov_b32 s11, exec_lo
	v_cmpx_lt_i64_e32 0, v[5:6]
	s_cbranch_execz .LBB26_48
; %bb.39:
	s_mov_b32 s8, exec_lo
	v_cmpx_ne_u64_e32 1, v[5:6]
	s_xor_b32 s12, exec_lo, s8
	s_cbranch_execz .LBB26_45
; %bb.40:
	v_mov_b32_e32 v4, 0x7fc00000
	s_mov_b32 s13, exec_lo
	v_cmpx_gt_u64_e32 0x81, v[5:6]
	s_cbranch_execz .LBB26_44
; %bb.41:
	v_lshlrev_b64 v[5:6], 1, v[5:6]
	v_mov_b32_e32 v10, 1.0
	v_mov_b32_e32 v4, v9
	s_mov_b64 s[8:9], 2
	s_mov_b32 s14, 0
	.p2align	6
.LBB26_42:                              ; =>This Inner Loop Header: Depth=1
	s_clz_i32_u32 s15, s9
	s_delay_alu instid0(SALU_CYCLE_1) | instskip(NEXT) | instid1(SALU_CYCLE_1)
	s_min_u32 s15, s15, 32
	s_lshl_b64 s[16:17], s[8:9], s15
	s_sub_i32 s15, 32, s15
	s_min_u32 s16, s16, 1
	s_delay_alu instid0(SALU_CYCLE_1) | instskip(SKIP_3) | instid1(SALU_CYCLE_1)
	s_or_b32 s16, s17, s16
	s_add_u32 s8, s8, 2
	v_cvt_f32_u32_e32 v11, s16
	s_addc_u32 s9, s9, 0
	v_cmp_ge_u64_e32 vcc_lo, s[8:9], v[5:6]
	s_delay_alu instid0(VALU_DEP_2) | instskip(SKIP_1) | instid1(VALU_DEP_1)
	v_ldexp_f32 v11, v11, s15
	s_or_b32 s14, vcc_lo, s14
	v_dual_mul_f32 v11, v10, v11 :: v_dual_mov_b32 v10, v4
	s_delay_alu instid0(VALU_DEP_1)
	v_fma_f32 v4, v9, v4, -v11
	s_and_not1_b32 exec_lo, exec_lo, s14
	s_cbranch_execnz .LBB26_42
; %bb.43:
	s_or_b32 exec_lo, exec_lo, s14
.LBB26_44:
	s_delay_alu instid0(SALU_CYCLE_1)
	s_or_b32 exec_lo, exec_lo, s13
                                        ; implicit-def: $vgpr9
.LBB26_45:
	s_and_not1_saveexec_b32 s8, s12
; %bb.46:
	v_mov_b32_e32 v4, v9
; %bb.47:
	s_or_b32 exec_lo, exec_lo, s8
.LBB26_48:
	s_delay_alu instid0(SALU_CYCLE_1)
	s_or_b32 exec_lo, exec_lo, s11
.LBB26_49:
	s_delay_alu instid0(SALU_CYCLE_1)
	s_or_b32 exec_lo, exec_lo, s3
	s_add_u32 s8, s4, s0
	s_addc_u32 s9, s5, s1
	s_mov_b32 s0, 0
	global_store_b128 v7, v[1:4], s[8:9]
.LBB26_50:
	s_and_b32 vcc_lo, exec_lo, s0
	s_cbranch_vccz .LBB26_107
; %bb.51:
	v_cmp_gt_i32_e32 vcc_lo, s10, v0
	v_dual_mov_b32 v7, 0 :: v_dual_mov_b32 v6, 0
	v_or_b32_e32 v5, s2, v0
	v_or_b32_e32 v9, 0x100, v0
	v_mov_b32_e32 v1, v0
	s_and_saveexec_b32 s1, vcc_lo
	s_cbranch_execz .LBB26_53
; %bb.52:
	v_mov_b32_e32 v6, 0
	s_delay_alu instid0(VALU_DEP_1) | instskip(NEXT) | instid1(VALU_DEP_1)
	v_lshlrev_b64 v[1:2], 2, v[5:6]
	v_add_co_u32 v1, s0, s6, v1
	s_delay_alu instid0(VALU_DEP_1)
	v_add_co_ci_u32_e64 v2, s0, s7, v2, s0
	global_load_b32 v6, v[1:2], off
	v_or_b32_e32 v1, 0x100, v0
.LBB26_53:
	s_or_b32 exec_lo, exec_lo, s1
	s_delay_alu instid0(SALU_CYCLE_1) | instskip(NEXT) | instid1(VALU_DEP_1)
	s_mov_b32 s1, exec_lo
	v_cmpx_gt_i32_e64 s10, v1
	s_cbranch_execz .LBB26_55
; %bb.54:
	v_dual_mov_b32 v3, 0 :: v_dual_add_nc_u32 v2, s2, v1
	v_add_nc_u32_e32 v1, 0x100, v1
	s_delay_alu instid0(VALU_DEP_2) | instskip(NEXT) | instid1(VALU_DEP_1)
	v_lshlrev_b64 v[2:3], 2, v[2:3]
	v_add_co_u32 v2, s0, s6, v2
	s_delay_alu instid0(VALU_DEP_1)
	v_add_co_ci_u32_e64 v3, s0, s7, v3, s0
	global_load_b32 v7, v[2:3], off
.LBB26_55:
	s_or_b32 exec_lo, exec_lo, s1
	v_dual_mov_b32 v10, 0 :: v_dual_mov_b32 v11, 0
	s_mov_b32 s1, exec_lo
	v_cmpx_gt_i32_e64 s10, v1
	s_cbranch_execnz .LBB26_59
; %bb.56:
	s_or_b32 exec_lo, exec_lo, s1
	s_delay_alu instid0(SALU_CYCLE_1)
	s_mov_b32 s1, exec_lo
	v_cmpx_gt_i32_e64 s10, v1
	s_cbranch_execnz .LBB26_60
.LBB26_57:
	s_or_b32 exec_lo, exec_lo, s1
                                        ; implicit-def: $vgpr1_vgpr2_vgpr3_vgpr4
	s_and_saveexec_b32 s1, vcc_lo
	s_cbranch_execnz .LBB26_61
.LBB26_58:
	s_or_b32 exec_lo, exec_lo, s1
	s_delay_alu instid0(SALU_CYCLE_1)
	s_mov_b32 s1, exec_lo
	v_cmpx_gt_i32_e64 s10, v9
	s_cbranch_execnz .LBB26_74
	s_branch .LBB26_87
.LBB26_59:
	v_dual_mov_b32 v3, 0 :: v_dual_add_nc_u32 v2, s2, v1
	v_add_nc_u32_e32 v1, 0x100, v1
	s_delay_alu instid0(VALU_DEP_2) | instskip(NEXT) | instid1(VALU_DEP_1)
	v_lshlrev_b64 v[2:3], 2, v[2:3]
	v_add_co_u32 v2, s0, s6, v2
	s_delay_alu instid0(VALU_DEP_1) | instskip(SKIP_2) | instid1(SALU_CYCLE_1)
	v_add_co_ci_u32_e64 v3, s0, s7, v3, s0
	global_load_b32 v11, v[2:3], off
	s_or_b32 exec_lo, exec_lo, s1
	s_mov_b32 s1, exec_lo
	v_cmpx_gt_i32_e64 s10, v1
	s_cbranch_execz .LBB26_57
.LBB26_60:
	v_dual_mov_b32 v2, 0 :: v_dual_add_nc_u32 v1, s2, v1
	s_delay_alu instid0(VALU_DEP_1) | instskip(NEXT) | instid1(VALU_DEP_1)
	v_lshlrev_b64 v[1:2], 2, v[1:2]
	v_add_co_u32 v1, s0, s6, v1
	s_delay_alu instid0(VALU_DEP_1)
	v_add_co_ci_u32_e64 v2, s0, s7, v2, s0
	global_load_b32 v10, v[1:2], off
	s_or_b32 exec_lo, exec_lo, s1
                                        ; implicit-def: $vgpr1_vgpr2_vgpr3_vgpr4
	s_and_saveexec_b32 s1, vcc_lo
	s_cbranch_execz .LBB26_58
.LBB26_61:
	s_waitcnt vmcnt(0)
	v_trunc_f32_e32 v1, v6
	s_mov_b32 s3, exec_lo
	s_delay_alu instid0(VALU_DEP_1) | instskip(NEXT) | instid1(VALU_DEP_1)
	v_mul_f32_e64 v2, 0x2f800000, |v1|
	v_floor_f32_e32 v2, v2
	s_delay_alu instid0(VALU_DEP_1) | instskip(SKIP_2) | instid1(VALU_DEP_3)
	v_fma_f32 v3, 0xcf800000, v2, |v1|
	v_ashrrev_i32_e32 v1, 31, v1
	v_cvt_u32_f32_e32 v2, v2
	v_cvt_u32_f32_e32 v3, v3
	s_delay_alu instid0(VALU_DEP_2) | instskip(NEXT) | instid1(VALU_DEP_2)
	v_xor_b32_e32 v2, v2, v1
	v_xor_b32_e32 v3, v3, v1
	s_delay_alu instid0(VALU_DEP_1) | instskip(NEXT) | instid1(VALU_DEP_1)
	v_sub_co_u32 v4, s0, v3, v1
	v_sub_co_ci_u32_e64 v1, s0, v2, v1, s0
	v_cmp_class_f32_e64 s0, v6, 0x1f8
	s_delay_alu instid0(VALU_DEP_1) | instskip(NEXT) | instid1(VALU_DEP_4)
	v_cndmask_b32_e64 v3, -1, v1, s0
	v_cndmask_b32_e64 v2, -1, v4, s0
	v_mov_b32_e32 v1, 0
	s_delay_alu instid0(VALU_DEP_2)
	v_cmpx_lt_i64_e32 -1, v[2:3]
	s_cbranch_execz .LBB26_73
; %bb.62:
	v_mov_b32_e32 v1, 1.0
	s_mov_b32 s8, exec_lo
	v_cmpx_lt_i64_e32 0, v[2:3]
	s_cbranch_execz .LBB26_72
; %bb.63:
                                        ; implicit-def: $vgpr1
	s_mov_b32 s6, exec_lo
	v_cmpx_ne_u64_e32 1, v[2:3]
	s_xor_b32 s9, exec_lo, s6
	s_cbranch_execz .LBB26_69
; %bb.64:
	v_mov_b32_e32 v1, 0x7fc00000
	s_mov_b32 s11, exec_lo
	v_cmpx_gt_u64_e32 0x81, v[2:3]
	s_cbranch_execz .LBB26_68
; %bb.65:
	v_lshlrev_b64 v[2:3], 1, v[2:3]
	v_dual_mov_b32 v4, 1.0 :: v_dual_mov_b32 v1, v8
	s_mov_b64 s[6:7], 2
	s_mov_b32 s12, 0
	.p2align	6
.LBB26_66:                              ; =>This Inner Loop Header: Depth=1
	s_clz_i32_u32 s0, s7
	s_delay_alu instid0(SALU_CYCLE_1) | instskip(NEXT) | instid1(SALU_CYCLE_1)
	s_min_u32 s0, s0, 32
	s_lshl_b64 s[14:15], s[6:7], s0
	s_sub_i32 s0, 32, s0
	s_min_u32 s13, s14, 1
	s_delay_alu instid0(SALU_CYCLE_1) | instskip(SKIP_3) | instid1(VALU_DEP_1)
	s_or_b32 s13, s15, s13
	s_add_u32 s6, s6, 2
	v_cvt_f32_u32_e32 v6, s13
	s_addc_u32 s7, s7, 0
	v_ldexp_f32 v6, v6, s0
	v_cmp_ge_u64_e64 s0, s[6:7], v[2:3]
	s_delay_alu instid0(VALU_DEP_2) | instskip(SKIP_1) | instid1(VALU_DEP_3)
	v_mul_f32_e32 v6, v4, v6
	v_mov_b32_e32 v4, v1
	s_or_b32 s12, s0, s12
	s_delay_alu instid0(VALU_DEP_2)
	v_fma_f32 v1, v8, v1, -v6
	s_and_not1_b32 exec_lo, exec_lo, s12
	s_cbranch_execnz .LBB26_66
; %bb.67:
	s_or_b32 exec_lo, exec_lo, s12
.LBB26_68:
	s_delay_alu instid0(SALU_CYCLE_1)
	s_or_b32 exec_lo, exec_lo, s11
.LBB26_69:
	s_and_not1_saveexec_b32 s0, s9
; %bb.70:
	v_mov_b32_e32 v1, v8
; %bb.71:
	s_or_b32 exec_lo, exec_lo, s0
.LBB26_72:
	s_delay_alu instid0(SALU_CYCLE_1)
	s_or_b32 exec_lo, exec_lo, s8
.LBB26_73:
	s_delay_alu instid0(SALU_CYCLE_1) | instskip(NEXT) | instid1(SALU_CYCLE_1)
	s_or_b32 exec_lo, exec_lo, s3
	s_or_b32 exec_lo, exec_lo, s1
	s_delay_alu instid0(SALU_CYCLE_1)
	s_mov_b32 s1, exec_lo
	v_cmpx_gt_i32_e64 s10, v9
	s_cbranch_execz .LBB26_87
.LBB26_74:
	s_waitcnt vmcnt(0)
	v_trunc_f32_e32 v2, v7
	s_mov_b32 s3, exec_lo
	s_delay_alu instid0(VALU_DEP_1) | instskip(NEXT) | instid1(VALU_DEP_1)
	v_mul_f32_e64 v6, 0x2f800000, |v2|
	v_floor_f32_e32 v6, v6
	s_delay_alu instid0(VALU_DEP_1) | instskip(SKIP_2) | instid1(VALU_DEP_3)
	v_fma_f32 v12, 0xcf800000, v6, |v2|
	v_ashrrev_i32_e32 v2, 31, v2
	v_cvt_u32_f32_e32 v6, v6
	v_cvt_u32_f32_e32 v12, v12
	s_delay_alu instid0(VALU_DEP_2) | instskip(NEXT) | instid1(VALU_DEP_2)
	v_xor_b32_e32 v6, v6, v2
	v_xor_b32_e32 v12, v12, v2
	s_delay_alu instid0(VALU_DEP_1) | instskip(NEXT) | instid1(VALU_DEP_1)
	v_sub_co_u32 v12, s0, v12, v2
	v_sub_co_ci_u32_e64 v2, s0, v6, v2, s0
	v_cmp_class_f32_e64 s0, v7, 0x1f8
	s_delay_alu instid0(VALU_DEP_1) | instskip(NEXT) | instid1(VALU_DEP_4)
	v_cndmask_b32_e64 v7, -1, v2, s0
	v_cndmask_b32_e64 v6, -1, v12, s0
	v_mov_b32_e32 v2, 0
	s_delay_alu instid0(VALU_DEP_2)
	v_cmpx_lt_i64_e32 -1, v[6:7]
	s_cbranch_execz .LBB26_86
; %bb.75:
	v_mov_b32_e32 v2, 1.0
	s_mov_b32 s8, exec_lo
	v_cmpx_lt_i64_e32 0, v[6:7]
	s_cbranch_execz .LBB26_85
; %bb.76:
	s_mov_b32 s6, exec_lo
	v_cmpx_ne_u64_e32 1, v[6:7]
	s_xor_b32 s9, exec_lo, s6
	s_cbranch_execz .LBB26_82
; %bb.77:
	v_mov_b32_e32 v2, 0x7fc00000
	s_mov_b32 s11, exec_lo
	v_cmpx_gt_u64_e32 0x81, v[6:7]
	s_cbranch_execz .LBB26_81
; %bb.78:
	v_lshlrev_b64 v[6:7], 1, v[6:7]
	v_mov_b32_e32 v12, 1.0
	v_mov_b32_e32 v2, v8
	s_mov_b64 s[6:7], 2
	s_mov_b32 s12, 0
	.p2align	6
.LBB26_79:                              ; =>This Inner Loop Header: Depth=1
	s_clz_i32_u32 s0, s7
	s_delay_alu instid0(SALU_CYCLE_1) | instskip(NEXT) | instid1(SALU_CYCLE_1)
	s_min_u32 s0, s0, 32
	s_lshl_b64 s[14:15], s[6:7], s0
	s_sub_i32 s0, 32, s0
	s_min_u32 s13, s14, 1
	s_delay_alu instid0(SALU_CYCLE_1) | instskip(SKIP_3) | instid1(VALU_DEP_1)
	s_or_b32 s13, s15, s13
	s_add_u32 s6, s6, 2
	v_cvt_f32_u32_e32 v13, s13
	s_addc_u32 s7, s7, 0
	v_ldexp_f32 v13, v13, s0
	v_cmp_ge_u64_e64 s0, s[6:7], v[6:7]
	s_delay_alu instid0(VALU_DEP_2) | instskip(NEXT) | instid1(VALU_DEP_2)
	v_dual_mul_f32 v13, v12, v13 :: v_dual_mov_b32 v12, v2
	s_or_b32 s12, s0, s12
	s_delay_alu instid0(VALU_DEP_1)
	v_fma_f32 v2, v8, v2, -v13
	s_and_not1_b32 exec_lo, exec_lo, s12
	s_cbranch_execnz .LBB26_79
; %bb.80:
	s_or_b32 exec_lo, exec_lo, s12
.LBB26_81:
	s_delay_alu instid0(SALU_CYCLE_1)
	s_or_b32 exec_lo, exec_lo, s11
.LBB26_82:
	s_and_not1_saveexec_b32 s0, s9
; %bb.83:
	v_mov_b32_e32 v2, v8
; %bb.84:
	s_or_b32 exec_lo, exec_lo, s0
.LBB26_85:
	s_delay_alu instid0(SALU_CYCLE_1)
	s_or_b32 exec_lo, exec_lo, s8
.LBB26_86:
	s_delay_alu instid0(SALU_CYCLE_1)
	s_or_b32 exec_lo, exec_lo, s3
.LBB26_87:
	s_delay_alu instid0(SALU_CYCLE_1) | instskip(SKIP_3) | instid1(VALU_DEP_1)
	s_or_b32 exec_lo, exec_lo, s1
	s_waitcnt vmcnt(0)
	v_or_b32_e32 v6, 0x200, v0
	s_mov_b32 s1, exec_lo
	v_cmpx_gt_i32_e64 s10, v6
	s_cbranch_execz .LBB26_101
; %bb.88:
	v_trunc_f32_e32 v3, v11
	s_mov_b32 s3, exec_lo
	s_delay_alu instid0(VALU_DEP_1) | instskip(NEXT) | instid1(VALU_DEP_1)
	v_mul_f32_e64 v6, 0x2f800000, |v3|
	v_floor_f32_e32 v6, v6
	s_delay_alu instid0(VALU_DEP_1) | instskip(SKIP_2) | instid1(VALU_DEP_3)
	v_fma_f32 v7, 0xcf800000, v6, |v3|
	v_ashrrev_i32_e32 v3, 31, v3
	v_cvt_u32_f32_e32 v6, v6
	v_cvt_u32_f32_e32 v7, v7
	s_delay_alu instid0(VALU_DEP_2) | instskip(NEXT) | instid1(VALU_DEP_2)
	v_xor_b32_e32 v6, v6, v3
	v_xor_b32_e32 v7, v7, v3
	s_delay_alu instid0(VALU_DEP_1) | instskip(NEXT) | instid1(VALU_DEP_1)
	v_sub_co_u32 v12, s0, v7, v3
	v_sub_co_ci_u32_e64 v3, s0, v6, v3, s0
	v_cmp_class_f32_e64 s0, v11, 0x1f8
	s_delay_alu instid0(VALU_DEP_1) | instskip(NEXT) | instid1(VALU_DEP_4)
	v_cndmask_b32_e64 v7, -1, v3, s0
	v_cndmask_b32_e64 v6, -1, v12, s0
	v_mov_b32_e32 v3, 0
	s_delay_alu instid0(VALU_DEP_2)
	v_cmpx_lt_i64_e32 -1, v[6:7]
	s_cbranch_execz .LBB26_100
; %bb.89:
	v_mov_b32_e32 v3, 1.0
	s_mov_b32 s8, exec_lo
	v_cmpx_lt_i64_e32 0, v[6:7]
	s_cbranch_execz .LBB26_99
; %bb.90:
	s_mov_b32 s6, exec_lo
	v_cmpx_ne_u64_e32 1, v[6:7]
	s_xor_b32 s9, exec_lo, s6
	s_cbranch_execz .LBB26_96
; %bb.91:
	v_mov_b32_e32 v3, 0x7fc00000
	s_mov_b32 s11, exec_lo
	v_cmpx_gt_u64_e32 0x81, v[6:7]
	s_cbranch_execz .LBB26_95
; %bb.92:
	v_lshlrev_b64 v[6:7], 1, v[6:7]
	v_mov_b32_e32 v11, 1.0
	v_mov_b32_e32 v3, v8
	s_mov_b64 s[6:7], 2
	s_mov_b32 s12, 0
	.p2align	6
.LBB26_93:                              ; =>This Inner Loop Header: Depth=1
	s_clz_i32_u32 s0, s7
	s_delay_alu instid0(SALU_CYCLE_1) | instskip(NEXT) | instid1(SALU_CYCLE_1)
	s_min_u32 s0, s0, 32
	s_lshl_b64 s[14:15], s[6:7], s0
	s_sub_i32 s0, 32, s0
	s_min_u32 s13, s14, 1
	s_delay_alu instid0(SALU_CYCLE_1) | instskip(SKIP_3) | instid1(VALU_DEP_1)
	s_or_b32 s13, s15, s13
	s_add_u32 s6, s6, 2
	v_cvt_f32_u32_e32 v12, s13
	s_addc_u32 s7, s7, 0
	v_ldexp_f32 v12, v12, s0
	v_cmp_ge_u64_e64 s0, s[6:7], v[6:7]
	s_delay_alu instid0(VALU_DEP_2) | instskip(SKIP_1) | instid1(VALU_DEP_3)
	v_mul_f32_e32 v12, v11, v12
	v_mov_b32_e32 v11, v3
	s_or_b32 s12, s0, s12
	s_delay_alu instid0(VALU_DEP_2)
	v_fma_f32 v3, v8, v3, -v12
	s_and_not1_b32 exec_lo, exec_lo, s12
	s_cbranch_execnz .LBB26_93
; %bb.94:
	s_or_b32 exec_lo, exec_lo, s12
.LBB26_95:
	s_delay_alu instid0(SALU_CYCLE_1)
	s_or_b32 exec_lo, exec_lo, s11
.LBB26_96:
	s_and_not1_saveexec_b32 s0, s9
; %bb.97:
	v_mov_b32_e32 v3, v8
; %bb.98:
	s_or_b32 exec_lo, exec_lo, s0
.LBB26_99:
	s_delay_alu instid0(SALU_CYCLE_1)
	s_or_b32 exec_lo, exec_lo, s8
.LBB26_100:
	s_delay_alu instid0(SALU_CYCLE_1)
	s_or_b32 exec_lo, exec_lo, s3
.LBB26_101:
	s_delay_alu instid0(SALU_CYCLE_1) | instskip(SKIP_2) | instid1(VALU_DEP_1)
	s_or_b32 exec_lo, exec_lo, s1
	v_or_b32_e32 v6, 0x300, v0
	s_mov_b32 s1, exec_lo
	v_cmpx_gt_i32_e64 s10, v6
	s_cbranch_execnz .LBB26_108
; %bb.102:
	s_or_b32 exec_lo, exec_lo, s1
	s_and_saveexec_b32 s0, vcc_lo
	s_delay_alu instid0(SALU_CYCLE_1)
	s_xor_b32 s0, exec_lo, s0
	s_cbranch_execnz .LBB26_121
.LBB26_103:
	s_or_b32 exec_lo, exec_lo, s0
	s_delay_alu instid0(SALU_CYCLE_1)
	s_mov_b32 s0, exec_lo
	v_cmpx_gt_i32_e64 s10, v0
	s_cbranch_execnz .LBB26_122
.LBB26_104:
	s_or_b32 exec_lo, exec_lo, s0
	s_delay_alu instid0(SALU_CYCLE_1)
	s_mov_b32 s0, exec_lo
	v_cmpx_gt_i32_e64 s10, v0
	s_cbranch_execnz .LBB26_123
.LBB26_105:
	s_or_b32 exec_lo, exec_lo, s0
	s_delay_alu instid0(SALU_CYCLE_1)
	s_mov_b32 s0, exec_lo
	v_cmpx_gt_i32_e64 s10, v0
	s_cbranch_execz .LBB26_107
.LBB26_106:
	v_dual_mov_b32 v1, 0 :: v_dual_add_nc_u32 v0, s2, v0
	s_delay_alu instid0(VALU_DEP_1) | instskip(NEXT) | instid1(VALU_DEP_1)
	v_lshlrev_b64 v[0:1], 2, v[0:1]
	v_add_co_u32 v0, vcc_lo, s4, v0
	s_delay_alu instid0(VALU_DEP_2)
	v_add_co_ci_u32_e32 v1, vcc_lo, s5, v1, vcc_lo
	global_store_b32 v[0:1], v4, off
.LBB26_107:
	s_nop 0
	s_sendmsg sendmsg(MSG_DEALLOC_VGPRS)
	s_endpgm
.LBB26_108:
	v_trunc_f32_e32 v4, v10
	s_mov_b32 s3, exec_lo
	s_delay_alu instid0(VALU_DEP_1) | instskip(NEXT) | instid1(VALU_DEP_1)
	v_mul_f32_e64 v6, 0x2f800000, |v4|
	v_floor_f32_e32 v6, v6
	s_delay_alu instid0(VALU_DEP_1) | instskip(SKIP_2) | instid1(VALU_DEP_3)
	v_fma_f32 v7, 0xcf800000, v6, |v4|
	v_ashrrev_i32_e32 v4, 31, v4
	v_cvt_u32_f32_e32 v6, v6
	v_cvt_u32_f32_e32 v7, v7
	s_delay_alu instid0(VALU_DEP_2) | instskip(NEXT) | instid1(VALU_DEP_2)
	v_xor_b32_e32 v6, v6, v4
	v_xor_b32_e32 v7, v7, v4
	s_delay_alu instid0(VALU_DEP_1) | instskip(NEXT) | instid1(VALU_DEP_1)
	v_sub_co_u32 v11, s0, v7, v4
	v_sub_co_ci_u32_e64 v4, s0, v6, v4, s0
	v_cmp_class_f32_e64 s0, v10, 0x1f8
	s_delay_alu instid0(VALU_DEP_1) | instskip(NEXT) | instid1(VALU_DEP_4)
	v_cndmask_b32_e64 v7, -1, v4, s0
	v_cndmask_b32_e64 v6, -1, v11, s0
	v_mov_b32_e32 v4, 0
	s_delay_alu instid0(VALU_DEP_2)
	v_cmpx_lt_i64_e32 -1, v[6:7]
	s_cbranch_execz .LBB26_120
; %bb.109:
	v_mov_b32_e32 v4, 1.0
	s_mov_b32 s8, exec_lo
	v_cmpx_lt_i64_e32 0, v[6:7]
	s_cbranch_execz .LBB26_119
; %bb.110:
	s_mov_b32 s6, exec_lo
	v_cmpx_ne_u64_e32 1, v[6:7]
	s_xor_b32 s9, exec_lo, s6
	s_cbranch_execz .LBB26_116
; %bb.111:
	v_mov_b32_e32 v4, 0x7fc00000
	s_mov_b32 s11, exec_lo
	v_cmpx_gt_u64_e32 0x81, v[6:7]
	s_cbranch_execz .LBB26_115
; %bb.112:
	v_lshlrev_b64 v[6:7], 1, v[6:7]
	v_mov_b32_e32 v10, 1.0
	v_mov_b32_e32 v4, v8
	s_mov_b64 s[6:7], 2
	s_mov_b32 s12, 0
	.p2align	6
.LBB26_113:                             ; =>This Inner Loop Header: Depth=1
	s_clz_i32_u32 s0, s7
	s_delay_alu instid0(SALU_CYCLE_1) | instskip(NEXT) | instid1(SALU_CYCLE_1)
	s_min_u32 s0, s0, 32
	s_lshl_b64 s[14:15], s[6:7], s0
	s_sub_i32 s0, 32, s0
	s_min_u32 s13, s14, 1
	s_delay_alu instid0(SALU_CYCLE_1) | instskip(SKIP_3) | instid1(VALU_DEP_1)
	s_or_b32 s13, s15, s13
	s_add_u32 s6, s6, 2
	v_cvt_f32_u32_e32 v11, s13
	s_addc_u32 s7, s7, 0
	v_ldexp_f32 v11, v11, s0
	v_cmp_ge_u64_e64 s0, s[6:7], v[6:7]
	s_delay_alu instid0(VALU_DEP_2) | instskip(NEXT) | instid1(VALU_DEP_2)
	v_dual_mul_f32 v11, v10, v11 :: v_dual_mov_b32 v10, v4
	s_or_b32 s12, s0, s12
	s_delay_alu instid0(VALU_DEP_1)
	v_fma_f32 v4, v8, v4, -v11
	s_and_not1_b32 exec_lo, exec_lo, s12
	s_cbranch_execnz .LBB26_113
; %bb.114:
	s_or_b32 exec_lo, exec_lo, s12
.LBB26_115:
	s_delay_alu instid0(SALU_CYCLE_1)
	s_or_b32 exec_lo, exec_lo, s11
                                        ; implicit-def: $vgpr8
.LBB26_116:
	s_and_not1_saveexec_b32 s0, s9
; %bb.117:
	v_mov_b32_e32 v4, v8
; %bb.118:
	s_or_b32 exec_lo, exec_lo, s0
.LBB26_119:
	s_delay_alu instid0(SALU_CYCLE_1)
	s_or_b32 exec_lo, exec_lo, s8
.LBB26_120:
	s_delay_alu instid0(SALU_CYCLE_1) | instskip(NEXT) | instid1(SALU_CYCLE_1)
	s_or_b32 exec_lo, exec_lo, s3
	s_or_b32 exec_lo, exec_lo, s1
	s_and_saveexec_b32 s0, vcc_lo
	s_delay_alu instid0(SALU_CYCLE_1)
	s_xor_b32 s0, exec_lo, s0
	s_cbranch_execz .LBB26_103
.LBB26_121:
	v_mov_b32_e32 v6, 0
	v_mov_b32_e32 v0, v9
	s_delay_alu instid0(VALU_DEP_2) | instskip(NEXT) | instid1(VALU_DEP_1)
	v_lshlrev_b64 v[5:6], 2, v[5:6]
	v_add_co_u32 v5, vcc_lo, s4, v5
	s_delay_alu instid0(VALU_DEP_2) | instskip(SKIP_2) | instid1(SALU_CYCLE_1)
	v_add_co_ci_u32_e32 v6, vcc_lo, s5, v6, vcc_lo
	global_store_b32 v[5:6], v1, off
	s_or_b32 exec_lo, exec_lo, s0
	s_mov_b32 s0, exec_lo
	v_cmpx_gt_i32_e64 s10, v0
	s_cbranch_execz .LBB26_104
.LBB26_122:
	v_dual_mov_b32 v6, 0 :: v_dual_add_nc_u32 v5, s2, v0
	v_add_nc_u32_e32 v0, 0x100, v0
	s_delay_alu instid0(VALU_DEP_2) | instskip(NEXT) | instid1(VALU_DEP_1)
	v_lshlrev_b64 v[5:6], 2, v[5:6]
	v_add_co_u32 v5, vcc_lo, s4, v5
	s_delay_alu instid0(VALU_DEP_2) | instskip(SKIP_2) | instid1(SALU_CYCLE_1)
	v_add_co_ci_u32_e32 v6, vcc_lo, s5, v6, vcc_lo
	global_store_b32 v[5:6], v2, off
	s_or_b32 exec_lo, exec_lo, s0
	s_mov_b32 s0, exec_lo
	v_cmpx_gt_i32_e64 s10, v0
	s_cbranch_execz .LBB26_105
.LBB26_123:
	v_dual_mov_b32 v2, 0 :: v_dual_add_nc_u32 v1, s2, v0
	v_add_nc_u32_e32 v0, 0x100, v0
	s_delay_alu instid0(VALU_DEP_2) | instskip(NEXT) | instid1(VALU_DEP_1)
	v_lshlrev_b64 v[1:2], 2, v[1:2]
	v_add_co_u32 v1, vcc_lo, s4, v1
	s_delay_alu instid0(VALU_DEP_2) | instskip(SKIP_2) | instid1(SALU_CYCLE_1)
	v_add_co_ci_u32_e32 v2, vcc_lo, s5, v2, vcc_lo
	global_store_b32 v[1:2], v3, off
	s_or_b32 exec_lo, exec_lo, s0
	s_mov_b32 s0, exec_lo
	v_cmpx_gt_i32_e64 s10, v0
	s_cbranch_execnz .LBB26_106
	s_branch .LBB26_107
	.section	.rodata,"a",@progbits
	.p2align	6, 0x0
	.amdhsa_kernel _ZN2at6native29vectorized_elementwise_kernelILi4ENS0_13AUnaryFunctorIfffZZZNS0_12_GLOBAL__N_132hermite_polynomial_h_kernel_cudaERNS_18TensorIteratorBaseEENKUlvE_clEvENKUlvE0_clEvEUlffE_EESt5arrayIPcLm2EEEEviT0_T1_
		.amdhsa_group_segment_fixed_size 0
		.amdhsa_private_segment_fixed_size 0
		.amdhsa_kernarg_size 32
		.amdhsa_user_sgpr_count 15
		.amdhsa_user_sgpr_dispatch_ptr 0
		.amdhsa_user_sgpr_queue_ptr 0
		.amdhsa_user_sgpr_kernarg_segment_ptr 1
		.amdhsa_user_sgpr_dispatch_id 0
		.amdhsa_user_sgpr_private_segment_size 0
		.amdhsa_wavefront_size32 1
		.amdhsa_uses_dynamic_stack 0
		.amdhsa_enable_private_segment 0
		.amdhsa_system_sgpr_workgroup_id_x 1
		.amdhsa_system_sgpr_workgroup_id_y 0
		.amdhsa_system_sgpr_workgroup_id_z 0
		.amdhsa_system_sgpr_workgroup_info 0
		.amdhsa_system_vgpr_workitem_id 0
		.amdhsa_next_free_vgpr 14
		.amdhsa_next_free_sgpr 18
		.amdhsa_reserve_vcc 1
		.amdhsa_float_round_mode_32 0
		.amdhsa_float_round_mode_16_64 0
		.amdhsa_float_denorm_mode_32 3
		.amdhsa_float_denorm_mode_16_64 3
		.amdhsa_dx10_clamp 1
		.amdhsa_ieee_mode 1
		.amdhsa_fp16_overflow 0
		.amdhsa_workgroup_processor_mode 1
		.amdhsa_memory_ordered 1
		.amdhsa_forward_progress 0
		.amdhsa_shared_vgpr_count 0
		.amdhsa_exception_fp_ieee_invalid_op 0
		.amdhsa_exception_fp_denorm_src 0
		.amdhsa_exception_fp_ieee_div_zero 0
		.amdhsa_exception_fp_ieee_overflow 0
		.amdhsa_exception_fp_ieee_underflow 0
		.amdhsa_exception_fp_ieee_inexact 0
		.amdhsa_exception_int_div_zero 0
	.end_amdhsa_kernel
	.section	.text._ZN2at6native29vectorized_elementwise_kernelILi4ENS0_13AUnaryFunctorIfffZZZNS0_12_GLOBAL__N_132hermite_polynomial_h_kernel_cudaERNS_18TensorIteratorBaseEENKUlvE_clEvENKUlvE0_clEvEUlffE_EESt5arrayIPcLm2EEEEviT0_T1_,"axG",@progbits,_ZN2at6native29vectorized_elementwise_kernelILi4ENS0_13AUnaryFunctorIfffZZZNS0_12_GLOBAL__N_132hermite_polynomial_h_kernel_cudaERNS_18TensorIteratorBaseEENKUlvE_clEvENKUlvE0_clEvEUlffE_EESt5arrayIPcLm2EEEEviT0_T1_,comdat
.Lfunc_end26:
	.size	_ZN2at6native29vectorized_elementwise_kernelILi4ENS0_13AUnaryFunctorIfffZZZNS0_12_GLOBAL__N_132hermite_polynomial_h_kernel_cudaERNS_18TensorIteratorBaseEENKUlvE_clEvENKUlvE0_clEvEUlffE_EESt5arrayIPcLm2EEEEviT0_T1_, .Lfunc_end26-_ZN2at6native29vectorized_elementwise_kernelILi4ENS0_13AUnaryFunctorIfffZZZNS0_12_GLOBAL__N_132hermite_polynomial_h_kernel_cudaERNS_18TensorIteratorBaseEENKUlvE_clEvENKUlvE0_clEvEUlffE_EESt5arrayIPcLm2EEEEviT0_T1_
                                        ; -- End function
	.section	.AMDGPU.csdata,"",@progbits
; Kernel info:
; codeLenInByte = 3744
; NumSgprs: 20
; NumVgprs: 14
; ScratchSize: 0
; MemoryBound: 0
; FloatMode: 240
; IeeeMode: 1
; LDSByteSize: 0 bytes/workgroup (compile time only)
; SGPRBlocks: 2
; VGPRBlocks: 1
; NumSGPRsForWavesPerEU: 20
; NumVGPRsForWavesPerEU: 14
; Occupancy: 16
; WaveLimiterHint : 0
; COMPUTE_PGM_RSRC2:SCRATCH_EN: 0
; COMPUTE_PGM_RSRC2:USER_SGPR: 15
; COMPUTE_PGM_RSRC2:TRAP_HANDLER: 0
; COMPUTE_PGM_RSRC2:TGID_X_EN: 1
; COMPUTE_PGM_RSRC2:TGID_Y_EN: 0
; COMPUTE_PGM_RSRC2:TGID_Z_EN: 0
; COMPUTE_PGM_RSRC2:TIDIG_COMP_CNT: 0
	.section	.text._ZN2at6native29vectorized_elementwise_kernelILi2ENS0_13AUnaryFunctorIfffZZZNS0_12_GLOBAL__N_132hermite_polynomial_h_kernel_cudaERNS_18TensorIteratorBaseEENKUlvE_clEvENKUlvE0_clEvEUlffE_EESt5arrayIPcLm2EEEEviT0_T1_,"axG",@progbits,_ZN2at6native29vectorized_elementwise_kernelILi2ENS0_13AUnaryFunctorIfffZZZNS0_12_GLOBAL__N_132hermite_polynomial_h_kernel_cudaERNS_18TensorIteratorBaseEENKUlvE_clEvENKUlvE0_clEvEUlffE_EESt5arrayIPcLm2EEEEviT0_T1_,comdat
	.globl	_ZN2at6native29vectorized_elementwise_kernelILi2ENS0_13AUnaryFunctorIfffZZZNS0_12_GLOBAL__N_132hermite_polynomial_h_kernel_cudaERNS_18TensorIteratorBaseEENKUlvE_clEvENKUlvE0_clEvEUlffE_EESt5arrayIPcLm2EEEEviT0_T1_ ; -- Begin function _ZN2at6native29vectorized_elementwise_kernelILi2ENS0_13AUnaryFunctorIfffZZZNS0_12_GLOBAL__N_132hermite_polynomial_h_kernel_cudaERNS_18TensorIteratorBaseEENKUlvE_clEvENKUlvE0_clEvEUlffE_EESt5arrayIPcLm2EEEEviT0_T1_
	.p2align	8
	.type	_ZN2at6native29vectorized_elementwise_kernelILi2ENS0_13AUnaryFunctorIfffZZZNS0_12_GLOBAL__N_132hermite_polynomial_h_kernel_cudaERNS_18TensorIteratorBaseEENKUlvE_clEvENKUlvE0_clEvEUlffE_EESt5arrayIPcLm2EEEEviT0_T1_,@function
_ZN2at6native29vectorized_elementwise_kernelILi2ENS0_13AUnaryFunctorIfffZZZNS0_12_GLOBAL__N_132hermite_polynomial_h_kernel_cudaERNS_18TensorIteratorBaseEENKUlvE_clEvENKUlvE0_clEvEUlffE_EESt5arrayIPcLm2EEEEviT0_T1_: ; @_ZN2at6native29vectorized_elementwise_kernelILi2ENS0_13AUnaryFunctorIfffZZZNS0_12_GLOBAL__N_132hermite_polynomial_h_kernel_cudaERNS_18TensorIteratorBaseEENKUlvE_clEvENKUlvE0_clEvEUlffE_EESt5arrayIPcLm2EEEEviT0_T1_
; %bb.0:
	s_clause 0x2
	s_load_b32 s3, s[0:1], 0x0
	s_load_b32 s8, s[0:1], 0x8
	s_load_b128 s[4:7], s[0:1], 0x10
	s_lshl_b32 s2, s15, 10
	s_mov_b32 s0, -1
	s_waitcnt lgkmcnt(0)
	s_sub_i32 s10, s3, s2
	v_add_f32_e64 v8, s8, s8
	s_cmpk_gt_i32 s10, 0x3ff
	s_cbranch_scc0 .LBB27_50
; %bb.1:
	s_ashr_i32 s3, s2, 31
	v_lshlrev_b32_e32 v7, 3, v0
	s_lshl_b64 s[0:1], s[2:3], 2
	s_mov_b32 s3, exec_lo
	s_add_u32 s12, s6, s0
	s_addc_u32 s13, s7, s1
	s_clause 0x1
	global_load_b64 v[1:2], v7, s[12:13]
	global_load_b64 v[3:4], v7, s[12:13] offset:2048
	s_waitcnt vmcnt(1)
	v_trunc_f32_e32 v5, v1
	s_delay_alu instid0(VALU_DEP_1) | instskip(NEXT) | instid1(VALU_DEP_1)
	v_mul_f32_e64 v6, 0x2f800000, |v5|
	v_floor_f32_e32 v6, v6
	s_delay_alu instid0(VALU_DEP_1) | instskip(SKIP_2) | instid1(VALU_DEP_3)
	v_fma_f32 v9, 0xcf800000, v6, |v5|
	v_ashrrev_i32_e32 v5, 31, v5
	v_cvt_u32_f32_e32 v6, v6
	v_cvt_u32_f32_e32 v9, v9
	s_delay_alu instid0(VALU_DEP_2) | instskip(NEXT) | instid1(VALU_DEP_2)
	v_xor_b32_e32 v6, v6, v5
	v_xor_b32_e32 v9, v9, v5
	s_delay_alu instid0(VALU_DEP_1) | instskip(NEXT) | instid1(VALU_DEP_3)
	v_sub_co_u32 v9, vcc_lo, v9, v5
	v_sub_co_ci_u32_e32 v5, vcc_lo, v6, v5, vcc_lo
	v_cmp_class_f32_e64 vcc_lo, v1, 0x1f8
	s_delay_alu instid0(VALU_DEP_2) | instskip(NEXT) | instid1(VALU_DEP_4)
	v_dual_mov_b32 v1, 0 :: v_dual_cndmask_b32 v6, -1, v5
	v_cndmask_b32_e32 v5, -1, v9, vcc_lo
	v_add_f32_e64 v9, s8, s8
	s_delay_alu instid0(VALU_DEP_2)
	v_cmpx_lt_i64_e32 -1, v[5:6]
	s_cbranch_execz .LBB27_13
; %bb.2:
	v_mov_b32_e32 v1, 1.0
	s_mov_b32 s11, exec_lo
	v_cmpx_lt_i64_e32 0, v[5:6]
	s_cbranch_execz .LBB27_12
; %bb.3:
                                        ; implicit-def: $vgpr1
	s_mov_b32 s8, exec_lo
	v_cmpx_ne_u64_e32 1, v[5:6]
	s_xor_b32 s12, exec_lo, s8
	s_cbranch_execz .LBB27_9
; %bb.4:
	v_mov_b32_e32 v1, 0x7fc00000
	s_mov_b32 s13, exec_lo
	v_cmpx_gt_u64_e32 0x81, v[5:6]
	s_cbranch_execz .LBB27_8
; %bb.5:
	v_lshlrev_b64 v[5:6], 1, v[5:6]
	v_dual_mov_b32 v10, 1.0 :: v_dual_mov_b32 v1, v9
	s_mov_b64 s[8:9], 2
	s_mov_b32 s14, 0
	.p2align	6
.LBB27_6:                               ; =>This Inner Loop Header: Depth=1
	s_clz_i32_u32 s15, s9
	s_delay_alu instid0(SALU_CYCLE_1) | instskip(NEXT) | instid1(SALU_CYCLE_1)
	s_min_u32 s15, s15, 32
	s_lshl_b64 s[16:17], s[8:9], s15
	s_sub_i32 s15, 32, s15
	s_min_u32 s16, s16, 1
	s_delay_alu instid0(SALU_CYCLE_1) | instskip(SKIP_3) | instid1(SALU_CYCLE_1)
	s_or_b32 s16, s17, s16
	s_add_u32 s8, s8, 2
	v_cvt_f32_u32_e32 v11, s16
	s_addc_u32 s9, s9, 0
	v_cmp_ge_u64_e32 vcc_lo, s[8:9], v[5:6]
	s_delay_alu instid0(VALU_DEP_2) | instskip(SKIP_1) | instid1(VALU_DEP_1)
	v_ldexp_f32 v11, v11, s15
	s_or_b32 s14, vcc_lo, s14
	v_dual_mul_f32 v11, v10, v11 :: v_dual_mov_b32 v10, v1
	s_delay_alu instid0(VALU_DEP_1)
	v_fma_f32 v1, v9, v1, -v11
	s_and_not1_b32 exec_lo, exec_lo, s14
	s_cbranch_execnz .LBB27_6
; %bb.7:
	s_or_b32 exec_lo, exec_lo, s14
.LBB27_8:
	s_delay_alu instid0(SALU_CYCLE_1)
	s_or_b32 exec_lo, exec_lo, s13
.LBB27_9:
	s_and_not1_saveexec_b32 s8, s12
; %bb.10:
	v_mov_b32_e32 v1, v9
; %bb.11:
	s_or_b32 exec_lo, exec_lo, s8
.LBB27_12:
	s_delay_alu instid0(SALU_CYCLE_1)
	s_or_b32 exec_lo, exec_lo, s11
.LBB27_13:
	s_delay_alu instid0(SALU_CYCLE_1) | instskip(SKIP_2) | instid1(VALU_DEP_1)
	s_or_b32 exec_lo, exec_lo, s3
	v_trunc_f32_e32 v5, v2
	s_mov_b32 s3, exec_lo
	v_mul_f32_e64 v6, 0x2f800000, |v5|
	s_delay_alu instid0(VALU_DEP_1) | instskip(NEXT) | instid1(VALU_DEP_1)
	v_floor_f32_e32 v6, v6
	v_fma_f32 v10, 0xcf800000, v6, |v5|
	v_ashrrev_i32_e32 v5, 31, v5
	v_cvt_u32_f32_e32 v6, v6
	s_delay_alu instid0(VALU_DEP_3) | instskip(NEXT) | instid1(VALU_DEP_2)
	v_cvt_u32_f32_e32 v10, v10
	v_xor_b32_e32 v6, v6, v5
	s_delay_alu instid0(VALU_DEP_2) | instskip(NEXT) | instid1(VALU_DEP_1)
	v_xor_b32_e32 v10, v10, v5
	v_sub_co_u32 v10, vcc_lo, v10, v5
	s_delay_alu instid0(VALU_DEP_3) | instskip(SKIP_2) | instid1(VALU_DEP_3)
	v_sub_co_ci_u32_e32 v5, vcc_lo, v6, v5, vcc_lo
	v_cmp_class_f32_e64 vcc_lo, v2, 0x1f8
	v_mov_b32_e32 v2, 0
	v_dual_cndmask_b32 v6, -1, v5 :: v_dual_cndmask_b32 v5, -1, v10
	s_delay_alu instid0(VALU_DEP_1)
	v_cmpx_lt_i64_e32 -1, v[5:6]
	s_cbranch_execz .LBB27_25
; %bb.14:
	v_mov_b32_e32 v2, 1.0
	s_mov_b32 s11, exec_lo
	v_cmpx_lt_i64_e32 0, v[5:6]
	s_cbranch_execz .LBB27_24
; %bb.15:
	s_mov_b32 s8, exec_lo
	v_cmpx_ne_u64_e32 1, v[5:6]
	s_xor_b32 s12, exec_lo, s8
	s_cbranch_execz .LBB27_21
; %bb.16:
	v_mov_b32_e32 v2, 0x7fc00000
	s_mov_b32 s13, exec_lo
	v_cmpx_gt_u64_e32 0x81, v[5:6]
	s_cbranch_execz .LBB27_20
; %bb.17:
	v_lshlrev_b64 v[5:6], 1, v[5:6]
	v_mov_b32_e32 v10, 1.0
	v_mov_b32_e32 v2, v9
	s_mov_b64 s[8:9], 2
	s_mov_b32 s14, 0
	.p2align	6
.LBB27_18:                              ; =>This Inner Loop Header: Depth=1
	s_clz_i32_u32 s15, s9
	s_delay_alu instid0(SALU_CYCLE_1) | instskip(NEXT) | instid1(SALU_CYCLE_1)
	s_min_u32 s15, s15, 32
	s_lshl_b64 s[16:17], s[8:9], s15
	s_sub_i32 s15, 32, s15
	s_min_u32 s16, s16, 1
	s_delay_alu instid0(SALU_CYCLE_1) | instskip(SKIP_3) | instid1(SALU_CYCLE_1)
	s_or_b32 s16, s17, s16
	s_add_u32 s8, s8, 2
	v_cvt_f32_u32_e32 v11, s16
	s_addc_u32 s9, s9, 0
	v_cmp_ge_u64_e32 vcc_lo, s[8:9], v[5:6]
	s_delay_alu instid0(VALU_DEP_2) | instskip(SKIP_1) | instid1(VALU_DEP_1)
	v_ldexp_f32 v11, v11, s15
	s_or_b32 s14, vcc_lo, s14
	v_mul_f32_e32 v11, v10, v11
	v_mov_b32_e32 v10, v2
	s_delay_alu instid0(VALU_DEP_2)
	v_fma_f32 v2, v9, v2, -v11
	s_and_not1_b32 exec_lo, exec_lo, s14
	s_cbranch_execnz .LBB27_18
; %bb.19:
	s_or_b32 exec_lo, exec_lo, s14
.LBB27_20:
	s_delay_alu instid0(SALU_CYCLE_1)
	s_or_b32 exec_lo, exec_lo, s13
.LBB27_21:
	s_and_not1_saveexec_b32 s8, s12
; %bb.22:
	v_mov_b32_e32 v2, v9
; %bb.23:
	s_or_b32 exec_lo, exec_lo, s8
.LBB27_24:
	s_delay_alu instid0(SALU_CYCLE_1)
	s_or_b32 exec_lo, exec_lo, s11
.LBB27_25:
	s_delay_alu instid0(SALU_CYCLE_1) | instskip(SKIP_3) | instid1(VALU_DEP_1)
	s_or_b32 exec_lo, exec_lo, s3
	s_waitcnt vmcnt(0)
	v_trunc_f32_e32 v5, v3
	s_mov_b32 s3, exec_lo
	v_mul_f32_e64 v6, 0x2f800000, |v5|
	s_delay_alu instid0(VALU_DEP_1) | instskip(NEXT) | instid1(VALU_DEP_1)
	v_floor_f32_e32 v6, v6
	v_fma_f32 v10, 0xcf800000, v6, |v5|
	v_ashrrev_i32_e32 v5, 31, v5
	v_cvt_u32_f32_e32 v6, v6
	s_delay_alu instid0(VALU_DEP_3) | instskip(NEXT) | instid1(VALU_DEP_2)
	v_cvt_u32_f32_e32 v10, v10
	v_xor_b32_e32 v6, v6, v5
	s_delay_alu instid0(VALU_DEP_2) | instskip(NEXT) | instid1(VALU_DEP_1)
	v_xor_b32_e32 v10, v10, v5
	v_sub_co_u32 v10, vcc_lo, v10, v5
	s_delay_alu instid0(VALU_DEP_3) | instskip(SKIP_1) | instid1(VALU_DEP_2)
	v_sub_co_ci_u32_e32 v5, vcc_lo, v6, v5, vcc_lo
	v_cmp_class_f32_e64 vcc_lo, v3, 0x1f8
	v_dual_mov_b32 v3, 0 :: v_dual_cndmask_b32 v6, -1, v5
	s_delay_alu instid0(VALU_DEP_4) | instskip(NEXT) | instid1(VALU_DEP_1)
	v_cndmask_b32_e32 v5, -1, v10, vcc_lo
	v_cmpx_lt_i64_e32 -1, v[5:6]
	s_cbranch_execz .LBB27_37
; %bb.26:
	v_mov_b32_e32 v3, 1.0
	s_mov_b32 s11, exec_lo
	v_cmpx_lt_i64_e32 0, v[5:6]
	s_cbranch_execz .LBB27_36
; %bb.27:
                                        ; implicit-def: $vgpr3
	s_mov_b32 s8, exec_lo
	v_cmpx_ne_u64_e32 1, v[5:6]
	s_xor_b32 s12, exec_lo, s8
	s_cbranch_execz .LBB27_33
; %bb.28:
	v_mov_b32_e32 v3, 0x7fc00000
	s_mov_b32 s13, exec_lo
	v_cmpx_gt_u64_e32 0x81, v[5:6]
	s_cbranch_execz .LBB27_32
; %bb.29:
	v_lshlrev_b64 v[5:6], 1, v[5:6]
	v_dual_mov_b32 v10, 1.0 :: v_dual_mov_b32 v3, v9
	s_mov_b64 s[8:9], 2
	s_mov_b32 s14, 0
	.p2align	6
.LBB27_30:                              ; =>This Inner Loop Header: Depth=1
	s_clz_i32_u32 s15, s9
	s_delay_alu instid0(SALU_CYCLE_1) | instskip(NEXT) | instid1(SALU_CYCLE_1)
	s_min_u32 s15, s15, 32
	s_lshl_b64 s[16:17], s[8:9], s15
	s_sub_i32 s15, 32, s15
	s_min_u32 s16, s16, 1
	s_delay_alu instid0(SALU_CYCLE_1) | instskip(SKIP_3) | instid1(SALU_CYCLE_1)
	s_or_b32 s16, s17, s16
	s_add_u32 s8, s8, 2
	v_cvt_f32_u32_e32 v11, s16
	s_addc_u32 s9, s9, 0
	v_cmp_ge_u64_e32 vcc_lo, s[8:9], v[5:6]
	s_delay_alu instid0(VALU_DEP_2) | instskip(SKIP_1) | instid1(VALU_DEP_1)
	v_ldexp_f32 v11, v11, s15
	s_or_b32 s14, vcc_lo, s14
	v_dual_mul_f32 v11, v10, v11 :: v_dual_mov_b32 v10, v3
	s_delay_alu instid0(VALU_DEP_1)
	v_fma_f32 v3, v9, v3, -v11
	s_and_not1_b32 exec_lo, exec_lo, s14
	s_cbranch_execnz .LBB27_30
; %bb.31:
	s_or_b32 exec_lo, exec_lo, s14
.LBB27_32:
	s_delay_alu instid0(SALU_CYCLE_1)
	s_or_b32 exec_lo, exec_lo, s13
.LBB27_33:
	s_and_not1_saveexec_b32 s8, s12
; %bb.34:
	v_mov_b32_e32 v3, v9
; %bb.35:
	s_or_b32 exec_lo, exec_lo, s8
.LBB27_36:
	s_delay_alu instid0(SALU_CYCLE_1)
	s_or_b32 exec_lo, exec_lo, s11
.LBB27_37:
	s_delay_alu instid0(SALU_CYCLE_1) | instskip(SKIP_2) | instid1(VALU_DEP_1)
	s_or_b32 exec_lo, exec_lo, s3
	v_trunc_f32_e32 v5, v4
	s_mov_b32 s3, exec_lo
	v_mul_f32_e64 v6, 0x2f800000, |v5|
	s_delay_alu instid0(VALU_DEP_1) | instskip(NEXT) | instid1(VALU_DEP_1)
	v_floor_f32_e32 v6, v6
	v_fma_f32 v10, 0xcf800000, v6, |v5|
	v_ashrrev_i32_e32 v5, 31, v5
	v_cvt_u32_f32_e32 v6, v6
	s_delay_alu instid0(VALU_DEP_3) | instskip(NEXT) | instid1(VALU_DEP_2)
	v_cvt_u32_f32_e32 v10, v10
	v_xor_b32_e32 v6, v6, v5
	s_delay_alu instid0(VALU_DEP_2) | instskip(NEXT) | instid1(VALU_DEP_1)
	v_xor_b32_e32 v10, v10, v5
	v_sub_co_u32 v10, vcc_lo, v10, v5
	s_delay_alu instid0(VALU_DEP_3) | instskip(SKIP_2) | instid1(VALU_DEP_3)
	v_sub_co_ci_u32_e32 v5, vcc_lo, v6, v5, vcc_lo
	v_cmp_class_f32_e64 vcc_lo, v4, 0x1f8
	v_mov_b32_e32 v4, 0
	v_dual_cndmask_b32 v6, -1, v5 :: v_dual_cndmask_b32 v5, -1, v10
	s_delay_alu instid0(VALU_DEP_1)
	v_cmpx_lt_i64_e32 -1, v[5:6]
	s_cbranch_execz .LBB27_49
; %bb.38:
	v_mov_b32_e32 v4, 1.0
	s_mov_b32 s11, exec_lo
	v_cmpx_lt_i64_e32 0, v[5:6]
	s_cbranch_execz .LBB27_48
; %bb.39:
	s_mov_b32 s8, exec_lo
	v_cmpx_ne_u64_e32 1, v[5:6]
	s_xor_b32 s12, exec_lo, s8
	s_cbranch_execz .LBB27_45
; %bb.40:
	v_mov_b32_e32 v4, 0x7fc00000
	s_mov_b32 s13, exec_lo
	v_cmpx_gt_u64_e32 0x81, v[5:6]
	s_cbranch_execz .LBB27_44
; %bb.41:
	v_lshlrev_b64 v[5:6], 1, v[5:6]
	v_mov_b32_e32 v10, 1.0
	v_mov_b32_e32 v4, v9
	s_mov_b64 s[8:9], 2
	s_mov_b32 s14, 0
	.p2align	6
.LBB27_42:                              ; =>This Inner Loop Header: Depth=1
	s_clz_i32_u32 s15, s9
	s_delay_alu instid0(SALU_CYCLE_1) | instskip(NEXT) | instid1(SALU_CYCLE_1)
	s_min_u32 s15, s15, 32
	s_lshl_b64 s[16:17], s[8:9], s15
	s_sub_i32 s15, 32, s15
	s_min_u32 s16, s16, 1
	s_delay_alu instid0(SALU_CYCLE_1) | instskip(SKIP_3) | instid1(SALU_CYCLE_1)
	s_or_b32 s16, s17, s16
	s_add_u32 s8, s8, 2
	v_cvt_f32_u32_e32 v11, s16
	s_addc_u32 s9, s9, 0
	v_cmp_ge_u64_e32 vcc_lo, s[8:9], v[5:6]
	s_delay_alu instid0(VALU_DEP_2) | instskip(SKIP_1) | instid1(VALU_DEP_1)
	v_ldexp_f32 v11, v11, s15
	s_or_b32 s14, vcc_lo, s14
	v_dual_mul_f32 v11, v10, v11 :: v_dual_mov_b32 v10, v4
	s_delay_alu instid0(VALU_DEP_1)
	v_fma_f32 v4, v9, v4, -v11
	s_and_not1_b32 exec_lo, exec_lo, s14
	s_cbranch_execnz .LBB27_42
; %bb.43:
	s_or_b32 exec_lo, exec_lo, s14
.LBB27_44:
	s_delay_alu instid0(SALU_CYCLE_1)
	s_or_b32 exec_lo, exec_lo, s13
                                        ; implicit-def: $vgpr9
.LBB27_45:
	s_and_not1_saveexec_b32 s8, s12
; %bb.46:
	v_mov_b32_e32 v4, v9
; %bb.47:
	s_or_b32 exec_lo, exec_lo, s8
.LBB27_48:
	s_delay_alu instid0(SALU_CYCLE_1)
	s_or_b32 exec_lo, exec_lo, s11
.LBB27_49:
	s_delay_alu instid0(SALU_CYCLE_1)
	s_or_b32 exec_lo, exec_lo, s3
	s_add_u32 s8, s4, s0
	s_addc_u32 s9, s5, s1
	s_mov_b32 s0, 0
	s_clause 0x1
	global_store_b64 v7, v[1:2], s[8:9]
	global_store_b64 v7, v[3:4], s[8:9] offset:2048
.LBB27_50:
	s_and_b32 vcc_lo, exec_lo, s0
	s_cbranch_vccz .LBB27_107
; %bb.51:
	v_cmp_gt_i32_e32 vcc_lo, s10, v0
	v_dual_mov_b32 v7, 0 :: v_dual_mov_b32 v6, 0
	v_or_b32_e32 v5, s2, v0
	v_or_b32_e32 v9, 0x100, v0
	v_mov_b32_e32 v1, v0
	s_and_saveexec_b32 s1, vcc_lo
	s_cbranch_execz .LBB27_53
; %bb.52:
	v_mov_b32_e32 v6, 0
	s_delay_alu instid0(VALU_DEP_1) | instskip(NEXT) | instid1(VALU_DEP_1)
	v_lshlrev_b64 v[1:2], 2, v[5:6]
	v_add_co_u32 v1, s0, s6, v1
	s_delay_alu instid0(VALU_DEP_1)
	v_add_co_ci_u32_e64 v2, s0, s7, v2, s0
	global_load_b32 v6, v[1:2], off
	v_or_b32_e32 v1, 0x100, v0
.LBB27_53:
	s_or_b32 exec_lo, exec_lo, s1
	s_delay_alu instid0(SALU_CYCLE_1) | instskip(NEXT) | instid1(VALU_DEP_1)
	s_mov_b32 s1, exec_lo
	v_cmpx_gt_i32_e64 s10, v1
	s_cbranch_execz .LBB27_55
; %bb.54:
	v_dual_mov_b32 v3, 0 :: v_dual_add_nc_u32 v2, s2, v1
	v_add_nc_u32_e32 v1, 0x100, v1
	s_delay_alu instid0(VALU_DEP_2) | instskip(NEXT) | instid1(VALU_DEP_1)
	v_lshlrev_b64 v[2:3], 2, v[2:3]
	v_add_co_u32 v2, s0, s6, v2
	s_delay_alu instid0(VALU_DEP_1)
	v_add_co_ci_u32_e64 v3, s0, s7, v3, s0
	global_load_b32 v7, v[2:3], off
.LBB27_55:
	s_or_b32 exec_lo, exec_lo, s1
	v_dual_mov_b32 v10, 0 :: v_dual_mov_b32 v11, 0
	s_mov_b32 s1, exec_lo
	v_cmpx_gt_i32_e64 s10, v1
	s_cbranch_execnz .LBB27_59
; %bb.56:
	s_or_b32 exec_lo, exec_lo, s1
	s_delay_alu instid0(SALU_CYCLE_1)
	s_mov_b32 s1, exec_lo
	v_cmpx_gt_i32_e64 s10, v1
	s_cbranch_execnz .LBB27_60
.LBB27_57:
	s_or_b32 exec_lo, exec_lo, s1
                                        ; implicit-def: $vgpr1_vgpr2_vgpr3_vgpr4
	s_and_saveexec_b32 s1, vcc_lo
	s_cbranch_execnz .LBB27_61
.LBB27_58:
	s_or_b32 exec_lo, exec_lo, s1
	s_delay_alu instid0(SALU_CYCLE_1)
	s_mov_b32 s1, exec_lo
	v_cmpx_gt_i32_e64 s10, v9
	s_cbranch_execnz .LBB27_74
	s_branch .LBB27_87
.LBB27_59:
	v_dual_mov_b32 v3, 0 :: v_dual_add_nc_u32 v2, s2, v1
	v_add_nc_u32_e32 v1, 0x100, v1
	s_delay_alu instid0(VALU_DEP_2) | instskip(NEXT) | instid1(VALU_DEP_1)
	v_lshlrev_b64 v[2:3], 2, v[2:3]
	v_add_co_u32 v2, s0, s6, v2
	s_delay_alu instid0(VALU_DEP_1) | instskip(SKIP_2) | instid1(SALU_CYCLE_1)
	v_add_co_ci_u32_e64 v3, s0, s7, v3, s0
	global_load_b32 v11, v[2:3], off
	s_or_b32 exec_lo, exec_lo, s1
	s_mov_b32 s1, exec_lo
	v_cmpx_gt_i32_e64 s10, v1
	s_cbranch_execz .LBB27_57
.LBB27_60:
	v_dual_mov_b32 v2, 0 :: v_dual_add_nc_u32 v1, s2, v1
	s_delay_alu instid0(VALU_DEP_1) | instskip(NEXT) | instid1(VALU_DEP_1)
	v_lshlrev_b64 v[1:2], 2, v[1:2]
	v_add_co_u32 v1, s0, s6, v1
	s_delay_alu instid0(VALU_DEP_1)
	v_add_co_ci_u32_e64 v2, s0, s7, v2, s0
	global_load_b32 v10, v[1:2], off
	s_or_b32 exec_lo, exec_lo, s1
                                        ; implicit-def: $vgpr1_vgpr2_vgpr3_vgpr4
	s_and_saveexec_b32 s1, vcc_lo
	s_cbranch_execz .LBB27_58
.LBB27_61:
	s_waitcnt vmcnt(0)
	v_trunc_f32_e32 v1, v6
	s_mov_b32 s3, exec_lo
	s_delay_alu instid0(VALU_DEP_1) | instskip(NEXT) | instid1(VALU_DEP_1)
	v_mul_f32_e64 v2, 0x2f800000, |v1|
	v_floor_f32_e32 v2, v2
	s_delay_alu instid0(VALU_DEP_1) | instskip(SKIP_2) | instid1(VALU_DEP_3)
	v_fma_f32 v3, 0xcf800000, v2, |v1|
	v_ashrrev_i32_e32 v1, 31, v1
	v_cvt_u32_f32_e32 v2, v2
	v_cvt_u32_f32_e32 v3, v3
	s_delay_alu instid0(VALU_DEP_2) | instskip(NEXT) | instid1(VALU_DEP_2)
	v_xor_b32_e32 v2, v2, v1
	v_xor_b32_e32 v3, v3, v1
	s_delay_alu instid0(VALU_DEP_1) | instskip(NEXT) | instid1(VALU_DEP_1)
	v_sub_co_u32 v4, s0, v3, v1
	v_sub_co_ci_u32_e64 v1, s0, v2, v1, s0
	v_cmp_class_f32_e64 s0, v6, 0x1f8
	s_delay_alu instid0(VALU_DEP_1) | instskip(NEXT) | instid1(VALU_DEP_4)
	v_cndmask_b32_e64 v3, -1, v1, s0
	v_cndmask_b32_e64 v2, -1, v4, s0
	v_mov_b32_e32 v1, 0
	s_delay_alu instid0(VALU_DEP_2)
	v_cmpx_lt_i64_e32 -1, v[2:3]
	s_cbranch_execz .LBB27_73
; %bb.62:
	v_mov_b32_e32 v1, 1.0
	s_mov_b32 s8, exec_lo
	v_cmpx_lt_i64_e32 0, v[2:3]
	s_cbranch_execz .LBB27_72
; %bb.63:
                                        ; implicit-def: $vgpr1
	s_mov_b32 s6, exec_lo
	v_cmpx_ne_u64_e32 1, v[2:3]
	s_xor_b32 s9, exec_lo, s6
	s_cbranch_execz .LBB27_69
; %bb.64:
	v_mov_b32_e32 v1, 0x7fc00000
	s_mov_b32 s11, exec_lo
	v_cmpx_gt_u64_e32 0x81, v[2:3]
	s_cbranch_execz .LBB27_68
; %bb.65:
	v_lshlrev_b64 v[2:3], 1, v[2:3]
	v_dual_mov_b32 v4, 1.0 :: v_dual_mov_b32 v1, v8
	s_mov_b64 s[6:7], 2
	s_mov_b32 s12, 0
	.p2align	6
.LBB27_66:                              ; =>This Inner Loop Header: Depth=1
	s_clz_i32_u32 s0, s7
	s_delay_alu instid0(SALU_CYCLE_1) | instskip(NEXT) | instid1(SALU_CYCLE_1)
	s_min_u32 s0, s0, 32
	s_lshl_b64 s[14:15], s[6:7], s0
	s_sub_i32 s0, 32, s0
	s_min_u32 s13, s14, 1
	s_delay_alu instid0(SALU_CYCLE_1) | instskip(SKIP_3) | instid1(VALU_DEP_1)
	s_or_b32 s13, s15, s13
	s_add_u32 s6, s6, 2
	v_cvt_f32_u32_e32 v6, s13
	s_addc_u32 s7, s7, 0
	v_ldexp_f32 v6, v6, s0
	v_cmp_ge_u64_e64 s0, s[6:7], v[2:3]
	s_delay_alu instid0(VALU_DEP_2) | instskip(SKIP_1) | instid1(VALU_DEP_3)
	v_mul_f32_e32 v6, v4, v6
	v_mov_b32_e32 v4, v1
	s_or_b32 s12, s0, s12
	s_delay_alu instid0(VALU_DEP_2)
	v_fma_f32 v1, v8, v1, -v6
	s_and_not1_b32 exec_lo, exec_lo, s12
	s_cbranch_execnz .LBB27_66
; %bb.67:
	s_or_b32 exec_lo, exec_lo, s12
.LBB27_68:
	s_delay_alu instid0(SALU_CYCLE_1)
	s_or_b32 exec_lo, exec_lo, s11
.LBB27_69:
	s_and_not1_saveexec_b32 s0, s9
; %bb.70:
	v_mov_b32_e32 v1, v8
; %bb.71:
	s_or_b32 exec_lo, exec_lo, s0
.LBB27_72:
	s_delay_alu instid0(SALU_CYCLE_1)
	s_or_b32 exec_lo, exec_lo, s8
.LBB27_73:
	s_delay_alu instid0(SALU_CYCLE_1) | instskip(NEXT) | instid1(SALU_CYCLE_1)
	s_or_b32 exec_lo, exec_lo, s3
	s_or_b32 exec_lo, exec_lo, s1
	s_delay_alu instid0(SALU_CYCLE_1)
	s_mov_b32 s1, exec_lo
	v_cmpx_gt_i32_e64 s10, v9
	s_cbranch_execz .LBB27_87
.LBB27_74:
	s_waitcnt vmcnt(0)
	v_trunc_f32_e32 v2, v7
	s_mov_b32 s3, exec_lo
	s_delay_alu instid0(VALU_DEP_1) | instskip(NEXT) | instid1(VALU_DEP_1)
	v_mul_f32_e64 v6, 0x2f800000, |v2|
	v_floor_f32_e32 v6, v6
	s_delay_alu instid0(VALU_DEP_1) | instskip(SKIP_2) | instid1(VALU_DEP_3)
	v_fma_f32 v12, 0xcf800000, v6, |v2|
	v_ashrrev_i32_e32 v2, 31, v2
	v_cvt_u32_f32_e32 v6, v6
	v_cvt_u32_f32_e32 v12, v12
	s_delay_alu instid0(VALU_DEP_2) | instskip(NEXT) | instid1(VALU_DEP_2)
	v_xor_b32_e32 v6, v6, v2
	v_xor_b32_e32 v12, v12, v2
	s_delay_alu instid0(VALU_DEP_1) | instskip(NEXT) | instid1(VALU_DEP_1)
	v_sub_co_u32 v12, s0, v12, v2
	v_sub_co_ci_u32_e64 v2, s0, v6, v2, s0
	v_cmp_class_f32_e64 s0, v7, 0x1f8
	s_delay_alu instid0(VALU_DEP_1) | instskip(NEXT) | instid1(VALU_DEP_4)
	v_cndmask_b32_e64 v7, -1, v2, s0
	v_cndmask_b32_e64 v6, -1, v12, s0
	v_mov_b32_e32 v2, 0
	s_delay_alu instid0(VALU_DEP_2)
	v_cmpx_lt_i64_e32 -1, v[6:7]
	s_cbranch_execz .LBB27_86
; %bb.75:
	v_mov_b32_e32 v2, 1.0
	s_mov_b32 s8, exec_lo
	v_cmpx_lt_i64_e32 0, v[6:7]
	s_cbranch_execz .LBB27_85
; %bb.76:
	s_mov_b32 s6, exec_lo
	v_cmpx_ne_u64_e32 1, v[6:7]
	s_xor_b32 s9, exec_lo, s6
	s_cbranch_execz .LBB27_82
; %bb.77:
	v_mov_b32_e32 v2, 0x7fc00000
	s_mov_b32 s11, exec_lo
	v_cmpx_gt_u64_e32 0x81, v[6:7]
	s_cbranch_execz .LBB27_81
; %bb.78:
	v_lshlrev_b64 v[6:7], 1, v[6:7]
	v_mov_b32_e32 v12, 1.0
	v_mov_b32_e32 v2, v8
	s_mov_b64 s[6:7], 2
	s_mov_b32 s12, 0
	.p2align	6
.LBB27_79:                              ; =>This Inner Loop Header: Depth=1
	s_clz_i32_u32 s0, s7
	s_delay_alu instid0(SALU_CYCLE_1) | instskip(NEXT) | instid1(SALU_CYCLE_1)
	s_min_u32 s0, s0, 32
	s_lshl_b64 s[14:15], s[6:7], s0
	s_sub_i32 s0, 32, s0
	s_min_u32 s13, s14, 1
	s_delay_alu instid0(SALU_CYCLE_1) | instskip(SKIP_3) | instid1(VALU_DEP_1)
	s_or_b32 s13, s15, s13
	s_add_u32 s6, s6, 2
	v_cvt_f32_u32_e32 v13, s13
	s_addc_u32 s7, s7, 0
	v_ldexp_f32 v13, v13, s0
	v_cmp_ge_u64_e64 s0, s[6:7], v[6:7]
	s_delay_alu instid0(VALU_DEP_2) | instskip(NEXT) | instid1(VALU_DEP_2)
	v_dual_mul_f32 v13, v12, v13 :: v_dual_mov_b32 v12, v2
	s_or_b32 s12, s0, s12
	s_delay_alu instid0(VALU_DEP_1)
	v_fma_f32 v2, v8, v2, -v13
	s_and_not1_b32 exec_lo, exec_lo, s12
	s_cbranch_execnz .LBB27_79
; %bb.80:
	s_or_b32 exec_lo, exec_lo, s12
.LBB27_81:
	s_delay_alu instid0(SALU_CYCLE_1)
	s_or_b32 exec_lo, exec_lo, s11
.LBB27_82:
	s_and_not1_saveexec_b32 s0, s9
; %bb.83:
	v_mov_b32_e32 v2, v8
; %bb.84:
	s_or_b32 exec_lo, exec_lo, s0
.LBB27_85:
	s_delay_alu instid0(SALU_CYCLE_1)
	s_or_b32 exec_lo, exec_lo, s8
.LBB27_86:
	s_delay_alu instid0(SALU_CYCLE_1)
	s_or_b32 exec_lo, exec_lo, s3
.LBB27_87:
	s_delay_alu instid0(SALU_CYCLE_1) | instskip(SKIP_3) | instid1(VALU_DEP_1)
	s_or_b32 exec_lo, exec_lo, s1
	s_waitcnt vmcnt(0)
	v_or_b32_e32 v6, 0x200, v0
	s_mov_b32 s1, exec_lo
	v_cmpx_gt_i32_e64 s10, v6
	s_cbranch_execz .LBB27_101
; %bb.88:
	v_trunc_f32_e32 v3, v11
	s_mov_b32 s3, exec_lo
	s_delay_alu instid0(VALU_DEP_1) | instskip(NEXT) | instid1(VALU_DEP_1)
	v_mul_f32_e64 v6, 0x2f800000, |v3|
	v_floor_f32_e32 v6, v6
	s_delay_alu instid0(VALU_DEP_1) | instskip(SKIP_2) | instid1(VALU_DEP_3)
	v_fma_f32 v7, 0xcf800000, v6, |v3|
	v_ashrrev_i32_e32 v3, 31, v3
	v_cvt_u32_f32_e32 v6, v6
	v_cvt_u32_f32_e32 v7, v7
	s_delay_alu instid0(VALU_DEP_2) | instskip(NEXT) | instid1(VALU_DEP_2)
	v_xor_b32_e32 v6, v6, v3
	v_xor_b32_e32 v7, v7, v3
	s_delay_alu instid0(VALU_DEP_1) | instskip(NEXT) | instid1(VALU_DEP_1)
	v_sub_co_u32 v12, s0, v7, v3
	v_sub_co_ci_u32_e64 v3, s0, v6, v3, s0
	v_cmp_class_f32_e64 s0, v11, 0x1f8
	s_delay_alu instid0(VALU_DEP_1) | instskip(NEXT) | instid1(VALU_DEP_4)
	v_cndmask_b32_e64 v7, -1, v3, s0
	v_cndmask_b32_e64 v6, -1, v12, s0
	v_mov_b32_e32 v3, 0
	s_delay_alu instid0(VALU_DEP_2)
	v_cmpx_lt_i64_e32 -1, v[6:7]
	s_cbranch_execz .LBB27_100
; %bb.89:
	v_mov_b32_e32 v3, 1.0
	s_mov_b32 s8, exec_lo
	v_cmpx_lt_i64_e32 0, v[6:7]
	s_cbranch_execz .LBB27_99
; %bb.90:
	s_mov_b32 s6, exec_lo
	v_cmpx_ne_u64_e32 1, v[6:7]
	s_xor_b32 s9, exec_lo, s6
	s_cbranch_execz .LBB27_96
; %bb.91:
	v_mov_b32_e32 v3, 0x7fc00000
	s_mov_b32 s11, exec_lo
	v_cmpx_gt_u64_e32 0x81, v[6:7]
	s_cbranch_execz .LBB27_95
; %bb.92:
	v_lshlrev_b64 v[6:7], 1, v[6:7]
	v_mov_b32_e32 v11, 1.0
	v_mov_b32_e32 v3, v8
	s_mov_b64 s[6:7], 2
	s_mov_b32 s12, 0
	.p2align	6
.LBB27_93:                              ; =>This Inner Loop Header: Depth=1
	s_clz_i32_u32 s0, s7
	s_delay_alu instid0(SALU_CYCLE_1) | instskip(NEXT) | instid1(SALU_CYCLE_1)
	s_min_u32 s0, s0, 32
	s_lshl_b64 s[14:15], s[6:7], s0
	s_sub_i32 s0, 32, s0
	s_min_u32 s13, s14, 1
	s_delay_alu instid0(SALU_CYCLE_1) | instskip(SKIP_3) | instid1(VALU_DEP_1)
	s_or_b32 s13, s15, s13
	s_add_u32 s6, s6, 2
	v_cvt_f32_u32_e32 v12, s13
	s_addc_u32 s7, s7, 0
	v_ldexp_f32 v12, v12, s0
	v_cmp_ge_u64_e64 s0, s[6:7], v[6:7]
	s_delay_alu instid0(VALU_DEP_2) | instskip(SKIP_1) | instid1(VALU_DEP_3)
	v_mul_f32_e32 v12, v11, v12
	v_mov_b32_e32 v11, v3
	s_or_b32 s12, s0, s12
	s_delay_alu instid0(VALU_DEP_2)
	v_fma_f32 v3, v8, v3, -v12
	s_and_not1_b32 exec_lo, exec_lo, s12
	s_cbranch_execnz .LBB27_93
; %bb.94:
	s_or_b32 exec_lo, exec_lo, s12
.LBB27_95:
	s_delay_alu instid0(SALU_CYCLE_1)
	s_or_b32 exec_lo, exec_lo, s11
.LBB27_96:
	s_and_not1_saveexec_b32 s0, s9
; %bb.97:
	v_mov_b32_e32 v3, v8
; %bb.98:
	s_or_b32 exec_lo, exec_lo, s0
.LBB27_99:
	s_delay_alu instid0(SALU_CYCLE_1)
	s_or_b32 exec_lo, exec_lo, s8
.LBB27_100:
	s_delay_alu instid0(SALU_CYCLE_1)
	s_or_b32 exec_lo, exec_lo, s3
.LBB27_101:
	s_delay_alu instid0(SALU_CYCLE_1) | instskip(SKIP_2) | instid1(VALU_DEP_1)
	s_or_b32 exec_lo, exec_lo, s1
	v_or_b32_e32 v6, 0x300, v0
	s_mov_b32 s1, exec_lo
	v_cmpx_gt_i32_e64 s10, v6
	s_cbranch_execnz .LBB27_108
; %bb.102:
	s_or_b32 exec_lo, exec_lo, s1
	s_and_saveexec_b32 s0, vcc_lo
	s_delay_alu instid0(SALU_CYCLE_1)
	s_xor_b32 s0, exec_lo, s0
	s_cbranch_execnz .LBB27_121
.LBB27_103:
	s_or_b32 exec_lo, exec_lo, s0
	s_delay_alu instid0(SALU_CYCLE_1)
	s_mov_b32 s0, exec_lo
	v_cmpx_gt_i32_e64 s10, v0
	s_cbranch_execnz .LBB27_122
.LBB27_104:
	s_or_b32 exec_lo, exec_lo, s0
	s_delay_alu instid0(SALU_CYCLE_1)
	s_mov_b32 s0, exec_lo
	v_cmpx_gt_i32_e64 s10, v0
	s_cbranch_execnz .LBB27_123
.LBB27_105:
	s_or_b32 exec_lo, exec_lo, s0
	s_delay_alu instid0(SALU_CYCLE_1)
	s_mov_b32 s0, exec_lo
	v_cmpx_gt_i32_e64 s10, v0
	s_cbranch_execz .LBB27_107
.LBB27_106:
	v_dual_mov_b32 v1, 0 :: v_dual_add_nc_u32 v0, s2, v0
	s_delay_alu instid0(VALU_DEP_1) | instskip(NEXT) | instid1(VALU_DEP_1)
	v_lshlrev_b64 v[0:1], 2, v[0:1]
	v_add_co_u32 v0, vcc_lo, s4, v0
	s_delay_alu instid0(VALU_DEP_2)
	v_add_co_ci_u32_e32 v1, vcc_lo, s5, v1, vcc_lo
	global_store_b32 v[0:1], v4, off
.LBB27_107:
	s_nop 0
	s_sendmsg sendmsg(MSG_DEALLOC_VGPRS)
	s_endpgm
.LBB27_108:
	v_trunc_f32_e32 v4, v10
	s_mov_b32 s3, exec_lo
	s_delay_alu instid0(VALU_DEP_1) | instskip(NEXT) | instid1(VALU_DEP_1)
	v_mul_f32_e64 v6, 0x2f800000, |v4|
	v_floor_f32_e32 v6, v6
	s_delay_alu instid0(VALU_DEP_1) | instskip(SKIP_2) | instid1(VALU_DEP_3)
	v_fma_f32 v7, 0xcf800000, v6, |v4|
	v_ashrrev_i32_e32 v4, 31, v4
	v_cvt_u32_f32_e32 v6, v6
	v_cvt_u32_f32_e32 v7, v7
	s_delay_alu instid0(VALU_DEP_2) | instskip(NEXT) | instid1(VALU_DEP_2)
	v_xor_b32_e32 v6, v6, v4
	v_xor_b32_e32 v7, v7, v4
	s_delay_alu instid0(VALU_DEP_1) | instskip(NEXT) | instid1(VALU_DEP_1)
	v_sub_co_u32 v11, s0, v7, v4
	v_sub_co_ci_u32_e64 v4, s0, v6, v4, s0
	v_cmp_class_f32_e64 s0, v10, 0x1f8
	s_delay_alu instid0(VALU_DEP_1) | instskip(NEXT) | instid1(VALU_DEP_4)
	v_cndmask_b32_e64 v7, -1, v4, s0
	v_cndmask_b32_e64 v6, -1, v11, s0
	v_mov_b32_e32 v4, 0
	s_delay_alu instid0(VALU_DEP_2)
	v_cmpx_lt_i64_e32 -1, v[6:7]
	s_cbranch_execz .LBB27_120
; %bb.109:
	v_mov_b32_e32 v4, 1.0
	s_mov_b32 s8, exec_lo
	v_cmpx_lt_i64_e32 0, v[6:7]
	s_cbranch_execz .LBB27_119
; %bb.110:
	s_mov_b32 s6, exec_lo
	v_cmpx_ne_u64_e32 1, v[6:7]
	s_xor_b32 s9, exec_lo, s6
	s_cbranch_execz .LBB27_116
; %bb.111:
	v_mov_b32_e32 v4, 0x7fc00000
	s_mov_b32 s11, exec_lo
	v_cmpx_gt_u64_e32 0x81, v[6:7]
	s_cbranch_execz .LBB27_115
; %bb.112:
	v_lshlrev_b64 v[6:7], 1, v[6:7]
	v_mov_b32_e32 v10, 1.0
	v_mov_b32_e32 v4, v8
	s_mov_b64 s[6:7], 2
	s_mov_b32 s12, 0
	.p2align	6
.LBB27_113:                             ; =>This Inner Loop Header: Depth=1
	s_clz_i32_u32 s0, s7
	s_delay_alu instid0(SALU_CYCLE_1) | instskip(NEXT) | instid1(SALU_CYCLE_1)
	s_min_u32 s0, s0, 32
	s_lshl_b64 s[14:15], s[6:7], s0
	s_sub_i32 s0, 32, s0
	s_min_u32 s13, s14, 1
	s_delay_alu instid0(SALU_CYCLE_1) | instskip(SKIP_3) | instid1(VALU_DEP_1)
	s_or_b32 s13, s15, s13
	s_add_u32 s6, s6, 2
	v_cvt_f32_u32_e32 v11, s13
	s_addc_u32 s7, s7, 0
	v_ldexp_f32 v11, v11, s0
	v_cmp_ge_u64_e64 s0, s[6:7], v[6:7]
	s_delay_alu instid0(VALU_DEP_2) | instskip(NEXT) | instid1(VALU_DEP_2)
	v_dual_mul_f32 v11, v10, v11 :: v_dual_mov_b32 v10, v4
	s_or_b32 s12, s0, s12
	s_delay_alu instid0(VALU_DEP_1)
	v_fma_f32 v4, v8, v4, -v11
	s_and_not1_b32 exec_lo, exec_lo, s12
	s_cbranch_execnz .LBB27_113
; %bb.114:
	s_or_b32 exec_lo, exec_lo, s12
.LBB27_115:
	s_delay_alu instid0(SALU_CYCLE_1)
	s_or_b32 exec_lo, exec_lo, s11
                                        ; implicit-def: $vgpr8
.LBB27_116:
	s_and_not1_saveexec_b32 s0, s9
; %bb.117:
	v_mov_b32_e32 v4, v8
; %bb.118:
	s_or_b32 exec_lo, exec_lo, s0
.LBB27_119:
	s_delay_alu instid0(SALU_CYCLE_1)
	s_or_b32 exec_lo, exec_lo, s8
.LBB27_120:
	s_delay_alu instid0(SALU_CYCLE_1) | instskip(NEXT) | instid1(SALU_CYCLE_1)
	s_or_b32 exec_lo, exec_lo, s3
	s_or_b32 exec_lo, exec_lo, s1
	s_and_saveexec_b32 s0, vcc_lo
	s_delay_alu instid0(SALU_CYCLE_1)
	s_xor_b32 s0, exec_lo, s0
	s_cbranch_execz .LBB27_103
.LBB27_121:
	v_mov_b32_e32 v6, 0
	v_mov_b32_e32 v0, v9
	s_delay_alu instid0(VALU_DEP_2) | instskip(NEXT) | instid1(VALU_DEP_1)
	v_lshlrev_b64 v[5:6], 2, v[5:6]
	v_add_co_u32 v5, vcc_lo, s4, v5
	s_delay_alu instid0(VALU_DEP_2) | instskip(SKIP_2) | instid1(SALU_CYCLE_1)
	v_add_co_ci_u32_e32 v6, vcc_lo, s5, v6, vcc_lo
	global_store_b32 v[5:6], v1, off
	s_or_b32 exec_lo, exec_lo, s0
	s_mov_b32 s0, exec_lo
	v_cmpx_gt_i32_e64 s10, v0
	s_cbranch_execz .LBB27_104
.LBB27_122:
	v_dual_mov_b32 v6, 0 :: v_dual_add_nc_u32 v5, s2, v0
	v_add_nc_u32_e32 v0, 0x100, v0
	s_delay_alu instid0(VALU_DEP_2) | instskip(NEXT) | instid1(VALU_DEP_1)
	v_lshlrev_b64 v[5:6], 2, v[5:6]
	v_add_co_u32 v5, vcc_lo, s4, v5
	s_delay_alu instid0(VALU_DEP_2) | instskip(SKIP_2) | instid1(SALU_CYCLE_1)
	v_add_co_ci_u32_e32 v6, vcc_lo, s5, v6, vcc_lo
	global_store_b32 v[5:6], v2, off
	s_or_b32 exec_lo, exec_lo, s0
	s_mov_b32 s0, exec_lo
	v_cmpx_gt_i32_e64 s10, v0
	s_cbranch_execz .LBB27_105
.LBB27_123:
	v_dual_mov_b32 v2, 0 :: v_dual_add_nc_u32 v1, s2, v0
	v_add_nc_u32_e32 v0, 0x100, v0
	s_delay_alu instid0(VALU_DEP_2) | instskip(NEXT) | instid1(VALU_DEP_1)
	v_lshlrev_b64 v[1:2], 2, v[1:2]
	v_add_co_u32 v1, vcc_lo, s4, v1
	s_delay_alu instid0(VALU_DEP_2) | instskip(SKIP_2) | instid1(SALU_CYCLE_1)
	v_add_co_ci_u32_e32 v2, vcc_lo, s5, v2, vcc_lo
	global_store_b32 v[1:2], v3, off
	s_or_b32 exec_lo, exec_lo, s0
	s_mov_b32 s0, exec_lo
	v_cmpx_gt_i32_e64 s10, v0
	s_cbranch_execnz .LBB27_106
	s_branch .LBB27_107
	.section	.rodata,"a",@progbits
	.p2align	6, 0x0
	.amdhsa_kernel _ZN2at6native29vectorized_elementwise_kernelILi2ENS0_13AUnaryFunctorIfffZZZNS0_12_GLOBAL__N_132hermite_polynomial_h_kernel_cudaERNS_18TensorIteratorBaseEENKUlvE_clEvENKUlvE0_clEvEUlffE_EESt5arrayIPcLm2EEEEviT0_T1_
		.amdhsa_group_segment_fixed_size 0
		.amdhsa_private_segment_fixed_size 0
		.amdhsa_kernarg_size 32
		.amdhsa_user_sgpr_count 15
		.amdhsa_user_sgpr_dispatch_ptr 0
		.amdhsa_user_sgpr_queue_ptr 0
		.amdhsa_user_sgpr_kernarg_segment_ptr 1
		.amdhsa_user_sgpr_dispatch_id 0
		.amdhsa_user_sgpr_private_segment_size 0
		.amdhsa_wavefront_size32 1
		.amdhsa_uses_dynamic_stack 0
		.amdhsa_enable_private_segment 0
		.amdhsa_system_sgpr_workgroup_id_x 1
		.amdhsa_system_sgpr_workgroup_id_y 0
		.amdhsa_system_sgpr_workgroup_id_z 0
		.amdhsa_system_sgpr_workgroup_info 0
		.amdhsa_system_vgpr_workitem_id 0
		.amdhsa_next_free_vgpr 14
		.amdhsa_next_free_sgpr 18
		.amdhsa_reserve_vcc 1
		.amdhsa_float_round_mode_32 0
		.amdhsa_float_round_mode_16_64 0
		.amdhsa_float_denorm_mode_32 3
		.amdhsa_float_denorm_mode_16_64 3
		.amdhsa_dx10_clamp 1
		.amdhsa_ieee_mode 1
		.amdhsa_fp16_overflow 0
		.amdhsa_workgroup_processor_mode 1
		.amdhsa_memory_ordered 1
		.amdhsa_forward_progress 0
		.amdhsa_shared_vgpr_count 0
		.amdhsa_exception_fp_ieee_invalid_op 0
		.amdhsa_exception_fp_denorm_src 0
		.amdhsa_exception_fp_ieee_div_zero 0
		.amdhsa_exception_fp_ieee_overflow 0
		.amdhsa_exception_fp_ieee_underflow 0
		.amdhsa_exception_fp_ieee_inexact 0
		.amdhsa_exception_int_div_zero 0
	.end_amdhsa_kernel
	.section	.text._ZN2at6native29vectorized_elementwise_kernelILi2ENS0_13AUnaryFunctorIfffZZZNS0_12_GLOBAL__N_132hermite_polynomial_h_kernel_cudaERNS_18TensorIteratorBaseEENKUlvE_clEvENKUlvE0_clEvEUlffE_EESt5arrayIPcLm2EEEEviT0_T1_,"axG",@progbits,_ZN2at6native29vectorized_elementwise_kernelILi2ENS0_13AUnaryFunctorIfffZZZNS0_12_GLOBAL__N_132hermite_polynomial_h_kernel_cudaERNS_18TensorIteratorBaseEENKUlvE_clEvENKUlvE0_clEvEUlffE_EESt5arrayIPcLm2EEEEviT0_T1_,comdat
.Lfunc_end27:
	.size	_ZN2at6native29vectorized_elementwise_kernelILi2ENS0_13AUnaryFunctorIfffZZZNS0_12_GLOBAL__N_132hermite_polynomial_h_kernel_cudaERNS_18TensorIteratorBaseEENKUlvE_clEvENKUlvE0_clEvEUlffE_EESt5arrayIPcLm2EEEEviT0_T1_, .Lfunc_end27-_ZN2at6native29vectorized_elementwise_kernelILi2ENS0_13AUnaryFunctorIfffZZZNS0_12_GLOBAL__N_132hermite_polynomial_h_kernel_cudaERNS_18TensorIteratorBaseEENKUlvE_clEvENKUlvE0_clEvEUlffE_EESt5arrayIPcLm2EEEEviT0_T1_
                                        ; -- End function
	.section	.AMDGPU.csdata,"",@progbits
; Kernel info:
; codeLenInByte = 3772
; NumSgprs: 20
; NumVgprs: 14
; ScratchSize: 0
; MemoryBound: 0
; FloatMode: 240
; IeeeMode: 1
; LDSByteSize: 0 bytes/workgroup (compile time only)
; SGPRBlocks: 2
; VGPRBlocks: 1
; NumSGPRsForWavesPerEU: 20
; NumVGPRsForWavesPerEU: 14
; Occupancy: 16
; WaveLimiterHint : 1
; COMPUTE_PGM_RSRC2:SCRATCH_EN: 0
; COMPUTE_PGM_RSRC2:USER_SGPR: 15
; COMPUTE_PGM_RSRC2:TRAP_HANDLER: 0
; COMPUTE_PGM_RSRC2:TGID_X_EN: 1
; COMPUTE_PGM_RSRC2:TGID_Y_EN: 0
; COMPUTE_PGM_RSRC2:TGID_Z_EN: 0
; COMPUTE_PGM_RSRC2:TIDIG_COMP_CNT: 0
	.section	.text._ZN2at6native27unrolled_elementwise_kernelINS0_13AUnaryFunctorIfffZZZNS0_12_GLOBAL__N_132hermite_polynomial_h_kernel_cudaERNS_18TensorIteratorBaseEENKUlvE_clEvENKUlvE0_clEvEUlffE_EESt5arrayIPcLm2EELi4E23TrivialOffsetCalculatorILi1EjESE_NS0_6memory15LoadWithoutCastENSF_16StoreWithoutCastEEEviT_T0_T2_T3_T4_T5_,"axG",@progbits,_ZN2at6native27unrolled_elementwise_kernelINS0_13AUnaryFunctorIfffZZZNS0_12_GLOBAL__N_132hermite_polynomial_h_kernel_cudaERNS_18TensorIteratorBaseEENKUlvE_clEvENKUlvE0_clEvEUlffE_EESt5arrayIPcLm2EELi4E23TrivialOffsetCalculatorILi1EjESE_NS0_6memory15LoadWithoutCastENSF_16StoreWithoutCastEEEviT_T0_T2_T3_T4_T5_,comdat
	.globl	_ZN2at6native27unrolled_elementwise_kernelINS0_13AUnaryFunctorIfffZZZNS0_12_GLOBAL__N_132hermite_polynomial_h_kernel_cudaERNS_18TensorIteratorBaseEENKUlvE_clEvENKUlvE0_clEvEUlffE_EESt5arrayIPcLm2EELi4E23TrivialOffsetCalculatorILi1EjESE_NS0_6memory15LoadWithoutCastENSF_16StoreWithoutCastEEEviT_T0_T2_T3_T4_T5_ ; -- Begin function _ZN2at6native27unrolled_elementwise_kernelINS0_13AUnaryFunctorIfffZZZNS0_12_GLOBAL__N_132hermite_polynomial_h_kernel_cudaERNS_18TensorIteratorBaseEENKUlvE_clEvENKUlvE0_clEvEUlffE_EESt5arrayIPcLm2EELi4E23TrivialOffsetCalculatorILi1EjESE_NS0_6memory15LoadWithoutCastENSF_16StoreWithoutCastEEEviT_T0_T2_T3_T4_T5_
	.p2align	8
	.type	_ZN2at6native27unrolled_elementwise_kernelINS0_13AUnaryFunctorIfffZZZNS0_12_GLOBAL__N_132hermite_polynomial_h_kernel_cudaERNS_18TensorIteratorBaseEENKUlvE_clEvENKUlvE0_clEvEUlffE_EESt5arrayIPcLm2EELi4E23TrivialOffsetCalculatorILi1EjESE_NS0_6memory15LoadWithoutCastENSF_16StoreWithoutCastEEEviT_T0_T2_T3_T4_T5_,@function
_ZN2at6native27unrolled_elementwise_kernelINS0_13AUnaryFunctorIfffZZZNS0_12_GLOBAL__N_132hermite_polynomial_h_kernel_cudaERNS_18TensorIteratorBaseEENKUlvE_clEvENKUlvE0_clEvEUlffE_EESt5arrayIPcLm2EELi4E23TrivialOffsetCalculatorILi1EjESE_NS0_6memory15LoadWithoutCastENSF_16StoreWithoutCastEEEviT_T0_T2_T3_T4_T5_: ; @_ZN2at6native27unrolled_elementwise_kernelINS0_13AUnaryFunctorIfffZZZNS0_12_GLOBAL__N_132hermite_polynomial_h_kernel_cudaERNS_18TensorIteratorBaseEENKUlvE_clEvENKUlvE0_clEvEUlffE_EESt5arrayIPcLm2EELi4E23TrivialOffsetCalculatorILi1EjESE_NS0_6memory15LoadWithoutCastENSF_16StoreWithoutCastEEEviT_T0_T2_T3_T4_T5_
; %bb.0:
	s_clause 0x1
	s_load_b32 s2, s[0:1], 0x0
	s_load_b128 s[4:7], s[0:1], 0x10
	s_lshl_b32 s8, s15, 10
	v_dual_mov_b32 v7, 0 :: v_dual_mov_b32 v6, 0
	v_or_b32_e32 v5, s8, v0
	v_or_b32_e32 v8, 0x100, v0
	v_mov_b32_e32 v1, v0
	s_waitcnt lgkmcnt(0)
	s_sub_i32 s9, s2, s8
	s_delay_alu instid0(SALU_CYCLE_1)
	v_cmp_gt_i32_e32 vcc_lo, s9, v0
	s_and_saveexec_b32 s3, vcc_lo
	s_cbranch_execz .LBB28_2
; %bb.1:
	v_mov_b32_e32 v6, 0
	s_delay_alu instid0(VALU_DEP_1) | instskip(NEXT) | instid1(VALU_DEP_1)
	v_lshlrev_b64 v[1:2], 2, v[5:6]
	v_add_co_u32 v1, s2, s6, v1
	s_delay_alu instid0(VALU_DEP_1)
	v_add_co_ci_u32_e64 v2, s2, s7, v2, s2
	global_load_b32 v6, v[1:2], off
	v_or_b32_e32 v1, 0x100, v0
.LBB28_2:
	s_or_b32 exec_lo, exec_lo, s3
	s_delay_alu instid0(SALU_CYCLE_1) | instskip(NEXT) | instid1(VALU_DEP_1)
	s_mov_b32 s3, exec_lo
	v_cmpx_gt_i32_e64 s9, v1
	s_cbranch_execz .LBB28_4
; %bb.3:
	v_dual_mov_b32 v3, 0 :: v_dual_add_nc_u32 v2, s8, v1
	v_add_nc_u32_e32 v1, 0x100, v1
	s_delay_alu instid0(VALU_DEP_2) | instskip(NEXT) | instid1(VALU_DEP_1)
	v_lshlrev_b64 v[2:3], 2, v[2:3]
	v_add_co_u32 v2, s2, s6, v2
	s_delay_alu instid0(VALU_DEP_1)
	v_add_co_ci_u32_e64 v3, s2, s7, v3, s2
	global_load_b32 v7, v[2:3], off
.LBB28_4:
	s_or_b32 exec_lo, exec_lo, s3
	v_dual_mov_b32 v10, 0 :: v_dual_mov_b32 v11, 0
	s_mov_b32 s3, exec_lo
	v_cmpx_gt_i32_e64 s9, v1
	s_cbranch_execz .LBB28_6
; %bb.5:
	v_dual_mov_b32 v3, 0 :: v_dual_add_nc_u32 v2, s8, v1
	v_add_nc_u32_e32 v1, 0x100, v1
	s_delay_alu instid0(VALU_DEP_2) | instskip(NEXT) | instid1(VALU_DEP_1)
	v_lshlrev_b64 v[2:3], 2, v[2:3]
	v_add_co_u32 v2, s2, s6, v2
	s_delay_alu instid0(VALU_DEP_1)
	v_add_co_ci_u32_e64 v3, s2, s7, v3, s2
	global_load_b32 v11, v[2:3], off
.LBB28_6:
	s_or_b32 exec_lo, exec_lo, s3
	s_load_b32 s1, s[0:1], 0x8
	s_mov_b32 s2, exec_lo
	v_cmpx_gt_i32_e64 s9, v1
	s_cbranch_execz .LBB28_8
; %bb.7:
	v_dual_mov_b32 v2, 0 :: v_dual_add_nc_u32 v1, s8, v1
	s_delay_alu instid0(VALU_DEP_1) | instskip(NEXT) | instid1(VALU_DEP_1)
	v_lshlrev_b64 v[1:2], 2, v[1:2]
	v_add_co_u32 v1, s0, s6, v1
	s_delay_alu instid0(VALU_DEP_1)
	v_add_co_ci_u32_e64 v2, s0, s7, v2, s0
	global_load_b32 v10, v[1:2], off
.LBB28_8:
	s_or_b32 exec_lo, exec_lo, s2
	s_waitcnt lgkmcnt(0)
	v_add_f32_e64 v9, s1, s1
                                        ; implicit-def: $vgpr1_vgpr2_vgpr3_vgpr4
	s_and_saveexec_b32 s1, vcc_lo
	s_cbranch_execz .LBB28_22
; %bb.9:
	s_waitcnt vmcnt(0)
	v_trunc_f32_e32 v1, v6
	s_mov_b32 s6, exec_lo
	s_delay_alu instid0(VALU_DEP_1) | instskip(NEXT) | instid1(VALU_DEP_1)
	v_mul_f32_e64 v2, 0x2f800000, |v1|
	v_floor_f32_e32 v2, v2
	s_delay_alu instid0(VALU_DEP_1) | instskip(SKIP_2) | instid1(VALU_DEP_3)
	v_fma_f32 v3, 0xcf800000, v2, |v1|
	v_ashrrev_i32_e32 v1, 31, v1
	v_cvt_u32_f32_e32 v2, v2
	v_cvt_u32_f32_e32 v3, v3
	s_delay_alu instid0(VALU_DEP_2) | instskip(NEXT) | instid1(VALU_DEP_2)
	v_xor_b32_e32 v2, v2, v1
	v_xor_b32_e32 v3, v3, v1
	s_delay_alu instid0(VALU_DEP_1) | instskip(NEXT) | instid1(VALU_DEP_1)
	v_sub_co_u32 v4, s0, v3, v1
	v_sub_co_ci_u32_e64 v1, s0, v2, v1, s0
	v_cmp_class_f32_e64 s0, v6, 0x1f8
	s_delay_alu instid0(VALU_DEP_1) | instskip(NEXT) | instid1(VALU_DEP_4)
	v_cndmask_b32_e64 v3, -1, v1, s0
	v_cndmask_b32_e64 v2, -1, v4, s0
	v_mov_b32_e32 v1, 0
	s_delay_alu instid0(VALU_DEP_2)
	v_cmpx_lt_i64_e32 -1, v[2:3]
	s_cbranch_execz .LBB28_21
; %bb.10:
	v_mov_b32_e32 v1, 1.0
	s_mov_b32 s7, exec_lo
	v_cmpx_lt_i64_e32 0, v[2:3]
	s_cbranch_execz .LBB28_20
; %bb.11:
                                        ; implicit-def: $vgpr1
	s_mov_b32 s2, exec_lo
	v_cmpx_ne_u64_e32 1, v[2:3]
	s_xor_b32 s10, exec_lo, s2
	s_cbranch_execz .LBB28_17
; %bb.12:
	v_mov_b32_e32 v1, 0x7fc00000
	s_mov_b32 s11, exec_lo
	v_cmpx_gt_u64_e32 0x81, v[2:3]
	s_cbranch_execz .LBB28_16
; %bb.13:
	v_lshlrev_b64 v[2:3], 1, v[2:3]
	v_dual_mov_b32 v4, 1.0 :: v_dual_mov_b32 v1, v9
	s_mov_b64 s[2:3], 2
	s_mov_b32 s12, 0
	.p2align	6
.LBB28_14:                              ; =>This Inner Loop Header: Depth=1
	s_clz_i32_u32 s0, s3
	s_delay_alu instid0(SALU_CYCLE_1) | instskip(NEXT) | instid1(SALU_CYCLE_1)
	s_min_u32 s0, s0, 32
	s_lshl_b64 s[14:15], s[2:3], s0
	s_sub_i32 s0, 32, s0
	s_min_u32 s13, s14, 1
	s_delay_alu instid0(SALU_CYCLE_1) | instskip(SKIP_3) | instid1(VALU_DEP_1)
	s_or_b32 s13, s15, s13
	s_add_u32 s2, s2, 2
	v_cvt_f32_u32_e32 v6, s13
	s_addc_u32 s3, s3, 0
	v_ldexp_f32 v6, v6, s0
	v_cmp_ge_u64_e64 s0, s[2:3], v[2:3]
	s_delay_alu instid0(VALU_DEP_2) | instskip(SKIP_1) | instid1(VALU_DEP_3)
	v_mul_f32_e32 v6, v4, v6
	v_mov_b32_e32 v4, v1
	s_or_b32 s12, s0, s12
	s_delay_alu instid0(VALU_DEP_2)
	v_fma_f32 v1, v9, v1, -v6
	s_and_not1_b32 exec_lo, exec_lo, s12
	s_cbranch_execnz .LBB28_14
; %bb.15:
	s_or_b32 exec_lo, exec_lo, s12
.LBB28_16:
	s_delay_alu instid0(SALU_CYCLE_1)
	s_or_b32 exec_lo, exec_lo, s11
.LBB28_17:
	s_and_not1_saveexec_b32 s0, s10
; %bb.18:
	v_mov_b32_e32 v1, v9
; %bb.19:
	s_or_b32 exec_lo, exec_lo, s0
.LBB28_20:
	s_delay_alu instid0(SALU_CYCLE_1)
	s_or_b32 exec_lo, exec_lo, s7
.LBB28_21:
	s_delay_alu instid0(SALU_CYCLE_1) | instskip(NEXT) | instid1(SALU_CYCLE_1)
	s_or_b32 exec_lo, exec_lo, s6
	s_or_b32 exec_lo, exec_lo, s1
	s_delay_alu instid0(SALU_CYCLE_1)
	s_mov_b32 s1, exec_lo
	v_cmpx_gt_i32_e64 s9, v8
	s_cbranch_execz .LBB28_36
	s_branch .LBB28_23
.LBB28_22:
	s_or_b32 exec_lo, exec_lo, s1
	s_delay_alu instid0(SALU_CYCLE_1)
	s_mov_b32 s1, exec_lo
	v_cmpx_gt_i32_e64 s9, v8
	s_cbranch_execz .LBB28_36
.LBB28_23:
	s_waitcnt vmcnt(0)
	v_trunc_f32_e32 v2, v7
	s_mov_b32 s6, exec_lo
	s_delay_alu instid0(VALU_DEP_1) | instskip(NEXT) | instid1(VALU_DEP_1)
	v_mul_f32_e64 v6, 0x2f800000, |v2|
	v_floor_f32_e32 v6, v6
	s_delay_alu instid0(VALU_DEP_1) | instskip(SKIP_2) | instid1(VALU_DEP_3)
	v_fma_f32 v12, 0xcf800000, v6, |v2|
	v_ashrrev_i32_e32 v2, 31, v2
	v_cvt_u32_f32_e32 v6, v6
	v_cvt_u32_f32_e32 v12, v12
	s_delay_alu instid0(VALU_DEP_2) | instskip(NEXT) | instid1(VALU_DEP_2)
	v_xor_b32_e32 v6, v6, v2
	v_xor_b32_e32 v12, v12, v2
	s_delay_alu instid0(VALU_DEP_1) | instskip(NEXT) | instid1(VALU_DEP_1)
	v_sub_co_u32 v12, s0, v12, v2
	v_sub_co_ci_u32_e64 v2, s0, v6, v2, s0
	v_cmp_class_f32_e64 s0, v7, 0x1f8
	s_delay_alu instid0(VALU_DEP_1) | instskip(NEXT) | instid1(VALU_DEP_4)
	v_cndmask_b32_e64 v7, -1, v2, s0
	v_cndmask_b32_e64 v6, -1, v12, s0
	v_mov_b32_e32 v2, 0
	s_delay_alu instid0(VALU_DEP_2)
	v_cmpx_lt_i64_e32 -1, v[6:7]
	s_cbranch_execz .LBB28_35
; %bb.24:
	v_mov_b32_e32 v2, 1.0
	s_mov_b32 s7, exec_lo
	v_cmpx_lt_i64_e32 0, v[6:7]
	s_cbranch_execz .LBB28_34
; %bb.25:
	s_mov_b32 s2, exec_lo
	v_cmpx_ne_u64_e32 1, v[6:7]
	s_xor_b32 s10, exec_lo, s2
	s_cbranch_execz .LBB28_31
; %bb.26:
	v_mov_b32_e32 v2, 0x7fc00000
	s_mov_b32 s11, exec_lo
	v_cmpx_gt_u64_e32 0x81, v[6:7]
	s_cbranch_execz .LBB28_30
; %bb.27:
	v_lshlrev_b64 v[6:7], 1, v[6:7]
	v_mov_b32_e32 v12, 1.0
	v_mov_b32_e32 v2, v9
	s_mov_b64 s[2:3], 2
	s_mov_b32 s12, 0
	.p2align	6
.LBB28_28:                              ; =>This Inner Loop Header: Depth=1
	s_clz_i32_u32 s0, s3
	s_delay_alu instid0(SALU_CYCLE_1) | instskip(NEXT) | instid1(SALU_CYCLE_1)
	s_min_u32 s0, s0, 32
	s_lshl_b64 s[14:15], s[2:3], s0
	s_sub_i32 s0, 32, s0
	s_min_u32 s13, s14, 1
	s_delay_alu instid0(SALU_CYCLE_1) | instskip(SKIP_3) | instid1(VALU_DEP_1)
	s_or_b32 s13, s15, s13
	s_add_u32 s2, s2, 2
	v_cvt_f32_u32_e32 v13, s13
	s_addc_u32 s3, s3, 0
	v_ldexp_f32 v13, v13, s0
	v_cmp_ge_u64_e64 s0, s[2:3], v[6:7]
	s_delay_alu instid0(VALU_DEP_2) | instskip(NEXT) | instid1(VALU_DEP_2)
	v_dual_mul_f32 v13, v12, v13 :: v_dual_mov_b32 v12, v2
	s_or_b32 s12, s0, s12
	s_delay_alu instid0(VALU_DEP_1)
	v_fma_f32 v2, v9, v2, -v13
	s_and_not1_b32 exec_lo, exec_lo, s12
	s_cbranch_execnz .LBB28_28
; %bb.29:
	s_or_b32 exec_lo, exec_lo, s12
.LBB28_30:
	s_delay_alu instid0(SALU_CYCLE_1)
	s_or_b32 exec_lo, exec_lo, s11
.LBB28_31:
	s_and_not1_saveexec_b32 s0, s10
; %bb.32:
	v_mov_b32_e32 v2, v9
; %bb.33:
	s_or_b32 exec_lo, exec_lo, s0
.LBB28_34:
	s_delay_alu instid0(SALU_CYCLE_1)
	s_or_b32 exec_lo, exec_lo, s7
.LBB28_35:
	s_delay_alu instid0(SALU_CYCLE_1)
	s_or_b32 exec_lo, exec_lo, s6
.LBB28_36:
	s_delay_alu instid0(SALU_CYCLE_1) | instskip(SKIP_3) | instid1(VALU_DEP_1)
	s_or_b32 exec_lo, exec_lo, s1
	s_waitcnt vmcnt(0)
	v_or_b32_e32 v6, 0x200, v0
	s_mov_b32 s1, exec_lo
	v_cmpx_gt_i32_e64 s9, v6
	s_cbranch_execz .LBB28_50
; %bb.37:
	v_trunc_f32_e32 v3, v11
	s_mov_b32 s6, exec_lo
	s_delay_alu instid0(VALU_DEP_1) | instskip(NEXT) | instid1(VALU_DEP_1)
	v_mul_f32_e64 v6, 0x2f800000, |v3|
	v_floor_f32_e32 v6, v6
	s_delay_alu instid0(VALU_DEP_1) | instskip(SKIP_2) | instid1(VALU_DEP_3)
	v_fma_f32 v7, 0xcf800000, v6, |v3|
	v_ashrrev_i32_e32 v3, 31, v3
	v_cvt_u32_f32_e32 v6, v6
	v_cvt_u32_f32_e32 v7, v7
	s_delay_alu instid0(VALU_DEP_2) | instskip(NEXT) | instid1(VALU_DEP_2)
	v_xor_b32_e32 v6, v6, v3
	v_xor_b32_e32 v7, v7, v3
	s_delay_alu instid0(VALU_DEP_1) | instskip(NEXT) | instid1(VALU_DEP_1)
	v_sub_co_u32 v12, s0, v7, v3
	v_sub_co_ci_u32_e64 v3, s0, v6, v3, s0
	v_cmp_class_f32_e64 s0, v11, 0x1f8
	s_delay_alu instid0(VALU_DEP_1) | instskip(NEXT) | instid1(VALU_DEP_4)
	v_cndmask_b32_e64 v7, -1, v3, s0
	v_cndmask_b32_e64 v6, -1, v12, s0
	v_mov_b32_e32 v3, 0
	s_delay_alu instid0(VALU_DEP_2)
	v_cmpx_lt_i64_e32 -1, v[6:7]
	s_cbranch_execz .LBB28_49
; %bb.38:
	v_mov_b32_e32 v3, 1.0
	s_mov_b32 s7, exec_lo
	v_cmpx_lt_i64_e32 0, v[6:7]
	s_cbranch_execz .LBB28_48
; %bb.39:
	s_mov_b32 s2, exec_lo
	v_cmpx_ne_u64_e32 1, v[6:7]
	s_xor_b32 s10, exec_lo, s2
	s_cbranch_execz .LBB28_45
; %bb.40:
	v_mov_b32_e32 v3, 0x7fc00000
	s_mov_b32 s11, exec_lo
	v_cmpx_gt_u64_e32 0x81, v[6:7]
	s_cbranch_execz .LBB28_44
; %bb.41:
	v_lshlrev_b64 v[6:7], 1, v[6:7]
	v_mov_b32_e32 v11, 1.0
	v_mov_b32_e32 v3, v9
	s_mov_b64 s[2:3], 2
	s_mov_b32 s12, 0
	.p2align	6
.LBB28_42:                              ; =>This Inner Loop Header: Depth=1
	s_clz_i32_u32 s0, s3
	s_delay_alu instid0(SALU_CYCLE_1) | instskip(NEXT) | instid1(SALU_CYCLE_1)
	s_min_u32 s0, s0, 32
	s_lshl_b64 s[14:15], s[2:3], s0
	s_sub_i32 s0, 32, s0
	s_min_u32 s13, s14, 1
	s_delay_alu instid0(SALU_CYCLE_1) | instskip(SKIP_3) | instid1(VALU_DEP_1)
	s_or_b32 s13, s15, s13
	s_add_u32 s2, s2, 2
	v_cvt_f32_u32_e32 v12, s13
	s_addc_u32 s3, s3, 0
	v_ldexp_f32 v12, v12, s0
	v_cmp_ge_u64_e64 s0, s[2:3], v[6:7]
	s_delay_alu instid0(VALU_DEP_2) | instskip(SKIP_1) | instid1(VALU_DEP_3)
	v_mul_f32_e32 v12, v11, v12
	v_mov_b32_e32 v11, v3
	s_or_b32 s12, s0, s12
	s_delay_alu instid0(VALU_DEP_2)
	v_fma_f32 v3, v9, v3, -v12
	s_and_not1_b32 exec_lo, exec_lo, s12
	s_cbranch_execnz .LBB28_42
; %bb.43:
	s_or_b32 exec_lo, exec_lo, s12
.LBB28_44:
	s_delay_alu instid0(SALU_CYCLE_1)
	s_or_b32 exec_lo, exec_lo, s11
.LBB28_45:
	s_and_not1_saveexec_b32 s0, s10
; %bb.46:
	v_mov_b32_e32 v3, v9
; %bb.47:
	s_or_b32 exec_lo, exec_lo, s0
.LBB28_48:
	s_delay_alu instid0(SALU_CYCLE_1)
	s_or_b32 exec_lo, exec_lo, s7
.LBB28_49:
	s_delay_alu instid0(SALU_CYCLE_1)
	s_or_b32 exec_lo, exec_lo, s6
.LBB28_50:
	s_delay_alu instid0(SALU_CYCLE_1) | instskip(SKIP_2) | instid1(VALU_DEP_1)
	s_or_b32 exec_lo, exec_lo, s1
	v_or_b32_e32 v6, 0x300, v0
	s_mov_b32 s1, exec_lo
	v_cmpx_gt_i32_e64 s9, v6
	s_cbranch_execz .LBB28_68
; %bb.51:
	v_trunc_f32_e32 v4, v10
	s_mov_b32 s6, exec_lo
	s_delay_alu instid0(VALU_DEP_1) | instskip(NEXT) | instid1(VALU_DEP_1)
	v_mul_f32_e64 v6, 0x2f800000, |v4|
	v_floor_f32_e32 v6, v6
	s_delay_alu instid0(VALU_DEP_1) | instskip(SKIP_2) | instid1(VALU_DEP_3)
	v_fma_f32 v7, 0xcf800000, v6, |v4|
	v_ashrrev_i32_e32 v4, 31, v4
	v_cvt_u32_f32_e32 v6, v6
	v_cvt_u32_f32_e32 v7, v7
	s_delay_alu instid0(VALU_DEP_2) | instskip(NEXT) | instid1(VALU_DEP_2)
	v_xor_b32_e32 v6, v6, v4
	v_xor_b32_e32 v7, v7, v4
	s_delay_alu instid0(VALU_DEP_1) | instskip(NEXT) | instid1(VALU_DEP_1)
	v_sub_co_u32 v11, s0, v7, v4
	v_sub_co_ci_u32_e64 v4, s0, v6, v4, s0
	v_cmp_class_f32_e64 s0, v10, 0x1f8
	s_delay_alu instid0(VALU_DEP_1) | instskip(NEXT) | instid1(VALU_DEP_4)
	v_cndmask_b32_e64 v7, -1, v4, s0
	v_cndmask_b32_e64 v6, -1, v11, s0
	v_mov_b32_e32 v4, 0
	s_delay_alu instid0(VALU_DEP_2)
	v_cmpx_lt_i64_e32 -1, v[6:7]
	s_cbranch_execz .LBB28_63
; %bb.52:
	v_mov_b32_e32 v4, 1.0
	s_mov_b32 s7, exec_lo
	v_cmpx_lt_i64_e32 0, v[6:7]
	s_cbranch_execz .LBB28_62
; %bb.53:
	s_mov_b32 s2, exec_lo
	v_cmpx_ne_u64_e32 1, v[6:7]
	s_xor_b32 s10, exec_lo, s2
	s_cbranch_execz .LBB28_59
; %bb.54:
	v_mov_b32_e32 v4, 0x7fc00000
	s_mov_b32 s11, exec_lo
	v_cmpx_gt_u64_e32 0x81, v[6:7]
	s_cbranch_execz .LBB28_58
; %bb.55:
	v_lshlrev_b64 v[6:7], 1, v[6:7]
	v_mov_b32_e32 v10, 1.0
	v_mov_b32_e32 v4, v9
	s_mov_b64 s[2:3], 2
	s_mov_b32 s12, 0
	.p2align	6
.LBB28_56:                              ; =>This Inner Loop Header: Depth=1
	s_clz_i32_u32 s0, s3
	s_delay_alu instid0(SALU_CYCLE_1) | instskip(NEXT) | instid1(SALU_CYCLE_1)
	s_min_u32 s0, s0, 32
	s_lshl_b64 s[14:15], s[2:3], s0
	s_sub_i32 s0, 32, s0
	s_min_u32 s13, s14, 1
	s_delay_alu instid0(SALU_CYCLE_1) | instskip(SKIP_3) | instid1(VALU_DEP_1)
	s_or_b32 s13, s15, s13
	s_add_u32 s2, s2, 2
	v_cvt_f32_u32_e32 v11, s13
	s_addc_u32 s3, s3, 0
	v_ldexp_f32 v11, v11, s0
	v_cmp_ge_u64_e64 s0, s[2:3], v[6:7]
	s_delay_alu instid0(VALU_DEP_2) | instskip(NEXT) | instid1(VALU_DEP_2)
	v_dual_mul_f32 v11, v10, v11 :: v_dual_mov_b32 v10, v4
	s_or_b32 s12, s0, s12
	s_delay_alu instid0(VALU_DEP_1)
	v_fma_f32 v4, v9, v4, -v11
	s_and_not1_b32 exec_lo, exec_lo, s12
	s_cbranch_execnz .LBB28_56
; %bb.57:
	s_or_b32 exec_lo, exec_lo, s12
.LBB28_58:
	s_delay_alu instid0(SALU_CYCLE_1)
	s_or_b32 exec_lo, exec_lo, s11
                                        ; implicit-def: $vgpr9
.LBB28_59:
	s_and_not1_saveexec_b32 s0, s10
; %bb.60:
	v_mov_b32_e32 v4, v9
; %bb.61:
	s_or_b32 exec_lo, exec_lo, s0
.LBB28_62:
	s_delay_alu instid0(SALU_CYCLE_1)
	s_or_b32 exec_lo, exec_lo, s7
.LBB28_63:
	s_delay_alu instid0(SALU_CYCLE_1) | instskip(NEXT) | instid1(SALU_CYCLE_1)
	s_or_b32 exec_lo, exec_lo, s6
	s_or_b32 exec_lo, exec_lo, s1
	s_and_saveexec_b32 s0, vcc_lo
	s_delay_alu instid0(SALU_CYCLE_1)
	s_xor_b32 s0, exec_lo, s0
	s_cbranch_execnz .LBB28_69
.LBB28_64:
	s_or_b32 exec_lo, exec_lo, s0
	s_delay_alu instid0(SALU_CYCLE_1)
	s_mov_b32 s0, exec_lo
	v_cmpx_gt_i32_e64 s9, v0
	s_cbranch_execz .LBB28_70
.LBB28_65:
	v_dual_mov_b32 v6, 0 :: v_dual_add_nc_u32 v5, s8, v0
	v_add_nc_u32_e32 v0, 0x100, v0
	s_delay_alu instid0(VALU_DEP_2) | instskip(NEXT) | instid1(VALU_DEP_1)
	v_lshlrev_b64 v[5:6], 2, v[5:6]
	v_add_co_u32 v5, vcc_lo, s4, v5
	s_delay_alu instid0(VALU_DEP_2) | instskip(SKIP_2) | instid1(SALU_CYCLE_1)
	v_add_co_ci_u32_e32 v6, vcc_lo, s5, v6, vcc_lo
	global_store_b32 v[5:6], v2, off
	s_or_b32 exec_lo, exec_lo, s0
	s_mov_b32 s0, exec_lo
	v_cmpx_gt_i32_e64 s9, v0
	s_cbranch_execnz .LBB28_71
.LBB28_66:
	s_or_b32 exec_lo, exec_lo, s0
	s_delay_alu instid0(SALU_CYCLE_1)
	s_mov_b32 s0, exec_lo
	v_cmpx_gt_i32_e64 s9, v0
	s_cbranch_execz .LBB28_72
.LBB28_67:
	v_dual_mov_b32 v1, 0 :: v_dual_add_nc_u32 v0, s8, v0
	s_delay_alu instid0(VALU_DEP_1) | instskip(NEXT) | instid1(VALU_DEP_1)
	v_lshlrev_b64 v[0:1], 2, v[0:1]
	v_add_co_u32 v0, vcc_lo, s4, v0
	s_delay_alu instid0(VALU_DEP_2)
	v_add_co_ci_u32_e32 v1, vcc_lo, s5, v1, vcc_lo
	global_store_b32 v[0:1], v4, off
	s_nop 0
	s_sendmsg sendmsg(MSG_DEALLOC_VGPRS)
	s_endpgm
.LBB28_68:
	s_or_b32 exec_lo, exec_lo, s1
	s_and_saveexec_b32 s0, vcc_lo
	s_delay_alu instid0(SALU_CYCLE_1)
	s_xor_b32 s0, exec_lo, s0
	s_cbranch_execz .LBB28_64
.LBB28_69:
	v_mov_b32_e32 v6, 0
	v_mov_b32_e32 v0, v8
	s_delay_alu instid0(VALU_DEP_2) | instskip(NEXT) | instid1(VALU_DEP_1)
	v_lshlrev_b64 v[5:6], 2, v[5:6]
	v_add_co_u32 v5, vcc_lo, s4, v5
	s_delay_alu instid0(VALU_DEP_2) | instskip(SKIP_2) | instid1(SALU_CYCLE_1)
	v_add_co_ci_u32_e32 v6, vcc_lo, s5, v6, vcc_lo
	global_store_b32 v[5:6], v1, off
	s_or_b32 exec_lo, exec_lo, s0
	s_mov_b32 s0, exec_lo
	v_cmpx_gt_i32_e64 s9, v0
	s_cbranch_execnz .LBB28_65
.LBB28_70:
	s_or_b32 exec_lo, exec_lo, s0
	s_delay_alu instid0(SALU_CYCLE_1)
	s_mov_b32 s0, exec_lo
	v_cmpx_gt_i32_e64 s9, v0
	s_cbranch_execz .LBB28_66
.LBB28_71:
	v_dual_mov_b32 v2, 0 :: v_dual_add_nc_u32 v1, s8, v0
	v_add_nc_u32_e32 v0, 0x100, v0
	s_delay_alu instid0(VALU_DEP_2) | instskip(NEXT) | instid1(VALU_DEP_1)
	v_lshlrev_b64 v[1:2], 2, v[1:2]
	v_add_co_u32 v1, vcc_lo, s4, v1
	s_delay_alu instid0(VALU_DEP_2) | instskip(SKIP_2) | instid1(SALU_CYCLE_1)
	v_add_co_ci_u32_e32 v2, vcc_lo, s5, v2, vcc_lo
	global_store_b32 v[1:2], v3, off
	s_or_b32 exec_lo, exec_lo, s0
	s_mov_b32 s0, exec_lo
	v_cmpx_gt_i32_e64 s9, v0
	s_cbranch_execnz .LBB28_67
.LBB28_72:
	s_nop 0
	s_sendmsg sendmsg(MSG_DEALLOC_VGPRS)
	s_endpgm
	.section	.rodata,"a",@progbits
	.p2align	6, 0x0
	.amdhsa_kernel _ZN2at6native27unrolled_elementwise_kernelINS0_13AUnaryFunctorIfffZZZNS0_12_GLOBAL__N_132hermite_polynomial_h_kernel_cudaERNS_18TensorIteratorBaseEENKUlvE_clEvENKUlvE0_clEvEUlffE_EESt5arrayIPcLm2EELi4E23TrivialOffsetCalculatorILi1EjESE_NS0_6memory15LoadWithoutCastENSF_16StoreWithoutCastEEEviT_T0_T2_T3_T4_T5_
		.amdhsa_group_segment_fixed_size 0
		.amdhsa_private_segment_fixed_size 0
		.amdhsa_kernarg_size 36
		.amdhsa_user_sgpr_count 15
		.amdhsa_user_sgpr_dispatch_ptr 0
		.amdhsa_user_sgpr_queue_ptr 0
		.amdhsa_user_sgpr_kernarg_segment_ptr 1
		.amdhsa_user_sgpr_dispatch_id 0
		.amdhsa_user_sgpr_private_segment_size 0
		.amdhsa_wavefront_size32 1
		.amdhsa_uses_dynamic_stack 0
		.amdhsa_enable_private_segment 0
		.amdhsa_system_sgpr_workgroup_id_x 1
		.amdhsa_system_sgpr_workgroup_id_y 0
		.amdhsa_system_sgpr_workgroup_id_z 0
		.amdhsa_system_sgpr_workgroup_info 0
		.amdhsa_system_vgpr_workitem_id 0
		.amdhsa_next_free_vgpr 14
		.amdhsa_next_free_sgpr 16
		.amdhsa_reserve_vcc 1
		.amdhsa_float_round_mode_32 0
		.amdhsa_float_round_mode_16_64 0
		.amdhsa_float_denorm_mode_32 3
		.amdhsa_float_denorm_mode_16_64 3
		.amdhsa_dx10_clamp 1
		.amdhsa_ieee_mode 1
		.amdhsa_fp16_overflow 0
		.amdhsa_workgroup_processor_mode 1
		.amdhsa_memory_ordered 1
		.amdhsa_forward_progress 0
		.amdhsa_shared_vgpr_count 0
		.amdhsa_exception_fp_ieee_invalid_op 0
		.amdhsa_exception_fp_denorm_src 0
		.amdhsa_exception_fp_ieee_div_zero 0
		.amdhsa_exception_fp_ieee_overflow 0
		.amdhsa_exception_fp_ieee_underflow 0
		.amdhsa_exception_fp_ieee_inexact 0
		.amdhsa_exception_int_div_zero 0
	.end_amdhsa_kernel
	.section	.text._ZN2at6native27unrolled_elementwise_kernelINS0_13AUnaryFunctorIfffZZZNS0_12_GLOBAL__N_132hermite_polynomial_h_kernel_cudaERNS_18TensorIteratorBaseEENKUlvE_clEvENKUlvE0_clEvEUlffE_EESt5arrayIPcLm2EELi4E23TrivialOffsetCalculatorILi1EjESE_NS0_6memory15LoadWithoutCastENSF_16StoreWithoutCastEEEviT_T0_T2_T3_T4_T5_,"axG",@progbits,_ZN2at6native27unrolled_elementwise_kernelINS0_13AUnaryFunctorIfffZZZNS0_12_GLOBAL__N_132hermite_polynomial_h_kernel_cudaERNS_18TensorIteratorBaseEENKUlvE_clEvENKUlvE0_clEvEUlffE_EESt5arrayIPcLm2EELi4E23TrivialOffsetCalculatorILi1EjESE_NS0_6memory15LoadWithoutCastENSF_16StoreWithoutCastEEEviT_T0_T2_T3_T4_T5_,comdat
.Lfunc_end28:
	.size	_ZN2at6native27unrolled_elementwise_kernelINS0_13AUnaryFunctorIfffZZZNS0_12_GLOBAL__N_132hermite_polynomial_h_kernel_cudaERNS_18TensorIteratorBaseEENKUlvE_clEvENKUlvE0_clEvEUlffE_EESt5arrayIPcLm2EELi4E23TrivialOffsetCalculatorILi1EjESE_NS0_6memory15LoadWithoutCastENSF_16StoreWithoutCastEEEviT_T0_T2_T3_T4_T5_, .Lfunc_end28-_ZN2at6native27unrolled_elementwise_kernelINS0_13AUnaryFunctorIfffZZZNS0_12_GLOBAL__N_132hermite_polynomial_h_kernel_cudaERNS_18TensorIteratorBaseEENKUlvE_clEvENKUlvE0_clEvEUlffE_EESt5arrayIPcLm2EELi4E23TrivialOffsetCalculatorILi1EjESE_NS0_6memory15LoadWithoutCastENSF_16StoreWithoutCastEEEviT_T0_T2_T3_T4_T5_
                                        ; -- End function
	.section	.AMDGPU.csdata,"",@progbits
; Kernel info:
; codeLenInByte = 2312
; NumSgprs: 18
; NumVgprs: 14
; ScratchSize: 0
; MemoryBound: 0
; FloatMode: 240
; IeeeMode: 1
; LDSByteSize: 0 bytes/workgroup (compile time only)
; SGPRBlocks: 2
; VGPRBlocks: 1
; NumSGPRsForWavesPerEU: 18
; NumVGPRsForWavesPerEU: 14
; Occupancy: 16
; WaveLimiterHint : 0
; COMPUTE_PGM_RSRC2:SCRATCH_EN: 0
; COMPUTE_PGM_RSRC2:USER_SGPR: 15
; COMPUTE_PGM_RSRC2:TRAP_HANDLER: 0
; COMPUTE_PGM_RSRC2:TGID_X_EN: 1
; COMPUTE_PGM_RSRC2:TGID_Y_EN: 0
; COMPUTE_PGM_RSRC2:TGID_Z_EN: 0
; COMPUTE_PGM_RSRC2:TIDIG_COMP_CNT: 0
	.section	.text._ZN2at6native32elementwise_kernel_manual_unrollILi128ELi4EZNS0_22gpu_kernel_impl_nocastINS0_13AUnaryFunctorIfffZZZNS0_12_GLOBAL__N_132hermite_polynomial_h_kernel_cudaERNS_18TensorIteratorBaseEENKUlvE_clEvENKUlvE0_clEvEUlffE_EEEEvS6_RKT_EUlibE_EEviT1_,"axG",@progbits,_ZN2at6native32elementwise_kernel_manual_unrollILi128ELi4EZNS0_22gpu_kernel_impl_nocastINS0_13AUnaryFunctorIfffZZZNS0_12_GLOBAL__N_132hermite_polynomial_h_kernel_cudaERNS_18TensorIteratorBaseEENKUlvE_clEvENKUlvE0_clEvEUlffE_EEEEvS6_RKT_EUlibE_EEviT1_,comdat
	.globl	_ZN2at6native32elementwise_kernel_manual_unrollILi128ELi4EZNS0_22gpu_kernel_impl_nocastINS0_13AUnaryFunctorIfffZZZNS0_12_GLOBAL__N_132hermite_polynomial_h_kernel_cudaERNS_18TensorIteratorBaseEENKUlvE_clEvENKUlvE0_clEvEUlffE_EEEEvS6_RKT_EUlibE_EEviT1_ ; -- Begin function _ZN2at6native32elementwise_kernel_manual_unrollILi128ELi4EZNS0_22gpu_kernel_impl_nocastINS0_13AUnaryFunctorIfffZZZNS0_12_GLOBAL__N_132hermite_polynomial_h_kernel_cudaERNS_18TensorIteratorBaseEENKUlvE_clEvENKUlvE0_clEvEUlffE_EEEEvS6_RKT_EUlibE_EEviT1_
	.p2align	8
	.type	_ZN2at6native32elementwise_kernel_manual_unrollILi128ELi4EZNS0_22gpu_kernel_impl_nocastINS0_13AUnaryFunctorIfffZZZNS0_12_GLOBAL__N_132hermite_polynomial_h_kernel_cudaERNS_18TensorIteratorBaseEENKUlvE_clEvENKUlvE0_clEvEUlffE_EEEEvS6_RKT_EUlibE_EEviT1_,@function
_ZN2at6native32elementwise_kernel_manual_unrollILi128ELi4EZNS0_22gpu_kernel_impl_nocastINS0_13AUnaryFunctorIfffZZZNS0_12_GLOBAL__N_132hermite_polynomial_h_kernel_cudaERNS_18TensorIteratorBaseEENKUlvE_clEvENKUlvE0_clEvEUlffE_EEEEvS6_RKT_EUlibE_EEviT1_: ; @_ZN2at6native32elementwise_kernel_manual_unrollILi128ELi4EZNS0_22gpu_kernel_impl_nocastINS0_13AUnaryFunctorIfffZZZNS0_12_GLOBAL__N_132hermite_polynomial_h_kernel_cudaERNS_18TensorIteratorBaseEENKUlvE_clEvENKUlvE0_clEvEUlffE_EEEEvS6_RKT_EUlibE_EEviT1_
; %bb.0:
	s_clause 0x1
	s_load_b32 s22, s[0:1], 0x8
	s_load_b32 s27, s[0:1], 0x0
	v_lshl_or_b32 v3, s15, 9, v0
	s_or_b32 s0, s0, 8
	s_mov_b32 s2, exec_lo
	s_delay_alu instid0(VALU_DEP_1) | instskip(SKIP_2) | instid1(SALU_CYCLE_1)
	v_or_b32_e32 v8, 0x180, v3
	s_waitcnt lgkmcnt(0)
	s_add_i32 s23, s22, -1
	s_cmp_gt_u32 s23, 1
	s_cselect_b32 s24, -1, 0
	v_cmpx_le_i32_e64 s27, v8
	s_xor_b32 s25, exec_lo, s2
	s_cbranch_execz .LBB29_7
; %bb.1:
	s_clause 0x4
	s_load_b32 s18, s[0:1], 0x15c
	s_load_b128 s[12:15], s[0:1], 0x4
	s_load_b64 s[2:3], s[0:1], 0x14
	s_load_b128 s[8:11], s[0:1], 0xc4
	s_load_b128 s[4:7], s[0:1], 0x148
	s_cmp_lg_u32 s22, 0
	s_mov_b32 s30, exec_lo
	s_cselect_b32 s29, -1, 0
	s_add_u32 s16, s0, 0xc4
	s_addc_u32 s17, s1, 0
	s_min_u32 s28, s23, 15
	s_cmp_gt_u32 s22, 1
	s_cselect_b32 s26, -1, 0
	s_waitcnt lgkmcnt(0)
	v_add_f32_e64 v4, s18, s18
	v_cmpx_gt_i32_e64 s27, v3
	s_cbranch_execz .LBB29_14
; %bb.2:
	s_and_not1_b32 vcc_lo, exec_lo, s24
	s_cbranch_vccnz .LBB29_21
; %bb.3:
	v_dual_mov_b32 v0, 0 :: v_dual_mov_b32 v1, 0
	s_and_not1_b32 vcc_lo, exec_lo, s29
	s_mov_b32 s31, 0
	s_cbranch_vccnz .LBB29_121
; %bb.4:
	v_mov_b32_e32 v0, 0
	s_add_i32 s34, s28, 1
	s_cmp_eq_u32 s23, 2
	s_mov_b32 s33, 0
	s_cbranch_scc1 .LBB29_117
; %bb.5:
	v_dual_mov_b32 v1, 0 :: v_dual_mov_b32 v0, 0
	v_mov_b32_e32 v2, v3
	s_and_b32 s33, s34, 28
	s_mov_b32 s35, 0
	s_mov_b64 s[18:19], s[16:17]
	s_mov_b64 s[20:21], s[0:1]
.LBB29_6:                               ; =>This Inner Loop Header: Depth=1
	s_clause 0x1
	s_load_b256 s[36:43], s[20:21], 0x4
	s_load_b128 s[52:55], s[20:21], 0x24
	s_load_b256 s[44:51], s[18:19], 0x0
	s_add_u32 s20, s20, 48
	s_addc_u32 s21, s21, 0
	s_add_i32 s35, s35, 4
	s_add_u32 s18, s18, 32
	s_addc_u32 s19, s19, 0
	s_cmp_lg_u32 s33, s35
	s_waitcnt lgkmcnt(0)
	v_mul_hi_u32 v5, s37, v2
	s_delay_alu instid0(VALU_DEP_1) | instskip(NEXT) | instid1(VALU_DEP_1)
	v_add_nc_u32_e32 v5, v2, v5
	v_lshrrev_b32_e32 v5, s38, v5
	s_delay_alu instid0(VALU_DEP_1) | instskip(SKIP_1) | instid1(VALU_DEP_2)
	v_mul_hi_u32 v6, s40, v5
	v_mul_lo_u32 v8, v5, s36
	v_add_nc_u32_e32 v6, v5, v6
	s_delay_alu instid0(VALU_DEP_2) | instskip(NEXT) | instid1(VALU_DEP_2)
	v_sub_nc_u32_e32 v2, v2, v8
	v_lshrrev_b32_e32 v6, s41, v6
	s_delay_alu instid0(VALU_DEP_2) | instskip(SKIP_1) | instid1(VALU_DEP_3)
	v_mul_lo_u32 v8, v2, s44
	v_mul_lo_u32 v10, v2, s45
	v_mul_hi_u32 v7, s43, v6
	s_delay_alu instid0(VALU_DEP_1) | instskip(NEXT) | instid1(VALU_DEP_1)
	v_add_nc_u32_e32 v7, v6, v7
	v_lshrrev_b32_e32 v7, s52, v7
	s_delay_alu instid0(VALU_DEP_1) | instskip(SKIP_1) | instid1(VALU_DEP_2)
	v_mul_hi_u32 v9, s54, v7
	v_mul_lo_u32 v11, v7, s42
	v_add_nc_u32_e32 v2, v7, v9
	v_mul_lo_u32 v9, v6, s39
	s_delay_alu instid0(VALU_DEP_3) | instskip(NEXT) | instid1(VALU_DEP_3)
	v_sub_nc_u32_e32 v6, v6, v11
	v_lshrrev_b32_e32 v2, s55, v2
	s_delay_alu instid0(VALU_DEP_2) | instskip(SKIP_2) | instid1(VALU_DEP_4)
	v_mul_lo_u32 v11, v6, s48
	v_mul_lo_u32 v6, v6, s49
	v_sub_nc_u32_e32 v5, v5, v9
	v_mul_lo_u32 v12, v2, s53
	s_delay_alu instid0(VALU_DEP_2) | instskip(SKIP_1) | instid1(VALU_DEP_3)
	v_mul_lo_u32 v9, v5, s46
	v_mul_lo_u32 v5, v5, s47
	v_sub_nc_u32_e32 v7, v7, v12
	s_delay_alu instid0(VALU_DEP_3) | instskip(NEXT) | instid1(VALU_DEP_2)
	v_add3_u32 v0, v8, v0, v9
	v_mul_lo_u32 v12, v7, s50
	v_mul_lo_u32 v7, v7, s51
	v_add3_u32 v1, v10, v1, v5
	s_delay_alu instid0(VALU_DEP_3) | instskip(NEXT) | instid1(VALU_DEP_2)
	v_add3_u32 v0, v11, v0, v12
	v_add3_u32 v1, v6, v1, v7
	s_cbranch_scc1 .LBB29_6
	s_branch .LBB29_118
.LBB29_7:
	s_and_not1_saveexec_b32 s2, s25
	s_cbranch_execz .LBB29_166
.LBB29_8:
	v_cndmask_b32_e64 v6, 0, 1, s24
	s_and_not1_b32 vcc_lo, exec_lo, s24
	s_cbranch_vccnz .LBB29_20
; %bb.9:
	v_mov_b32_e32 v0, 0
	v_mov_b32_e32 v2, 0
	s_cmp_lg_u32 s22, 0
	s_mov_b32 s6, 0
	s_cbranch_scc0 .LBB29_26
; %bb.10:
	s_min_u32 s7, s23, 15
	v_mov_b32_e32 v0, 0
	s_add_i32 s7, s7, 1
	s_cmp_eq_u32 s23, 2
	s_mov_b32 s8, 0
	s_cbranch_scc1 .LBB29_23
; %bb.11:
	v_dual_mov_b32 v2, 0 :: v_dual_mov_b32 v1, v3
	v_mov_b32_e32 v0, 0
	s_add_u32 s2, s0, 0xc4
	s_addc_u32 s3, s1, 0
	s_and_b32 s8, s7, 28
	s_mov_b32 s9, 0
	s_mov_b64 s[4:5], s[0:1]
.LBB29_12:                              ; =>This Inner Loop Header: Depth=1
	s_clause 0x1
	s_load_b256 s[12:19], s[4:5], 0x4
	s_load_b128 s[36:39], s[4:5], 0x24
	s_load_b256 s[24:31], s[2:3], 0x0
	s_add_u32 s4, s4, 48
	s_addc_u32 s5, s5, 0
	s_add_i32 s9, s9, 4
	s_add_u32 s2, s2, 32
	s_addc_u32 s3, s3, 0
	s_cmp_lg_u32 s8, s9
	s_waitcnt lgkmcnt(0)
	v_mul_hi_u32 v4, s13, v1
	s_delay_alu instid0(VALU_DEP_1) | instskip(NEXT) | instid1(VALU_DEP_1)
	v_add_nc_u32_e32 v4, v1, v4
	v_lshrrev_b32_e32 v4, s14, v4
	s_delay_alu instid0(VALU_DEP_1) | instskip(SKIP_1) | instid1(VALU_DEP_2)
	v_mul_hi_u32 v5, s16, v4
	v_mul_lo_u32 v9, v4, s12
	v_add_nc_u32_e32 v5, v4, v5
	s_delay_alu instid0(VALU_DEP_2) | instskip(NEXT) | instid1(VALU_DEP_2)
	v_sub_nc_u32_e32 v1, v1, v9
	v_lshrrev_b32_e32 v5, s17, v5
	s_delay_alu instid0(VALU_DEP_2) | instskip(SKIP_1) | instid1(VALU_DEP_3)
	v_mul_lo_u32 v9, v1, s24
	v_mul_lo_u32 v11, v1, s25
	v_mul_hi_u32 v7, s19, v5
	s_delay_alu instid0(VALU_DEP_1) | instskip(NEXT) | instid1(VALU_DEP_1)
	v_add_nc_u32_e32 v7, v5, v7
	v_lshrrev_b32_e32 v7, s36, v7
	s_delay_alu instid0(VALU_DEP_1) | instskip(SKIP_1) | instid1(VALU_DEP_2)
	v_mul_hi_u32 v10, s38, v7
	v_mul_lo_u32 v12, v7, s18
	v_add_nc_u32_e32 v1, v7, v10
	v_mul_lo_u32 v10, v5, s15
	s_delay_alu instid0(VALU_DEP_3) | instskip(NEXT) | instid1(VALU_DEP_3)
	v_sub_nc_u32_e32 v5, v5, v12
	v_lshrrev_b32_e32 v1, s39, v1
	s_delay_alu instid0(VALU_DEP_2) | instskip(SKIP_2) | instid1(VALU_DEP_4)
	v_mul_lo_u32 v12, v5, s28
	v_mul_lo_u32 v5, v5, s29
	v_sub_nc_u32_e32 v4, v4, v10
	v_mul_lo_u32 v13, v1, s37
	s_delay_alu instid0(VALU_DEP_2) | instskip(SKIP_1) | instid1(VALU_DEP_3)
	v_mul_lo_u32 v10, v4, s26
	v_mul_lo_u32 v4, v4, s27
	v_sub_nc_u32_e32 v7, v7, v13
	s_delay_alu instid0(VALU_DEP_3) | instskip(NEXT) | instid1(VALU_DEP_2)
	v_add3_u32 v0, v9, v0, v10
	v_mul_lo_u32 v13, v7, s30
	v_mul_lo_u32 v7, v7, s31
	v_add3_u32 v2, v11, v2, v4
	s_delay_alu instid0(VALU_DEP_3) | instskip(NEXT) | instid1(VALU_DEP_2)
	v_add3_u32 v0, v12, v0, v13
	v_add3_u32 v2, v5, v2, v7
	s_cbranch_scc1 .LBB29_12
; %bb.13:
	s_and_b32 s7, s7, 3
	s_delay_alu instid0(SALU_CYCLE_1)
	s_cmp_eq_u32 s7, 0
	s_cbranch_scc0 .LBB29_24
	s_branch .LBB29_26
.LBB29_14:
	s_or_b32 exec_lo, exec_lo, s30
	s_delay_alu instid0(SALU_CYCLE_1)
	s_mov_b32 s30, exec_lo
	v_cmpx_gt_i32_e64 s27, v3
	s_cbranch_execz .LBB29_137
.LBB29_15:
	s_and_not1_b32 vcc_lo, exec_lo, s24
	s_cbranch_vccnz .LBB29_22
; %bb.16:
	v_dual_mov_b32 v0, 0 :: v_dual_mov_b32 v1, 0
	s_and_not1_b32 vcc_lo, exec_lo, s29
	s_mov_b32 s31, 0
	s_cbranch_vccnz .LBB29_148
; %bb.17:
	v_mov_b32_e32 v0, 0
	s_add_i32 s34, s28, 1
	s_cmp_eq_u32 s23, 2
	s_mov_b32 s33, 0
	s_cbranch_scc1 .LBB29_144
; %bb.18:
	v_dual_mov_b32 v1, 0 :: v_dual_mov_b32 v0, 0
	v_mov_b32_e32 v2, v3
	s_and_b32 s33, s34, 28
	s_mov_b32 s35, 0
	s_mov_b64 s[18:19], s[16:17]
	s_mov_b64 s[20:21], s[0:1]
.LBB29_19:                              ; =>This Inner Loop Header: Depth=1
	s_clause 0x1
	s_load_b256 s[36:43], s[20:21], 0x4
	s_load_b128 s[52:55], s[20:21], 0x24
	s_load_b256 s[44:51], s[18:19], 0x0
	s_add_u32 s20, s20, 48
	s_addc_u32 s21, s21, 0
	s_add_i32 s35, s35, 4
	s_add_u32 s18, s18, 32
	s_addc_u32 s19, s19, 0
	s_cmp_eq_u32 s33, s35
	s_waitcnt lgkmcnt(0)
	v_mul_hi_u32 v5, s37, v2
	s_delay_alu instid0(VALU_DEP_1) | instskip(NEXT) | instid1(VALU_DEP_1)
	v_add_nc_u32_e32 v5, v2, v5
	v_lshrrev_b32_e32 v5, s38, v5
	s_delay_alu instid0(VALU_DEP_1) | instskip(SKIP_1) | instid1(VALU_DEP_2)
	v_mul_hi_u32 v6, s40, v5
	v_mul_lo_u32 v8, v5, s36
	v_add_nc_u32_e32 v6, v5, v6
	s_delay_alu instid0(VALU_DEP_2) | instskip(NEXT) | instid1(VALU_DEP_2)
	v_sub_nc_u32_e32 v2, v2, v8
	v_lshrrev_b32_e32 v6, s41, v6
	s_delay_alu instid0(VALU_DEP_2) | instskip(SKIP_1) | instid1(VALU_DEP_3)
	v_mul_lo_u32 v8, v2, s44
	v_mul_lo_u32 v10, v2, s45
	v_mul_hi_u32 v7, s43, v6
	s_delay_alu instid0(VALU_DEP_1) | instskip(NEXT) | instid1(VALU_DEP_1)
	v_add_nc_u32_e32 v7, v6, v7
	v_lshrrev_b32_e32 v7, s52, v7
	s_delay_alu instid0(VALU_DEP_1) | instskip(SKIP_1) | instid1(VALU_DEP_2)
	v_mul_hi_u32 v9, s54, v7
	v_mul_lo_u32 v11, v7, s42
	v_add_nc_u32_e32 v2, v7, v9
	v_mul_lo_u32 v9, v6, s39
	s_delay_alu instid0(VALU_DEP_3) | instskip(NEXT) | instid1(VALU_DEP_3)
	v_sub_nc_u32_e32 v6, v6, v11
	v_lshrrev_b32_e32 v2, s55, v2
	s_delay_alu instid0(VALU_DEP_2) | instskip(SKIP_2) | instid1(VALU_DEP_4)
	v_mul_lo_u32 v11, v6, s48
	v_mul_lo_u32 v6, v6, s49
	v_sub_nc_u32_e32 v5, v5, v9
	v_mul_lo_u32 v12, v2, s53
	s_delay_alu instid0(VALU_DEP_2) | instskip(SKIP_1) | instid1(VALU_DEP_3)
	v_mul_lo_u32 v9, v5, s46
	v_mul_lo_u32 v5, v5, s47
	v_sub_nc_u32_e32 v7, v7, v12
	s_delay_alu instid0(VALU_DEP_3) | instskip(NEXT) | instid1(VALU_DEP_2)
	v_add3_u32 v0, v8, v0, v9
	v_mul_lo_u32 v12, v7, s50
	v_mul_lo_u32 v7, v7, s51
	v_add3_u32 v1, v10, v1, v5
	s_delay_alu instid0(VALU_DEP_3) | instskip(NEXT) | instid1(VALU_DEP_2)
	v_add3_u32 v0, v11, v0, v12
	v_add3_u32 v1, v6, v1, v7
	s_cbranch_scc0 .LBB29_19
	s_branch .LBB29_145
.LBB29_20:
	s_mov_b32 s6, -1
                                        ; implicit-def: $vgpr0
                                        ; implicit-def: $vgpr2
	s_branch .LBB29_26
.LBB29_21:
	s_mov_b32 s31, -1
                                        ; implicit-def: $vgpr0
                                        ; implicit-def: $vgpr1
	s_branch .LBB29_121
.LBB29_22:
	s_mov_b32 s31, -1
                                        ; implicit-def: $vgpr0
                                        ; implicit-def: $vgpr1
	s_branch .LBB29_148
.LBB29_23:
	v_dual_mov_b32 v1, v3 :: v_dual_mov_b32 v2, 0
	s_and_b32 s7, s7, 3
	s_delay_alu instid0(SALU_CYCLE_1)
	s_cmp_eq_u32 s7, 0
	s_cbranch_scc1 .LBB29_26
.LBB29_24:
	s_lshl_b32 s2, s8, 3
	s_mul_i32 s4, s8, 12
	s_add_u32 s2, s2, s0
	s_addc_u32 s3, 0, s1
	s_add_u32 s2, s2, 0xc4
	s_addc_u32 s3, s3, 0
	;; [unrolled: 2-line block ×3, first 2 shown]
	.p2align	6
.LBB29_25:                              ; =>This Inner Loop Header: Depth=1
	s_clause 0x1
	s_load_b64 s[8:9], s[4:5], 0x4
	s_load_b32 s12, s[4:5], 0xc
	s_load_b64 s[10:11], s[2:3], 0x0
	s_add_u32 s4, s4, 12
	s_addc_u32 s5, s5, 0
	s_add_u32 s2, s2, 8
	s_addc_u32 s3, s3, 0
	s_add_i32 s7, s7, -1
	s_delay_alu instid0(SALU_CYCLE_1) | instskip(SKIP_2) | instid1(VALU_DEP_1)
	s_cmp_lg_u32 s7, 0
	s_waitcnt lgkmcnt(0)
	v_mul_hi_u32 v4, s9, v1
	v_add_nc_u32_e32 v4, v1, v4
	s_delay_alu instid0(VALU_DEP_1) | instskip(NEXT) | instid1(VALU_DEP_1)
	v_lshrrev_b32_e32 v7, s12, v4
	v_mul_lo_u32 v4, v7, s8
	s_delay_alu instid0(VALU_DEP_1) | instskip(NEXT) | instid1(VALU_DEP_1)
	v_sub_nc_u32_e32 v1, v1, v4
	v_mad_u64_u32 v[4:5], null, v1, s10, v[0:1]
	v_mad_u64_u32 v[9:10], null, v1, s11, v[2:3]
	s_delay_alu instid0(VALU_DEP_2) | instskip(NEXT) | instid1(VALU_DEP_2)
	v_dual_mov_b32 v1, v7 :: v_dual_mov_b32 v0, v4
	v_mov_b32_e32 v2, v9
	s_cbranch_scc1 .LBB29_25
.LBB29_26:
	s_and_not1_b32 vcc_lo, exec_lo, s6
	s_cbranch_vccnz .LBB29_29
; %bb.27:
	s_clause 0x1
	s_load_b128 s[4:7], s[0:1], 0x4
	s_load_b64 s[2:3], s[0:1], 0xc4
	s_cmp_lt_u32 s22, 2
	s_waitcnt lgkmcnt(0)
	v_mul_hi_u32 v0, s5, v3
	s_delay_alu instid0(VALU_DEP_1) | instskip(NEXT) | instid1(VALU_DEP_1)
	v_add_nc_u32_e32 v0, v3, v0
	v_lshrrev_b32_e32 v1, s6, v0
	s_delay_alu instid0(VALU_DEP_1) | instskip(NEXT) | instid1(VALU_DEP_1)
	v_mul_lo_u32 v0, v1, s4
	v_sub_nc_u32_e32 v2, v3, v0
	s_delay_alu instid0(VALU_DEP_1)
	v_mul_lo_u32 v0, v2, s2
	v_mul_lo_u32 v2, v2, s3
	s_cbranch_scc1 .LBB29_29
; %bb.28:
	s_clause 0x1
	s_load_b128 s[4:7], s[0:1], 0x10
	s_load_b64 s[2:3], s[0:1], 0xcc
	s_waitcnt lgkmcnt(0)
	v_mul_hi_u32 v4, s5, v1
	s_delay_alu instid0(VALU_DEP_1) | instskip(NEXT) | instid1(VALU_DEP_1)
	v_add_nc_u32_e32 v4, v1, v4
	v_lshrrev_b32_e32 v4, s6, v4
	s_delay_alu instid0(VALU_DEP_1) | instskip(NEXT) | instid1(VALU_DEP_1)
	v_mul_lo_u32 v4, v4, s4
	v_sub_nc_u32_e32 v1, v1, v4
	s_delay_alu instid0(VALU_DEP_1) | instskip(SKIP_1) | instid1(VALU_DEP_2)
	v_mad_u64_u32 v[4:5], null, v1, s2, v[0:1]
	v_mad_u64_u32 v[9:10], null, v1, s3, v[2:3]
	v_mov_b32_e32 v0, v4
	s_delay_alu instid0(VALU_DEP_2)
	v_mov_b32_e32 v2, v9
.LBB29_29:
	v_cmp_ne_u32_e32 vcc_lo, 1, v6
	v_add_nc_u32_e32 v5, 0x80, v3
	s_cbranch_vccnz .LBB29_35
; %bb.30:
	v_dual_mov_b32 v1, 0 :: v_dual_mov_b32 v4, 0
	s_cmp_lg_u32 s22, 0
	s_mov_b32 s6, 0
	s_cbranch_scc0 .LBB29_39
; %bb.31:
	s_min_u32 s7, s23, 15
	v_mov_b32_e32 v1, 0
	s_add_i32 s7, s7, 1
	s_cmp_eq_u32 s23, 2
	s_mov_b32 s8, 0
	s_cbranch_scc1 .LBB29_36
; %bb.32:
	v_dual_mov_b32 v4, 0 :: v_dual_mov_b32 v1, 0
	v_mov_b32_e32 v7, v5
	s_add_u32 s2, s0, 0xc4
	s_addc_u32 s3, s1, 0
	s_and_b32 s8, s7, 28
	s_mov_b32 s9, 0
	s_mov_b64 s[4:5], s[0:1]
.LBB29_33:                              ; =>This Inner Loop Header: Depth=1
	s_clause 0x1
	s_load_b256 s[12:19], s[4:5], 0x4
	s_load_b128 s[36:39], s[4:5], 0x24
	s_load_b256 s[24:31], s[2:3], 0x0
	s_add_u32 s4, s4, 48
	s_addc_u32 s5, s5, 0
	s_add_i32 s9, s9, 4
	s_add_u32 s2, s2, 32
	s_addc_u32 s3, s3, 0
	s_cmp_lg_u32 s8, s9
	s_waitcnt lgkmcnt(0)
	v_mul_hi_u32 v9, s13, v7
	s_delay_alu instid0(VALU_DEP_1) | instskip(NEXT) | instid1(VALU_DEP_1)
	v_add_nc_u32_e32 v9, v7, v9
	v_lshrrev_b32_e32 v9, s14, v9
	s_delay_alu instid0(VALU_DEP_1) | instskip(SKIP_1) | instid1(VALU_DEP_2)
	v_mul_hi_u32 v10, s16, v9
	v_mul_lo_u32 v12, v9, s12
	v_add_nc_u32_e32 v10, v9, v10
	s_delay_alu instid0(VALU_DEP_2) | instskip(NEXT) | instid1(VALU_DEP_2)
	v_sub_nc_u32_e32 v7, v7, v12
	v_lshrrev_b32_e32 v10, s17, v10
	s_delay_alu instid0(VALU_DEP_2) | instskip(SKIP_1) | instid1(VALU_DEP_3)
	v_mul_lo_u32 v12, v7, s24
	v_mul_lo_u32 v14, v7, s25
	v_mul_hi_u32 v11, s19, v10
	s_delay_alu instid0(VALU_DEP_1) | instskip(NEXT) | instid1(VALU_DEP_1)
	v_add_nc_u32_e32 v11, v10, v11
	v_lshrrev_b32_e32 v11, s36, v11
	s_delay_alu instid0(VALU_DEP_1) | instskip(SKIP_1) | instid1(VALU_DEP_2)
	v_mul_hi_u32 v13, s38, v11
	v_mul_lo_u32 v15, v11, s18
	v_add_nc_u32_e32 v7, v11, v13
	v_mul_lo_u32 v13, v10, s15
	s_delay_alu instid0(VALU_DEP_3) | instskip(NEXT) | instid1(VALU_DEP_3)
	v_sub_nc_u32_e32 v10, v10, v15
	v_lshrrev_b32_e32 v7, s39, v7
	s_delay_alu instid0(VALU_DEP_2) | instskip(SKIP_2) | instid1(VALU_DEP_4)
	v_mul_lo_u32 v15, v10, s28
	v_mul_lo_u32 v10, v10, s29
	v_sub_nc_u32_e32 v9, v9, v13
	v_mul_lo_u32 v16, v7, s37
	s_delay_alu instid0(VALU_DEP_2) | instskip(SKIP_1) | instid1(VALU_DEP_3)
	v_mul_lo_u32 v13, v9, s26
	v_mul_lo_u32 v9, v9, s27
	v_sub_nc_u32_e32 v11, v11, v16
	s_delay_alu instid0(VALU_DEP_3) | instskip(NEXT) | instid1(VALU_DEP_2)
	v_add3_u32 v1, v12, v1, v13
	v_mul_lo_u32 v16, v11, s30
	v_mul_lo_u32 v11, v11, s31
	v_add3_u32 v4, v14, v4, v9
	s_delay_alu instid0(VALU_DEP_3) | instskip(NEXT) | instid1(VALU_DEP_2)
	v_add3_u32 v1, v15, v1, v16
	v_add3_u32 v4, v10, v4, v11
	s_cbranch_scc1 .LBB29_33
; %bb.34:
	s_and_b32 s7, s7, 3
	s_delay_alu instid0(SALU_CYCLE_1)
	s_cmp_eq_u32 s7, 0
	s_cbranch_scc0 .LBB29_37
	s_branch .LBB29_39
.LBB29_35:
	s_mov_b32 s6, -1
                                        ; implicit-def: $vgpr1
                                        ; implicit-def: $vgpr4
	s_branch .LBB29_39
.LBB29_36:
	v_dual_mov_b32 v7, v5 :: v_dual_mov_b32 v4, 0
	s_and_b32 s7, s7, 3
	s_delay_alu instid0(SALU_CYCLE_1)
	s_cmp_eq_u32 s7, 0
	s_cbranch_scc1 .LBB29_39
.LBB29_37:
	s_lshl_b32 s2, s8, 3
	s_mul_i32 s4, s8, 12
	s_add_u32 s2, s2, s0
	s_addc_u32 s3, 0, s1
	s_add_u32 s2, s2, 0xc4
	s_addc_u32 s3, s3, 0
	;; [unrolled: 2-line block ×3, first 2 shown]
	.p2align	6
.LBB29_38:                              ; =>This Inner Loop Header: Depth=1
	s_clause 0x1
	s_load_b64 s[8:9], s[4:5], 0x4
	s_load_b32 s12, s[4:5], 0xc
	s_load_b64 s[10:11], s[2:3], 0x0
	s_add_u32 s4, s4, 12
	s_addc_u32 s5, s5, 0
	s_add_u32 s2, s2, 8
	s_addc_u32 s3, s3, 0
	s_add_i32 s7, s7, -1
	s_delay_alu instid0(SALU_CYCLE_1) | instskip(SKIP_2) | instid1(VALU_DEP_1)
	s_cmp_lg_u32 s7, 0
	s_waitcnt lgkmcnt(0)
	v_mul_hi_u32 v9, s9, v7
	v_add_nc_u32_e32 v9, v7, v9
	s_delay_alu instid0(VALU_DEP_1) | instskip(NEXT) | instid1(VALU_DEP_1)
	v_lshrrev_b32_e32 v12, s12, v9
	v_mul_lo_u32 v9, v12, s8
	s_delay_alu instid0(VALU_DEP_1) | instskip(NEXT) | instid1(VALU_DEP_1)
	v_sub_nc_u32_e32 v7, v7, v9
	v_mad_u64_u32 v[9:10], null, v7, s10, v[1:2]
	v_mad_u64_u32 v[10:11], null, v7, s11, v[4:5]
	v_mov_b32_e32 v7, v12
	s_delay_alu instid0(VALU_DEP_2)
	v_dual_mov_b32 v1, v9 :: v_dual_mov_b32 v4, v10
	s_cbranch_scc1 .LBB29_38
.LBB29_39:
	s_and_not1_b32 vcc_lo, exec_lo, s6
	s_cbranch_vccnz .LBB29_42
; %bb.40:
	s_clause 0x1
	s_load_b128 s[4:7], s[0:1], 0x4
	s_load_b64 s[2:3], s[0:1], 0xc4
	s_cmp_lt_u32 s22, 2
	s_waitcnt lgkmcnt(0)
	v_mul_hi_u32 v1, s5, v5
	s_delay_alu instid0(VALU_DEP_1) | instskip(NEXT) | instid1(VALU_DEP_1)
	v_add_nc_u32_e32 v1, v5, v1
	v_lshrrev_b32_e32 v7, s6, v1
	s_delay_alu instid0(VALU_DEP_1) | instskip(NEXT) | instid1(VALU_DEP_1)
	v_mul_lo_u32 v1, v7, s4
	v_sub_nc_u32_e32 v4, v5, v1
	s_delay_alu instid0(VALU_DEP_1)
	v_mul_lo_u32 v1, v4, s2
	v_mul_lo_u32 v4, v4, s3
	s_cbranch_scc1 .LBB29_42
; %bb.41:
	s_clause 0x1
	s_load_b128 s[4:7], s[0:1], 0x10
	s_load_b64 s[2:3], s[0:1], 0xcc
	s_waitcnt lgkmcnt(0)
	v_mul_hi_u32 v5, s5, v7
	s_delay_alu instid0(VALU_DEP_1) | instskip(NEXT) | instid1(VALU_DEP_1)
	v_add_nc_u32_e32 v5, v7, v5
	v_lshrrev_b32_e32 v5, s6, v5
	s_delay_alu instid0(VALU_DEP_1) | instskip(NEXT) | instid1(VALU_DEP_1)
	v_mul_lo_u32 v5, v5, s4
	v_sub_nc_u32_e32 v5, v7, v5
	s_delay_alu instid0(VALU_DEP_1) | instskip(SKIP_1) | instid1(VALU_DEP_1)
	v_mad_u64_u32 v[9:10], null, v5, s2, v[1:2]
	v_mad_u64_u32 v[10:11], null, v5, s3, v[4:5]
	v_dual_mov_b32 v1, v9 :: v_dual_mov_b32 v4, v10
.LBB29_42:
	v_cmp_ne_u32_e32 vcc_lo, 1, v6
	v_add_nc_u32_e32 v7, 0x100, v3
	s_cbranch_vccnz .LBB29_48
; %bb.43:
	v_mov_b32_e32 v3, 0
	v_mov_b32_e32 v5, 0
	s_cmp_lg_u32 s22, 0
	s_mov_b32 s6, 0
	s_cbranch_scc0 .LBB29_52
; %bb.44:
	s_min_u32 s7, s23, 15
	v_mov_b32_e32 v3, 0
	s_add_i32 s7, s7, 1
	s_cmp_eq_u32 s23, 2
	s_mov_b32 s8, 0
	s_cbranch_scc1 .LBB29_49
; %bb.45:
	v_mov_b32_e32 v5, 0
	v_mov_b32_e32 v3, 0
	;; [unrolled: 1-line block ×3, first 2 shown]
	s_add_u32 s2, s0, 0xc4
	s_addc_u32 s3, s1, 0
	s_and_b32 s8, s7, 28
	s_mov_b32 s9, 0
	s_mov_b64 s[4:5], s[0:1]
.LBB29_46:                              ; =>This Inner Loop Header: Depth=1
	s_clause 0x1
	s_load_b256 s[12:19], s[4:5], 0x4
	s_load_b128 s[36:39], s[4:5], 0x24
	s_load_b256 s[24:31], s[2:3], 0x0
	s_add_u32 s4, s4, 48
	s_addc_u32 s5, s5, 0
	s_add_i32 s9, s9, 4
	s_add_u32 s2, s2, 32
	s_addc_u32 s3, s3, 0
	s_cmp_lg_u32 s8, s9
	s_waitcnt lgkmcnt(0)
	v_mul_hi_u32 v10, s13, v9
	s_delay_alu instid0(VALU_DEP_1) | instskip(NEXT) | instid1(VALU_DEP_1)
	v_add_nc_u32_e32 v10, v9, v10
	v_lshrrev_b32_e32 v10, s14, v10
	s_delay_alu instid0(VALU_DEP_1) | instskip(SKIP_1) | instid1(VALU_DEP_2)
	v_mul_hi_u32 v11, s16, v10
	v_mul_lo_u32 v13, v10, s12
	v_add_nc_u32_e32 v11, v10, v11
	s_delay_alu instid0(VALU_DEP_2) | instskip(NEXT) | instid1(VALU_DEP_2)
	v_sub_nc_u32_e32 v9, v9, v13
	v_lshrrev_b32_e32 v11, s17, v11
	s_delay_alu instid0(VALU_DEP_2) | instskip(SKIP_1) | instid1(VALU_DEP_3)
	v_mul_lo_u32 v13, v9, s24
	v_mul_lo_u32 v15, v9, s25
	v_mul_hi_u32 v12, s19, v11
	s_delay_alu instid0(VALU_DEP_1) | instskip(NEXT) | instid1(VALU_DEP_1)
	v_add_nc_u32_e32 v12, v11, v12
	v_lshrrev_b32_e32 v12, s36, v12
	s_delay_alu instid0(VALU_DEP_1) | instskip(SKIP_1) | instid1(VALU_DEP_2)
	v_mul_hi_u32 v14, s38, v12
	v_mul_lo_u32 v16, v12, s18
	v_add_nc_u32_e32 v9, v12, v14
	v_mul_lo_u32 v14, v11, s15
	s_delay_alu instid0(VALU_DEP_3) | instskip(NEXT) | instid1(VALU_DEP_3)
	v_sub_nc_u32_e32 v11, v11, v16
	v_lshrrev_b32_e32 v9, s39, v9
	s_delay_alu instid0(VALU_DEP_2) | instskip(SKIP_2) | instid1(VALU_DEP_4)
	v_mul_lo_u32 v16, v11, s28
	v_mul_lo_u32 v11, v11, s29
	v_sub_nc_u32_e32 v10, v10, v14
	v_mul_lo_u32 v17, v9, s37
	s_delay_alu instid0(VALU_DEP_2) | instskip(SKIP_1) | instid1(VALU_DEP_3)
	v_mul_lo_u32 v14, v10, s26
	v_mul_lo_u32 v10, v10, s27
	v_sub_nc_u32_e32 v12, v12, v17
	s_delay_alu instid0(VALU_DEP_3) | instskip(NEXT) | instid1(VALU_DEP_2)
	v_add3_u32 v3, v13, v3, v14
	v_mul_lo_u32 v17, v12, s30
	v_mul_lo_u32 v12, v12, s31
	v_add3_u32 v5, v15, v5, v10
	s_delay_alu instid0(VALU_DEP_3) | instskip(NEXT) | instid1(VALU_DEP_2)
	v_add3_u32 v3, v16, v3, v17
	v_add3_u32 v5, v11, v5, v12
	s_cbranch_scc1 .LBB29_46
; %bb.47:
	s_and_b32 s7, s7, 3
	s_delay_alu instid0(SALU_CYCLE_1)
	s_cmp_eq_u32 s7, 0
	s_cbranch_scc0 .LBB29_50
	s_branch .LBB29_52
.LBB29_48:
	s_mov_b32 s6, -1
                                        ; implicit-def: $vgpr3
                                        ; implicit-def: $vgpr5
	s_branch .LBB29_52
.LBB29_49:
	v_mov_b32_e32 v9, v7
	v_mov_b32_e32 v5, 0
	s_and_b32 s7, s7, 3
	s_delay_alu instid0(SALU_CYCLE_1)
	s_cmp_eq_u32 s7, 0
	s_cbranch_scc1 .LBB29_52
.LBB29_50:
	s_lshl_b32 s2, s8, 3
	s_mul_i32 s4, s8, 12
	s_add_u32 s2, s2, s0
	s_addc_u32 s3, 0, s1
	s_add_u32 s2, s2, 0xc4
	s_addc_u32 s3, s3, 0
	;; [unrolled: 2-line block ×3, first 2 shown]
	.p2align	6
.LBB29_51:                              ; =>This Inner Loop Header: Depth=1
	s_clause 0x1
	s_load_b64 s[8:9], s[4:5], 0x4
	s_load_b32 s12, s[4:5], 0xc
	s_load_b64 s[10:11], s[2:3], 0x0
	s_add_u32 s4, s4, 12
	s_addc_u32 s5, s5, 0
	s_add_u32 s2, s2, 8
	s_addc_u32 s3, s3, 0
	s_add_i32 s7, s7, -1
	s_delay_alu instid0(SALU_CYCLE_1) | instskip(SKIP_2) | instid1(VALU_DEP_1)
	s_cmp_lg_u32 s7, 0
	s_waitcnt lgkmcnt(0)
	v_mul_hi_u32 v10, s9, v9
	v_add_nc_u32_e32 v10, v9, v10
	s_delay_alu instid0(VALU_DEP_1) | instskip(NEXT) | instid1(VALU_DEP_1)
	v_lshrrev_b32_e32 v13, s12, v10
	v_mul_lo_u32 v10, v13, s8
	s_delay_alu instid0(VALU_DEP_1) | instskip(NEXT) | instid1(VALU_DEP_1)
	v_sub_nc_u32_e32 v9, v9, v10
	v_mad_u64_u32 v[10:11], null, v9, s10, v[3:4]
	v_mad_u64_u32 v[11:12], null, v9, s11, v[5:6]
	v_mov_b32_e32 v9, v13
	s_delay_alu instid0(VALU_DEP_3) | instskip(NEXT) | instid1(VALU_DEP_3)
	v_mov_b32_e32 v3, v10
	v_mov_b32_e32 v5, v11
	s_cbranch_scc1 .LBB29_51
.LBB29_52:
	s_and_not1_b32 vcc_lo, exec_lo, s6
	s_cbranch_vccnz .LBB29_55
; %bb.53:
	s_clause 0x1
	s_load_b128 s[4:7], s[0:1], 0x4
	s_load_b64 s[2:3], s[0:1], 0xc4
	s_cmp_lt_u32 s22, 2
	s_waitcnt lgkmcnt(0)
	v_mul_hi_u32 v3, s5, v7
	s_delay_alu instid0(VALU_DEP_1) | instskip(NEXT) | instid1(VALU_DEP_1)
	v_add_nc_u32_e32 v3, v7, v3
	v_lshrrev_b32_e32 v9, s6, v3
	s_delay_alu instid0(VALU_DEP_1) | instskip(NEXT) | instid1(VALU_DEP_1)
	v_mul_lo_u32 v3, v9, s4
	v_sub_nc_u32_e32 v5, v7, v3
	s_delay_alu instid0(VALU_DEP_1)
	v_mul_lo_u32 v3, v5, s2
	v_mul_lo_u32 v5, v5, s3
	s_cbranch_scc1 .LBB29_55
; %bb.54:
	s_clause 0x1
	s_load_b128 s[4:7], s[0:1], 0x10
	s_load_b64 s[2:3], s[0:1], 0xcc
	s_waitcnt lgkmcnt(0)
	v_mul_hi_u32 v7, s5, v9
	s_delay_alu instid0(VALU_DEP_1) | instskip(NEXT) | instid1(VALU_DEP_1)
	v_add_nc_u32_e32 v7, v9, v7
	v_lshrrev_b32_e32 v7, s6, v7
	s_delay_alu instid0(VALU_DEP_1) | instskip(NEXT) | instid1(VALU_DEP_1)
	v_mul_lo_u32 v7, v7, s4
	v_sub_nc_u32_e32 v7, v9, v7
	s_delay_alu instid0(VALU_DEP_1) | instskip(SKIP_1) | instid1(VALU_DEP_2)
	v_mad_u64_u32 v[9:10], null, v7, s2, v[3:4]
	v_mad_u64_u32 v[10:11], null, v7, s3, v[5:6]
	v_mov_b32_e32 v3, v9
	s_delay_alu instid0(VALU_DEP_2)
	v_mov_b32_e32 v5, v10
.LBB29_55:
	v_cmp_ne_u32_e32 vcc_lo, 1, v6
	s_cbranch_vccnz .LBB29_61
; %bb.56:
	v_dual_mov_b32 v6, 0 :: v_dual_mov_b32 v7, 0
	s_cmp_lg_u32 s22, 0
	s_mov_b32 s6, 0
	s_cbranch_scc0 .LBB29_65
; %bb.57:
	s_min_u32 s7, s23, 15
	v_mov_b32_e32 v6, 0
	s_add_i32 s7, s7, 1
	s_cmp_eq_u32 s23, 2
	s_mov_b32 s8, 0
	s_cbranch_scc1 .LBB29_62
; %bb.58:
	v_dual_mov_b32 v7, 0 :: v_dual_mov_b32 v6, 0
	v_mov_b32_e32 v9, v8
	s_add_u32 s2, s0, 0xc4
	s_addc_u32 s3, s1, 0
	s_and_b32 s8, s7, 28
	s_mov_b32 s9, 0
	s_mov_b64 s[4:5], s[0:1]
.LBB29_59:                              ; =>This Inner Loop Header: Depth=1
	s_clause 0x1
	s_load_b256 s[12:19], s[4:5], 0x4
	s_load_b128 s[36:39], s[4:5], 0x24
	s_load_b256 s[24:31], s[2:3], 0x0
	s_add_u32 s4, s4, 48
	s_addc_u32 s5, s5, 0
	s_add_i32 s9, s9, 4
	s_add_u32 s2, s2, 32
	s_addc_u32 s3, s3, 0
	s_cmp_lg_u32 s8, s9
	s_waitcnt lgkmcnt(0)
	v_mul_hi_u32 v10, s13, v9
	s_delay_alu instid0(VALU_DEP_1) | instskip(NEXT) | instid1(VALU_DEP_1)
	v_add_nc_u32_e32 v10, v9, v10
	v_lshrrev_b32_e32 v10, s14, v10
	s_delay_alu instid0(VALU_DEP_1) | instskip(SKIP_1) | instid1(VALU_DEP_2)
	v_mul_hi_u32 v11, s16, v10
	v_mul_lo_u32 v13, v10, s12
	v_add_nc_u32_e32 v11, v10, v11
	s_delay_alu instid0(VALU_DEP_2) | instskip(NEXT) | instid1(VALU_DEP_2)
	v_sub_nc_u32_e32 v9, v9, v13
	v_lshrrev_b32_e32 v11, s17, v11
	s_delay_alu instid0(VALU_DEP_2) | instskip(SKIP_1) | instid1(VALU_DEP_3)
	v_mul_lo_u32 v13, v9, s24
	v_mul_lo_u32 v15, v9, s25
	v_mul_hi_u32 v12, s19, v11
	s_delay_alu instid0(VALU_DEP_1) | instskip(NEXT) | instid1(VALU_DEP_1)
	v_add_nc_u32_e32 v12, v11, v12
	v_lshrrev_b32_e32 v12, s36, v12
	s_delay_alu instid0(VALU_DEP_1) | instskip(SKIP_1) | instid1(VALU_DEP_2)
	v_mul_hi_u32 v14, s38, v12
	v_mul_lo_u32 v16, v12, s18
	v_add_nc_u32_e32 v9, v12, v14
	v_mul_lo_u32 v14, v11, s15
	s_delay_alu instid0(VALU_DEP_3) | instskip(NEXT) | instid1(VALU_DEP_3)
	v_sub_nc_u32_e32 v11, v11, v16
	v_lshrrev_b32_e32 v9, s39, v9
	s_delay_alu instid0(VALU_DEP_2) | instskip(SKIP_2) | instid1(VALU_DEP_4)
	v_mul_lo_u32 v16, v11, s28
	v_mul_lo_u32 v11, v11, s29
	v_sub_nc_u32_e32 v10, v10, v14
	v_mul_lo_u32 v17, v9, s37
	s_delay_alu instid0(VALU_DEP_2) | instskip(SKIP_1) | instid1(VALU_DEP_3)
	v_mul_lo_u32 v14, v10, s26
	v_mul_lo_u32 v10, v10, s27
	v_sub_nc_u32_e32 v12, v12, v17
	s_delay_alu instid0(VALU_DEP_3) | instskip(NEXT) | instid1(VALU_DEP_2)
	v_add3_u32 v6, v13, v6, v14
	v_mul_lo_u32 v17, v12, s30
	v_mul_lo_u32 v12, v12, s31
	v_add3_u32 v7, v15, v7, v10
	s_delay_alu instid0(VALU_DEP_3) | instskip(NEXT) | instid1(VALU_DEP_2)
	v_add3_u32 v6, v16, v6, v17
	v_add3_u32 v7, v11, v7, v12
	s_cbranch_scc1 .LBB29_59
; %bb.60:
	s_and_b32 s7, s7, 3
	s_delay_alu instid0(SALU_CYCLE_1)
	s_cmp_eq_u32 s7, 0
	s_cbranch_scc0 .LBB29_63
	s_branch .LBB29_65
.LBB29_61:
	s_mov_b32 s6, -1
                                        ; implicit-def: $vgpr6
                                        ; implicit-def: $vgpr7
	s_branch .LBB29_65
.LBB29_62:
	v_mov_b32_e32 v9, v8
	v_mov_b32_e32 v7, 0
	s_and_b32 s7, s7, 3
	s_delay_alu instid0(SALU_CYCLE_1)
	s_cmp_eq_u32 s7, 0
	s_cbranch_scc1 .LBB29_65
.LBB29_63:
	s_lshl_b32 s2, s8, 3
	s_mul_i32 s4, s8, 12
	s_add_u32 s2, s2, s0
	s_addc_u32 s3, 0, s1
	s_add_u32 s2, s2, 0xc4
	s_addc_u32 s3, s3, 0
	;; [unrolled: 2-line block ×3, first 2 shown]
	.p2align	6
.LBB29_64:                              ; =>This Inner Loop Header: Depth=1
	s_clause 0x1
	s_load_b64 s[8:9], s[4:5], 0x4
	s_load_b32 s12, s[4:5], 0xc
	s_load_b64 s[10:11], s[2:3], 0x0
	s_add_u32 s4, s4, 12
	s_addc_u32 s5, s5, 0
	s_add_u32 s2, s2, 8
	s_addc_u32 s3, s3, 0
	s_add_i32 s7, s7, -1
	s_delay_alu instid0(SALU_CYCLE_1) | instskip(SKIP_2) | instid1(VALU_DEP_1)
	s_cmp_lg_u32 s7, 0
	s_waitcnt lgkmcnt(0)
	v_mul_hi_u32 v10, s9, v9
	v_add_nc_u32_e32 v10, v9, v10
	s_delay_alu instid0(VALU_DEP_1) | instskip(NEXT) | instid1(VALU_DEP_1)
	v_lshrrev_b32_e32 v13, s12, v10
	v_mul_lo_u32 v10, v13, s8
	s_delay_alu instid0(VALU_DEP_1) | instskip(NEXT) | instid1(VALU_DEP_1)
	v_sub_nc_u32_e32 v9, v9, v10
	v_mad_u64_u32 v[10:11], null, v9, s10, v[6:7]
	v_mad_u64_u32 v[11:12], null, v9, s11, v[7:8]
	s_delay_alu instid0(VALU_DEP_2) | instskip(NEXT) | instid1(VALU_DEP_2)
	v_dual_mov_b32 v9, v13 :: v_dual_mov_b32 v6, v10
	v_mov_b32_e32 v7, v11
	s_cbranch_scc1 .LBB29_64
.LBB29_65:
	s_and_not1_b32 vcc_lo, exec_lo, s6
	s_cbranch_vccnz .LBB29_68
; %bb.66:
	s_clause 0x1
	s_load_b128 s[4:7], s[0:1], 0x4
	s_load_b64 s[2:3], s[0:1], 0xc4
	s_cmp_lt_u32 s22, 2
	s_waitcnt lgkmcnt(0)
	v_mul_hi_u32 v6, s5, v8
	s_delay_alu instid0(VALU_DEP_1) | instskip(NEXT) | instid1(VALU_DEP_1)
	v_add_nc_u32_e32 v6, v8, v6
	v_lshrrev_b32_e32 v9, s6, v6
	s_delay_alu instid0(VALU_DEP_1) | instskip(NEXT) | instid1(VALU_DEP_1)
	v_mul_lo_u32 v6, v9, s4
	v_sub_nc_u32_e32 v7, v8, v6
	s_delay_alu instid0(VALU_DEP_1)
	v_mul_lo_u32 v6, v7, s2
	v_mul_lo_u32 v7, v7, s3
	s_cbranch_scc1 .LBB29_68
; %bb.67:
	s_clause 0x1
	s_load_b128 s[4:7], s[0:1], 0x10
	s_load_b64 s[2:3], s[0:1], 0xcc
	s_waitcnt lgkmcnt(0)
	v_mul_hi_u32 v8, s5, v9
	s_delay_alu instid0(VALU_DEP_1) | instskip(NEXT) | instid1(VALU_DEP_1)
	v_add_nc_u32_e32 v8, v9, v8
	v_lshrrev_b32_e32 v8, s6, v8
	s_delay_alu instid0(VALU_DEP_1) | instskip(NEXT) | instid1(VALU_DEP_1)
	v_mul_lo_u32 v8, v8, s4
	v_sub_nc_u32_e32 v11, v9, v8
	s_delay_alu instid0(VALU_DEP_1) | instskip(NEXT) | instid1(VALU_DEP_1)
	v_mad_u64_u32 v[8:9], null, v11, s2, v[6:7]
	v_mad_u64_u32 v[9:10], null, v11, s3, v[7:8]
	s_delay_alu instid0(VALU_DEP_1)
	v_dual_mov_b32 v6, v8 :: v_dual_mov_b32 v7, v9
.LBB29_68:
	s_clause 0x1
	s_load_b128 s[4:7], s[0:1], 0x148
	s_load_b32 s2, s[0:1], 0x15c
	s_mov_b32 s3, exec_lo
	s_waitcnt lgkmcnt(0)
	global_load_b32 v2, v2, s[6:7]
	s_waitcnt vmcnt(0)
	v_trunc_f32_e32 v8, v2
	s_delay_alu instid0(VALU_DEP_1) | instskip(NEXT) | instid1(VALU_DEP_1)
	v_mul_f32_e64 v9, 0x2f800000, |v8|
	v_floor_f32_e32 v9, v9
	s_delay_alu instid0(VALU_DEP_1) | instskip(SKIP_2) | instid1(VALU_DEP_3)
	v_fma_f32 v10, 0xcf800000, v9, |v8|
	v_ashrrev_i32_e32 v8, 31, v8
	v_cvt_u32_f32_e32 v9, v9
	v_cvt_u32_f32_e32 v10, v10
	s_delay_alu instid0(VALU_DEP_2) | instskip(NEXT) | instid1(VALU_DEP_2)
	v_xor_b32_e32 v9, v9, v8
	v_xor_b32_e32 v10, v10, v8
	s_delay_alu instid0(VALU_DEP_1) | instskip(NEXT) | instid1(VALU_DEP_3)
	v_sub_co_u32 v10, vcc_lo, v10, v8
	v_sub_co_ci_u32_e32 v8, vcc_lo, v9, v8, vcc_lo
	v_cmp_class_f32_e64 vcc_lo, v2, 0x1f8
	s_delay_alu instid0(VALU_DEP_2) | instskip(NEXT) | instid1(VALU_DEP_4)
	v_dual_mov_b32 v2, 0 :: v_dual_cndmask_b32 v9, -1, v8
	v_cndmask_b32_e32 v8, -1, v10, vcc_lo
	s_delay_alu instid0(VALU_DEP_1)
	v_cmpx_lt_i64_e32 -1, v[8:9]
	s_cbranch_execz .LBB29_80
; %bb.69:
	v_mov_b32_e32 v2, 1.0
	s_mov_b32 s8, exec_lo
	v_cmpx_lt_i64_e32 0, v[8:9]
	s_cbranch_execz .LBB29_79
; %bb.70:
                                        ; implicit-def: $vgpr2
	s_mov_b32 s0, exec_lo
	v_cmpx_ne_u64_e32 1, v[8:9]
	s_xor_b32 s9, exec_lo, s0
	s_cbranch_execz .LBB29_76
; %bb.71:
	v_mov_b32_e32 v2, 0x7fc00000
	s_mov_b32 s10, exec_lo
	v_cmpx_gt_u64_e32 0x81, v[8:9]
	s_cbranch_execz .LBB29_75
; %bb.72:
	v_add_f32_e64 v10, s2, s2
	v_lshlrev_b64 v[8:9], 1, v[8:9]
	v_mov_b32_e32 v11, 1.0
	s_mov_b64 s[0:1], 2
	s_mov_b32 s11, 0
	v_mov_b32_e32 v2, v10
	.p2align	6
.LBB29_73:                              ; =>This Inner Loop Header: Depth=1
	s_clz_i32_u32 s12, s1
	s_delay_alu instid0(SALU_CYCLE_1) | instskip(NEXT) | instid1(SALU_CYCLE_1)
	s_min_u32 s14, s12, 32
	s_lshl_b64 s[12:13], s[0:1], s14
	s_delay_alu instid0(SALU_CYCLE_1) | instskip(NEXT) | instid1(SALU_CYCLE_1)
	s_min_u32 s12, s12, 1
	s_or_b32 s12, s13, s12
	s_delay_alu instid0(SALU_CYCLE_1) | instskip(SKIP_3) | instid1(SALU_CYCLE_1)
	v_cvt_f32_u32_e32 v12, s12
	s_sub_i32 s12, 32, s14
	s_add_u32 s0, s0, 2
	s_addc_u32 s1, s1, 0
	v_cmp_ge_u64_e32 vcc_lo, s[0:1], v[8:9]
	v_ldexp_f32 v12, v12, s12
	s_delay_alu instid0(VALU_DEP_1) | instskip(SKIP_1) | instid1(VALU_DEP_1)
	v_dual_mul_f32 v12, v11, v12 :: v_dual_mov_b32 v11, v2
	s_or_b32 s11, vcc_lo, s11
	v_fma_f32 v2, v10, v2, -v12
	s_and_not1_b32 exec_lo, exec_lo, s11
	s_cbranch_execnz .LBB29_73
; %bb.74:
	s_or_b32 exec_lo, exec_lo, s11
.LBB29_75:
	s_delay_alu instid0(SALU_CYCLE_1)
	s_or_b32 exec_lo, exec_lo, s10
.LBB29_76:
	s_and_not1_saveexec_b32 s0, s9
; %bb.77:
	v_add_f32_e64 v2, s2, s2
; %bb.78:
	s_or_b32 exec_lo, exec_lo, s0
.LBB29_79:
	s_delay_alu instid0(SALU_CYCLE_1)
	s_or_b32 exec_lo, exec_lo, s8
.LBB29_80:
	s_delay_alu instid0(SALU_CYCLE_1) | instskip(SKIP_4) | instid1(VALU_DEP_1)
	s_or_b32 exec_lo, exec_lo, s3
	global_load_b32 v4, v4, s[6:7]
	s_mov_b32 s3, exec_lo
	s_waitcnt vmcnt(0)
	v_trunc_f32_e32 v8, v4
	v_mul_f32_e64 v9, 0x2f800000, |v8|
	s_delay_alu instid0(VALU_DEP_1) | instskip(NEXT) | instid1(VALU_DEP_1)
	v_floor_f32_e32 v9, v9
	v_fma_f32 v10, 0xcf800000, v9, |v8|
	v_ashrrev_i32_e32 v8, 31, v8
	v_cvt_u32_f32_e32 v9, v9
	s_delay_alu instid0(VALU_DEP_3) | instskip(NEXT) | instid1(VALU_DEP_2)
	v_cvt_u32_f32_e32 v10, v10
	v_xor_b32_e32 v9, v9, v8
	s_delay_alu instid0(VALU_DEP_2) | instskip(NEXT) | instid1(VALU_DEP_1)
	v_xor_b32_e32 v10, v10, v8
	v_sub_co_u32 v10, vcc_lo, v10, v8
	s_delay_alu instid0(VALU_DEP_3) | instskip(SKIP_1) | instid1(VALU_DEP_2)
	v_sub_co_ci_u32_e32 v8, vcc_lo, v9, v8, vcc_lo
	v_cmp_class_f32_e64 vcc_lo, v4, 0x1f8
	v_dual_cndmask_b32 v9, -1, v8 :: v_dual_cndmask_b32 v8, -1, v10
	v_mov_b32_e32 v10, 0
	s_delay_alu instid0(VALU_DEP_2)
	v_cmpx_lt_i64_e32 -1, v[8:9]
	s_cbranch_execz .LBB29_92
; %bb.81:
	v_mov_b32_e32 v10, 1.0
	s_mov_b32 s8, exec_lo
	v_cmpx_lt_i64_e32 0, v[8:9]
	s_cbranch_execz .LBB29_91
; %bb.82:
                                        ; implicit-def: $vgpr10
	s_mov_b32 s0, exec_lo
	v_cmpx_ne_u64_e32 1, v[8:9]
	s_xor_b32 s9, exec_lo, s0
	s_cbranch_execz .LBB29_88
; %bb.83:
	v_mov_b32_e32 v10, 0x7fc00000
	s_mov_b32 s10, exec_lo
	v_cmpx_gt_u64_e32 0x81, v[8:9]
	s_cbranch_execz .LBB29_87
; %bb.84:
	v_add_f32_e64 v4, s2, s2
	v_lshlrev_b64 v[8:9], 1, v[8:9]
	v_mov_b32_e32 v11, 1.0
	s_mov_b64 s[0:1], 2
	s_mov_b32 s11, 0
	v_mov_b32_e32 v10, v4
	.p2align	6
.LBB29_85:                              ; =>This Inner Loop Header: Depth=1
	s_clz_i32_u32 s12, s1
	s_delay_alu instid0(SALU_CYCLE_1) | instskip(NEXT) | instid1(SALU_CYCLE_1)
	s_min_u32 s14, s12, 32
	s_lshl_b64 s[12:13], s[0:1], s14
	s_delay_alu instid0(SALU_CYCLE_1) | instskip(NEXT) | instid1(SALU_CYCLE_1)
	s_min_u32 s12, s12, 1
	s_or_b32 s12, s13, s12
	s_delay_alu instid0(SALU_CYCLE_1) | instskip(SKIP_3) | instid1(SALU_CYCLE_1)
	v_cvt_f32_u32_e32 v12, s12
	s_sub_i32 s12, 32, s14
	s_add_u32 s0, s0, 2
	s_addc_u32 s1, s1, 0
	v_cmp_ge_u64_e32 vcc_lo, s[0:1], v[8:9]
	v_ldexp_f32 v12, v12, s12
	s_delay_alu instid0(VALU_DEP_1) | instskip(SKIP_1) | instid1(VALU_DEP_1)
	v_dual_mul_f32 v12, v11, v12 :: v_dual_mov_b32 v11, v10
	s_or_b32 s11, vcc_lo, s11
	v_fma_f32 v10, v4, v10, -v12
	s_and_not1_b32 exec_lo, exec_lo, s11
	s_cbranch_execnz .LBB29_85
; %bb.86:
	s_or_b32 exec_lo, exec_lo, s11
.LBB29_87:
	s_delay_alu instid0(SALU_CYCLE_1)
	s_or_b32 exec_lo, exec_lo, s10
.LBB29_88:
	s_and_not1_saveexec_b32 s0, s9
; %bb.89:
	v_add_f32_e64 v10, s2, s2
; %bb.90:
	s_or_b32 exec_lo, exec_lo, s0
.LBB29_91:
	s_delay_alu instid0(SALU_CYCLE_1)
	s_or_b32 exec_lo, exec_lo, s8
.LBB29_92:
	s_delay_alu instid0(SALU_CYCLE_1) | instskip(SKIP_4) | instid1(VALU_DEP_1)
	s_or_b32 exec_lo, exec_lo, s3
	global_load_b32 v4, v5, s[6:7]
	s_mov_b32 s3, exec_lo
	s_waitcnt vmcnt(0)
	v_trunc_f32_e32 v5, v4
	v_mul_f32_e64 v8, 0x2f800000, |v5|
	s_delay_alu instid0(VALU_DEP_1) | instskip(NEXT) | instid1(VALU_DEP_1)
	v_floor_f32_e32 v8, v8
	v_fma_f32 v9, 0xcf800000, v8, |v5|
	v_ashrrev_i32_e32 v5, 31, v5
	v_cvt_u32_f32_e32 v8, v8
	s_delay_alu instid0(VALU_DEP_3) | instskip(NEXT) | instid1(VALU_DEP_2)
	v_cvt_u32_f32_e32 v9, v9
	v_xor_b32_e32 v8, v8, v5
	s_delay_alu instid0(VALU_DEP_2) | instskip(NEXT) | instid1(VALU_DEP_1)
	v_xor_b32_e32 v9, v9, v5
	v_sub_co_u32 v9, vcc_lo, v9, v5
	s_delay_alu instid0(VALU_DEP_3) | instskip(SKIP_1) | instid1(VALU_DEP_2)
	v_sub_co_ci_u32_e32 v5, vcc_lo, v8, v5, vcc_lo
	v_cmp_class_f32_e64 vcc_lo, v4, 0x1f8
	v_dual_mov_b32 v8, 0 :: v_dual_cndmask_b32 v5, -1, v5
	s_delay_alu instid0(VALU_DEP_4) | instskip(NEXT) | instid1(VALU_DEP_1)
	v_cndmask_b32_e32 v4, -1, v9, vcc_lo
	v_cmpx_lt_i64_e32 -1, v[4:5]
	s_cbranch_execz .LBB29_104
; %bb.93:
	v_mov_b32_e32 v8, 1.0
	s_mov_b32 s8, exec_lo
	v_cmpx_lt_i64_e32 0, v[4:5]
	s_cbranch_execz .LBB29_103
; %bb.94:
                                        ; implicit-def: $vgpr8
	s_mov_b32 s0, exec_lo
	v_cmpx_ne_u64_e32 1, v[4:5]
	s_xor_b32 s9, exec_lo, s0
	s_cbranch_execz .LBB29_100
; %bb.95:
	v_mov_b32_e32 v8, 0x7fc00000
	s_mov_b32 s10, exec_lo
	v_cmpx_gt_u64_e32 0x81, v[4:5]
	s_cbranch_execz .LBB29_99
; %bb.96:
	v_add_f32_e64 v9, s2, s2
	v_lshlrev_b64 v[4:5], 1, v[4:5]
	v_mov_b32_e32 v11, 1.0
	s_mov_b64 s[0:1], 2
	s_mov_b32 s11, 0
	v_mov_b32_e32 v8, v9
	.p2align	6
.LBB29_97:                              ; =>This Inner Loop Header: Depth=1
	s_clz_i32_u32 s12, s1
	s_delay_alu instid0(SALU_CYCLE_1) | instskip(NEXT) | instid1(SALU_CYCLE_1)
	s_min_u32 s14, s12, 32
	s_lshl_b64 s[12:13], s[0:1], s14
	s_delay_alu instid0(SALU_CYCLE_1) | instskip(NEXT) | instid1(SALU_CYCLE_1)
	s_min_u32 s12, s12, 1
	s_or_b32 s12, s13, s12
	s_delay_alu instid0(SALU_CYCLE_1) | instskip(SKIP_3) | instid1(SALU_CYCLE_1)
	v_cvt_f32_u32_e32 v12, s12
	s_sub_i32 s12, 32, s14
	s_add_u32 s0, s0, 2
	s_addc_u32 s1, s1, 0
	v_cmp_ge_u64_e32 vcc_lo, s[0:1], v[4:5]
	v_ldexp_f32 v12, v12, s12
	s_delay_alu instid0(VALU_DEP_1) | instskip(SKIP_1) | instid1(VALU_DEP_1)
	v_dual_mul_f32 v12, v11, v12 :: v_dual_mov_b32 v11, v8
	s_or_b32 s11, vcc_lo, s11
	v_fma_f32 v8, v9, v8, -v12
	s_and_not1_b32 exec_lo, exec_lo, s11
	s_cbranch_execnz .LBB29_97
; %bb.98:
	s_or_b32 exec_lo, exec_lo, s11
.LBB29_99:
	s_delay_alu instid0(SALU_CYCLE_1)
	s_or_b32 exec_lo, exec_lo, s10
.LBB29_100:
	s_and_not1_saveexec_b32 s0, s9
; %bb.101:
	v_add_f32_e64 v8, s2, s2
; %bb.102:
	s_or_b32 exec_lo, exec_lo, s0
.LBB29_103:
	s_delay_alu instid0(SALU_CYCLE_1)
	s_or_b32 exec_lo, exec_lo, s8
.LBB29_104:
	s_delay_alu instid0(SALU_CYCLE_1) | instskip(SKIP_4) | instid1(VALU_DEP_1)
	s_or_b32 exec_lo, exec_lo, s3
	global_load_b32 v4, v7, s[6:7]
	s_mov_b32 s3, exec_lo
	s_waitcnt vmcnt(0)
	v_trunc_f32_e32 v5, v4
	v_mul_f32_e64 v7, 0x2f800000, |v5|
	s_delay_alu instid0(VALU_DEP_1) | instskip(NEXT) | instid1(VALU_DEP_1)
	v_floor_f32_e32 v7, v7
	v_fma_f32 v9, 0xcf800000, v7, |v5|
	v_ashrrev_i32_e32 v5, 31, v5
	v_cvt_u32_f32_e32 v7, v7
	s_delay_alu instid0(VALU_DEP_3) | instskip(NEXT) | instid1(VALU_DEP_2)
	v_cvt_u32_f32_e32 v9, v9
	v_xor_b32_e32 v7, v7, v5
	s_delay_alu instid0(VALU_DEP_2) | instskip(NEXT) | instid1(VALU_DEP_1)
	v_xor_b32_e32 v9, v9, v5
	v_sub_co_u32 v9, vcc_lo, v9, v5
	s_delay_alu instid0(VALU_DEP_3) | instskip(SKIP_2) | instid1(VALU_DEP_3)
	v_sub_co_ci_u32_e32 v5, vcc_lo, v7, v5, vcc_lo
	v_cmp_class_f32_e64 vcc_lo, v4, 0x1f8
	v_mov_b32_e32 v7, 0
	v_cndmask_b32_e32 v5, -1, v5, vcc_lo
	v_cndmask_b32_e32 v4, -1, v9, vcc_lo
	s_delay_alu instid0(VALU_DEP_1)
	v_cmpx_lt_i64_e32 -1, v[4:5]
	s_cbranch_execz .LBB29_116
; %bb.105:
	v_mov_b32_e32 v7, 1.0
	s_mov_b32 s6, exec_lo
	v_cmpx_lt_i64_e32 0, v[4:5]
	s_cbranch_execz .LBB29_115
; %bb.106:
                                        ; implicit-def: $vgpr7
	s_mov_b32 s0, exec_lo
	v_cmpx_ne_u64_e32 1, v[4:5]
	s_xor_b32 s7, exec_lo, s0
	s_cbranch_execz .LBB29_112
; %bb.107:
	v_mov_b32_e32 v7, 0x7fc00000
	s_mov_b32 s8, exec_lo
	v_cmpx_gt_u64_e32 0x81, v[4:5]
	s_cbranch_execz .LBB29_111
; %bb.108:
	v_add_f32_e64 v9, s2, s2
	v_lshlrev_b64 v[4:5], 1, v[4:5]
	v_mov_b32_e32 v11, 1.0
	s_mov_b64 s[0:1], 2
	s_mov_b32 s9, 0
	v_mov_b32_e32 v7, v9
	.p2align	6
.LBB29_109:                             ; =>This Inner Loop Header: Depth=1
	s_clz_i32_u32 s10, s1
	s_delay_alu instid0(SALU_CYCLE_1) | instskip(NEXT) | instid1(SALU_CYCLE_1)
	s_min_u32 s12, s10, 32
	s_lshl_b64 s[10:11], s[0:1], s12
	s_delay_alu instid0(SALU_CYCLE_1) | instskip(NEXT) | instid1(SALU_CYCLE_1)
	s_min_u32 s10, s10, 1
	s_or_b32 s10, s11, s10
	s_delay_alu instid0(SALU_CYCLE_1) | instskip(SKIP_3) | instid1(SALU_CYCLE_1)
	v_cvt_f32_u32_e32 v12, s10
	s_sub_i32 s10, 32, s12
	s_add_u32 s0, s0, 2
	s_addc_u32 s1, s1, 0
	v_cmp_ge_u64_e32 vcc_lo, s[0:1], v[4:5]
	v_ldexp_f32 v12, v12, s10
	s_delay_alu instid0(VALU_DEP_1) | instskip(SKIP_2) | instid1(VALU_DEP_2)
	v_mul_f32_e32 v12, v11, v12
	v_mov_b32_e32 v11, v7
	s_or_b32 s9, vcc_lo, s9
	v_fma_f32 v7, v9, v7, -v12
	s_and_not1_b32 exec_lo, exec_lo, s9
	s_cbranch_execnz .LBB29_109
; %bb.110:
	s_or_b32 exec_lo, exec_lo, s9
.LBB29_111:
	s_delay_alu instid0(SALU_CYCLE_1)
	s_or_b32 exec_lo, exec_lo, s8
.LBB29_112:
	s_and_not1_saveexec_b32 s0, s7
; %bb.113:
	v_add_f32_e64 v7, s2, s2
; %bb.114:
	s_or_b32 exec_lo, exec_lo, s0
.LBB29_115:
	s_delay_alu instid0(SALU_CYCLE_1)
	s_or_b32 exec_lo, exec_lo, s6
.LBB29_116:
	s_delay_alu instid0(SALU_CYCLE_1)
	s_or_b32 exec_lo, exec_lo, s3
	s_clause 0x3
	global_store_b32 v0, v2, s[4:5]
	global_store_b32 v1, v10, s[4:5]
	;; [unrolled: 1-line block ×4, first 2 shown]
	s_nop 0
	s_sendmsg sendmsg(MSG_DEALLOC_VGPRS)
	s_endpgm
.LBB29_117:
	v_dual_mov_b32 v2, v3 :: v_dual_mov_b32 v1, 0
.LBB29_118:
	s_and_b32 s34, s34, 3
	s_delay_alu instid0(SALU_CYCLE_1)
	s_cmp_eq_u32 s34, 0
	s_cbranch_scc1 .LBB29_121
; %bb.119:
	s_lshl_b32 s18, s33, 3
	s_mul_i32 s20, s33, 12
	s_add_u32 s18, s18, s0
	s_addc_u32 s19, s1, 0
	s_add_u32 s18, s18, 0xc4
	s_addc_u32 s19, s19, 0
	;; [unrolled: 2-line block ×3, first 2 shown]
	.p2align	6
.LBB29_120:                             ; =>This Inner Loop Header: Depth=1
	s_clause 0x1
	s_load_b64 s[36:37], s[20:21], 0x4
	s_load_b32 s33, s[20:21], 0xc
	s_load_b64 s[38:39], s[18:19], 0x0
	s_add_u32 s20, s20, 12
	s_addc_u32 s21, s21, 0
	s_add_u32 s18, s18, 8
	s_addc_u32 s19, s19, 0
	s_add_i32 s34, s34, -1
	s_delay_alu instid0(SALU_CYCLE_1) | instskip(SKIP_2) | instid1(VALU_DEP_1)
	s_cmp_lg_u32 s34, 0
	s_waitcnt lgkmcnt(0)
	v_mul_hi_u32 v5, s37, v2
	v_add_nc_u32_e32 v5, v2, v5
	s_delay_alu instid0(VALU_DEP_1) | instskip(NEXT) | instid1(VALU_DEP_1)
	v_lshrrev_b32_e32 v8, s33, v5
	v_mul_lo_u32 v5, v8, s36
	s_delay_alu instid0(VALU_DEP_1) | instskip(NEXT) | instid1(VALU_DEP_1)
	v_sub_nc_u32_e32 v2, v2, v5
	v_mad_u64_u32 v[5:6], null, v2, s38, v[0:1]
	v_mad_u64_u32 v[6:7], null, v2, s39, v[1:2]
	v_mov_b32_e32 v2, v8
	s_delay_alu instid0(VALU_DEP_2)
	v_dual_mov_b32 v0, v5 :: v_dual_mov_b32 v1, v6
	s_cbranch_scc1 .LBB29_120
.LBB29_121:
	s_and_not1_b32 vcc_lo, exec_lo, s31
	s_cbranch_vccnz .LBB29_124
; %bb.122:
	v_mul_hi_u32 v0, s13, v3
	s_and_not1_b32 vcc_lo, exec_lo, s26
	s_delay_alu instid0(VALU_DEP_1) | instskip(NEXT) | instid1(VALU_DEP_1)
	v_add_nc_u32_e32 v0, v3, v0
	v_lshrrev_b32_e32 v2, s14, v0
	s_delay_alu instid0(VALU_DEP_1) | instskip(NEXT) | instid1(VALU_DEP_1)
	v_mul_lo_u32 v0, v2, s12
	v_sub_nc_u32_e32 v1, v3, v0
	s_delay_alu instid0(VALU_DEP_1)
	v_mul_lo_u32 v0, v1, s8
	v_mul_lo_u32 v1, v1, s9
	s_cbranch_vccnz .LBB29_124
; %bb.123:
	v_mul_hi_u32 v5, s2, v2
	s_delay_alu instid0(VALU_DEP_1) | instskip(NEXT) | instid1(VALU_DEP_1)
	v_add_nc_u32_e32 v5, v2, v5
	v_lshrrev_b32_e32 v5, s3, v5
	s_delay_alu instid0(VALU_DEP_1) | instskip(NEXT) | instid1(VALU_DEP_1)
	v_mul_lo_u32 v5, v5, s15
	v_sub_nc_u32_e32 v2, v2, v5
	s_delay_alu instid0(VALU_DEP_1) | instskip(SKIP_1) | instid1(VALU_DEP_1)
	v_mad_u64_u32 v[5:6], null, v2, s10, v[0:1]
	v_mad_u64_u32 v[6:7], null, v2, s11, v[1:2]
	v_dual_mov_b32 v0, v5 :: v_dual_mov_b32 v1, v6
.LBB29_124:
	global_load_b32 v1, v1, s[6:7]
	s_mov_b32 s20, exec_lo
	s_waitcnt vmcnt(0)
	v_trunc_f32_e32 v2, v1
	s_delay_alu instid0(VALU_DEP_1) | instskip(NEXT) | instid1(VALU_DEP_1)
	v_mul_f32_e64 v5, 0x2f800000, |v2|
	v_floor_f32_e32 v5, v5
	s_delay_alu instid0(VALU_DEP_1) | instskip(SKIP_2) | instid1(VALU_DEP_3)
	v_fma_f32 v6, 0xcf800000, v5, |v2|
	v_ashrrev_i32_e32 v2, 31, v2
	v_cvt_u32_f32_e32 v5, v5
	v_cvt_u32_f32_e32 v6, v6
	s_delay_alu instid0(VALU_DEP_2) | instskip(NEXT) | instid1(VALU_DEP_2)
	v_xor_b32_e32 v5, v5, v2
	v_xor_b32_e32 v6, v6, v2
	s_delay_alu instid0(VALU_DEP_1) | instskip(NEXT) | instid1(VALU_DEP_3)
	v_sub_co_u32 v6, vcc_lo, v6, v2
	v_sub_co_ci_u32_e32 v2, vcc_lo, v5, v2, vcc_lo
	v_cmp_class_f32_e64 vcc_lo, v1, 0x1f8
	s_delay_alu instid0(VALU_DEP_2) | instskip(NEXT) | instid1(VALU_DEP_4)
	v_dual_mov_b32 v5, 0 :: v_dual_cndmask_b32 v2, -1, v2
	v_cndmask_b32_e32 v1, -1, v6, vcc_lo
	s_delay_alu instid0(VALU_DEP_1)
	v_cmpx_lt_i64_e32 -1, v[1:2]
	s_cbranch_execz .LBB29_136
; %bb.125:
	v_mov_b32_e32 v5, 1.0
	s_mov_b32 s21, exec_lo
	v_cmpx_lt_i64_e32 0, v[1:2]
	s_cbranch_execz .LBB29_135
; %bb.126:
                                        ; implicit-def: $vgpr5
	s_mov_b32 s18, exec_lo
	v_cmpx_ne_u64_e32 1, v[1:2]
	s_xor_b32 s31, exec_lo, s18
	s_cbranch_execz .LBB29_132
; %bb.127:
	v_mov_b32_e32 v5, 0x7fc00000
	s_mov_b32 s33, exec_lo
	v_cmpx_gt_u64_e32 0x81, v[1:2]
	s_cbranch_execz .LBB29_131
; %bb.128:
	v_lshlrev_b64 v[1:2], 1, v[1:2]
	v_dual_mov_b32 v6, 1.0 :: v_dual_mov_b32 v5, v4
	s_mov_b64 s[18:19], 2
	s_mov_b32 s34, 0
	.p2align	6
.LBB29_129:                             ; =>This Inner Loop Header: Depth=1
	s_clz_i32_u32 s35, s19
	s_delay_alu instid0(SALU_CYCLE_1) | instskip(NEXT) | instid1(SALU_CYCLE_1)
	s_min_u32 s35, s35, 32
	s_lshl_b64 s[36:37], s[18:19], s35
	s_sub_i32 s35, 32, s35
	s_min_u32 s36, s36, 1
	s_delay_alu instid0(SALU_CYCLE_1) | instskip(SKIP_3) | instid1(SALU_CYCLE_1)
	s_or_b32 s36, s37, s36
	s_add_u32 s18, s18, 2
	v_cvt_f32_u32_e32 v7, s36
	s_addc_u32 s19, s19, 0
	v_cmp_ge_u64_e32 vcc_lo, s[18:19], v[1:2]
	s_delay_alu instid0(VALU_DEP_2) | instskip(SKIP_1) | instid1(VALU_DEP_1)
	v_ldexp_f32 v7, v7, s35
	s_or_b32 s34, vcc_lo, s34
	v_dual_mul_f32 v7, v6, v7 :: v_dual_mov_b32 v6, v5
	s_delay_alu instid0(VALU_DEP_1)
	v_fma_f32 v5, v4, v5, -v7
	s_and_not1_b32 exec_lo, exec_lo, s34
	s_cbranch_execnz .LBB29_129
; %bb.130:
	s_or_b32 exec_lo, exec_lo, s34
.LBB29_131:
	s_delay_alu instid0(SALU_CYCLE_1)
	s_or_b32 exec_lo, exec_lo, s33
.LBB29_132:
	s_and_not1_saveexec_b32 s18, s31
; %bb.133:
	v_mov_b32_e32 v5, v4
; %bb.134:
	s_or_b32 exec_lo, exec_lo, s18
.LBB29_135:
	s_delay_alu instid0(SALU_CYCLE_1)
	s_or_b32 exec_lo, exec_lo, s21
.LBB29_136:
	s_delay_alu instid0(SALU_CYCLE_1) | instskip(SKIP_3) | instid1(SALU_CYCLE_1)
	s_or_b32 exec_lo, exec_lo, s20
	v_add_nc_u32_e32 v3, 0x80, v3
	global_store_b32 v0, v5, s[4:5]
	s_or_b32 exec_lo, exec_lo, s30
	s_mov_b32 s30, exec_lo
	v_cmpx_gt_i32_e64 s27, v3
	s_cbranch_execnz .LBB29_15
.LBB29_137:
	s_or_b32 exec_lo, exec_lo, s30
	s_delay_alu instid0(SALU_CYCLE_1)
	s_mov_b32 s30, exec_lo
	v_cmpx_gt_i32_e64 s27, v3
	s_cbranch_execz .LBB29_164
.LBB29_138:
	s_and_not1_b32 vcc_lo, exec_lo, s24
	s_cbranch_vccnz .LBB29_143
; %bb.139:
	v_dual_mov_b32 v0, 0 :: v_dual_mov_b32 v1, 0
	s_and_not1_b32 vcc_lo, exec_lo, s29
	s_mov_b32 s31, 0
	s_cbranch_vccnz .LBB29_171
; %bb.140:
	v_mov_b32_e32 v0, 0
	s_add_i32 s34, s28, 1
	s_cmp_eq_u32 s23, 2
	s_mov_b32 s33, 0
	s_cbranch_scc1 .LBB29_167
; %bb.141:
	v_dual_mov_b32 v1, 0 :: v_dual_mov_b32 v0, 0
	v_mov_b32_e32 v2, v3
	s_and_b32 s33, s34, 28
	s_mov_b32 s35, 0
	s_mov_b64 s[18:19], s[16:17]
	s_mov_b64 s[20:21], s[0:1]
.LBB29_142:                             ; =>This Inner Loop Header: Depth=1
	s_clause 0x1
	s_load_b256 s[36:43], s[20:21], 0x4
	s_load_b128 s[52:55], s[20:21], 0x24
	s_load_b256 s[44:51], s[18:19], 0x0
	s_add_u32 s20, s20, 48
	s_addc_u32 s21, s21, 0
	s_add_i32 s35, s35, 4
	s_add_u32 s18, s18, 32
	s_addc_u32 s19, s19, 0
	s_cmp_eq_u32 s33, s35
	s_waitcnt lgkmcnt(0)
	v_mul_hi_u32 v5, s37, v2
	s_delay_alu instid0(VALU_DEP_1) | instskip(NEXT) | instid1(VALU_DEP_1)
	v_add_nc_u32_e32 v5, v2, v5
	v_lshrrev_b32_e32 v5, s38, v5
	s_delay_alu instid0(VALU_DEP_1) | instskip(SKIP_1) | instid1(VALU_DEP_2)
	v_mul_hi_u32 v6, s40, v5
	v_mul_lo_u32 v8, v5, s36
	v_add_nc_u32_e32 v6, v5, v6
	s_delay_alu instid0(VALU_DEP_2) | instskip(NEXT) | instid1(VALU_DEP_2)
	v_sub_nc_u32_e32 v2, v2, v8
	v_lshrrev_b32_e32 v6, s41, v6
	s_delay_alu instid0(VALU_DEP_2) | instskip(SKIP_1) | instid1(VALU_DEP_3)
	v_mul_lo_u32 v8, v2, s44
	v_mul_lo_u32 v10, v2, s45
	v_mul_hi_u32 v7, s43, v6
	s_delay_alu instid0(VALU_DEP_1) | instskip(NEXT) | instid1(VALU_DEP_1)
	v_add_nc_u32_e32 v7, v6, v7
	v_lshrrev_b32_e32 v7, s52, v7
	s_delay_alu instid0(VALU_DEP_1) | instskip(SKIP_1) | instid1(VALU_DEP_2)
	v_mul_hi_u32 v9, s54, v7
	v_mul_lo_u32 v11, v7, s42
	v_add_nc_u32_e32 v2, v7, v9
	v_mul_lo_u32 v9, v6, s39
	s_delay_alu instid0(VALU_DEP_3) | instskip(NEXT) | instid1(VALU_DEP_3)
	v_sub_nc_u32_e32 v6, v6, v11
	v_lshrrev_b32_e32 v2, s55, v2
	s_delay_alu instid0(VALU_DEP_2) | instskip(SKIP_2) | instid1(VALU_DEP_4)
	v_mul_lo_u32 v11, v6, s48
	v_mul_lo_u32 v6, v6, s49
	v_sub_nc_u32_e32 v5, v5, v9
	v_mul_lo_u32 v12, v2, s53
	s_delay_alu instid0(VALU_DEP_2) | instskip(SKIP_1) | instid1(VALU_DEP_3)
	v_mul_lo_u32 v9, v5, s46
	v_mul_lo_u32 v5, v5, s47
	v_sub_nc_u32_e32 v7, v7, v12
	s_delay_alu instid0(VALU_DEP_3) | instskip(NEXT) | instid1(VALU_DEP_2)
	v_add3_u32 v0, v8, v0, v9
	v_mul_lo_u32 v12, v7, s50
	v_mul_lo_u32 v7, v7, s51
	v_add3_u32 v1, v10, v1, v5
	s_delay_alu instid0(VALU_DEP_3) | instskip(NEXT) | instid1(VALU_DEP_2)
	v_add3_u32 v0, v11, v0, v12
	v_add3_u32 v1, v6, v1, v7
	s_cbranch_scc0 .LBB29_142
	s_branch .LBB29_168
.LBB29_143:
	s_mov_b32 s31, -1
                                        ; implicit-def: $vgpr0
                                        ; implicit-def: $vgpr1
	s_branch .LBB29_171
.LBB29_144:
	v_dual_mov_b32 v2, v3 :: v_dual_mov_b32 v1, 0
.LBB29_145:
	s_and_b32 s34, s34, 3
	s_delay_alu instid0(SALU_CYCLE_1)
	s_cmp_eq_u32 s34, 0
	s_cbranch_scc1 .LBB29_148
; %bb.146:
	s_lshl_b32 s18, s33, 3
	s_mul_i32 s20, s33, 12
	s_add_u32 s18, s18, s0
	s_addc_u32 s19, s1, 0
	s_add_u32 s18, s18, 0xc4
	s_addc_u32 s19, s19, 0
	;; [unrolled: 2-line block ×3, first 2 shown]
	.p2align	6
.LBB29_147:                             ; =>This Inner Loop Header: Depth=1
	s_clause 0x1
	s_load_b64 s[36:37], s[20:21], 0x4
	s_load_b32 s33, s[20:21], 0xc
	s_load_b64 s[38:39], s[18:19], 0x0
	s_add_u32 s20, s20, 12
	s_addc_u32 s21, s21, 0
	s_add_u32 s18, s18, 8
	s_addc_u32 s19, s19, 0
	s_add_i32 s34, s34, -1
	s_delay_alu instid0(SALU_CYCLE_1) | instskip(SKIP_2) | instid1(VALU_DEP_1)
	s_cmp_lg_u32 s34, 0
	s_waitcnt lgkmcnt(0)
	v_mul_hi_u32 v5, s37, v2
	v_add_nc_u32_e32 v5, v2, v5
	s_delay_alu instid0(VALU_DEP_1) | instskip(NEXT) | instid1(VALU_DEP_1)
	v_lshrrev_b32_e32 v8, s33, v5
	v_mul_lo_u32 v5, v8, s36
	s_delay_alu instid0(VALU_DEP_1) | instskip(NEXT) | instid1(VALU_DEP_1)
	v_sub_nc_u32_e32 v2, v2, v5
	v_mad_u64_u32 v[5:6], null, v2, s38, v[0:1]
	v_mad_u64_u32 v[6:7], null, v2, s39, v[1:2]
	v_mov_b32_e32 v2, v8
	s_delay_alu instid0(VALU_DEP_2)
	v_dual_mov_b32 v0, v5 :: v_dual_mov_b32 v1, v6
	s_cbranch_scc1 .LBB29_147
.LBB29_148:
	s_and_not1_b32 vcc_lo, exec_lo, s31
	s_cbranch_vccnz .LBB29_151
; %bb.149:
	v_mul_hi_u32 v0, s13, v3
	s_and_not1_b32 vcc_lo, exec_lo, s26
	s_delay_alu instid0(VALU_DEP_1) | instskip(NEXT) | instid1(VALU_DEP_1)
	v_add_nc_u32_e32 v0, v3, v0
	v_lshrrev_b32_e32 v2, s14, v0
	s_delay_alu instid0(VALU_DEP_1) | instskip(NEXT) | instid1(VALU_DEP_1)
	v_mul_lo_u32 v0, v2, s12
	v_sub_nc_u32_e32 v1, v3, v0
	s_delay_alu instid0(VALU_DEP_1)
	v_mul_lo_u32 v0, v1, s8
	v_mul_lo_u32 v1, v1, s9
	s_cbranch_vccnz .LBB29_151
; %bb.150:
	v_mul_hi_u32 v5, s2, v2
	s_delay_alu instid0(VALU_DEP_1) | instskip(NEXT) | instid1(VALU_DEP_1)
	v_add_nc_u32_e32 v5, v2, v5
	v_lshrrev_b32_e32 v5, s3, v5
	s_delay_alu instid0(VALU_DEP_1) | instskip(NEXT) | instid1(VALU_DEP_1)
	v_mul_lo_u32 v5, v5, s15
	v_sub_nc_u32_e32 v2, v2, v5
	s_delay_alu instid0(VALU_DEP_1) | instskip(SKIP_1) | instid1(VALU_DEP_1)
	v_mad_u64_u32 v[5:6], null, v2, s10, v[0:1]
	v_mad_u64_u32 v[6:7], null, v2, s11, v[1:2]
	v_dual_mov_b32 v0, v5 :: v_dual_mov_b32 v1, v6
.LBB29_151:
	global_load_b32 v1, v1, s[6:7]
	s_mov_b32 s20, exec_lo
	s_waitcnt vmcnt(0)
	v_trunc_f32_e32 v2, v1
	s_delay_alu instid0(VALU_DEP_1) | instskip(NEXT) | instid1(VALU_DEP_1)
	v_mul_f32_e64 v5, 0x2f800000, |v2|
	v_floor_f32_e32 v5, v5
	s_delay_alu instid0(VALU_DEP_1) | instskip(SKIP_2) | instid1(VALU_DEP_3)
	v_fma_f32 v6, 0xcf800000, v5, |v2|
	v_ashrrev_i32_e32 v2, 31, v2
	v_cvt_u32_f32_e32 v5, v5
	v_cvt_u32_f32_e32 v6, v6
	s_delay_alu instid0(VALU_DEP_2) | instskip(NEXT) | instid1(VALU_DEP_2)
	v_xor_b32_e32 v5, v5, v2
	v_xor_b32_e32 v6, v6, v2
	s_delay_alu instid0(VALU_DEP_1) | instskip(NEXT) | instid1(VALU_DEP_3)
	v_sub_co_u32 v6, vcc_lo, v6, v2
	v_sub_co_ci_u32_e32 v2, vcc_lo, v5, v2, vcc_lo
	v_cmp_class_f32_e64 vcc_lo, v1, 0x1f8
	s_delay_alu instid0(VALU_DEP_2) | instskip(NEXT) | instid1(VALU_DEP_4)
	v_dual_mov_b32 v5, 0 :: v_dual_cndmask_b32 v2, -1, v2
	v_cndmask_b32_e32 v1, -1, v6, vcc_lo
	s_delay_alu instid0(VALU_DEP_1)
	v_cmpx_lt_i64_e32 -1, v[1:2]
	s_cbranch_execz .LBB29_163
; %bb.152:
	v_mov_b32_e32 v5, 1.0
	s_mov_b32 s21, exec_lo
	v_cmpx_lt_i64_e32 0, v[1:2]
	s_cbranch_execz .LBB29_162
; %bb.153:
                                        ; implicit-def: $vgpr5
	s_mov_b32 s18, exec_lo
	v_cmpx_ne_u64_e32 1, v[1:2]
	s_xor_b32 s31, exec_lo, s18
	s_cbranch_execz .LBB29_159
; %bb.154:
	v_mov_b32_e32 v5, 0x7fc00000
	s_mov_b32 s33, exec_lo
	v_cmpx_gt_u64_e32 0x81, v[1:2]
	s_cbranch_execz .LBB29_158
; %bb.155:
	v_lshlrev_b64 v[1:2], 1, v[1:2]
	v_dual_mov_b32 v6, 1.0 :: v_dual_mov_b32 v5, v4
	s_mov_b64 s[18:19], 2
	s_mov_b32 s34, 0
	.p2align	6
.LBB29_156:                             ; =>This Inner Loop Header: Depth=1
	s_clz_i32_u32 s35, s19
	s_delay_alu instid0(SALU_CYCLE_1) | instskip(NEXT) | instid1(SALU_CYCLE_1)
	s_min_u32 s35, s35, 32
	s_lshl_b64 s[36:37], s[18:19], s35
	s_sub_i32 s35, 32, s35
	s_min_u32 s36, s36, 1
	s_delay_alu instid0(SALU_CYCLE_1) | instskip(SKIP_3) | instid1(SALU_CYCLE_1)
	s_or_b32 s36, s37, s36
	s_add_u32 s18, s18, 2
	v_cvt_f32_u32_e32 v7, s36
	s_addc_u32 s19, s19, 0
	v_cmp_ge_u64_e32 vcc_lo, s[18:19], v[1:2]
	s_delay_alu instid0(VALU_DEP_2) | instskip(SKIP_1) | instid1(VALU_DEP_1)
	v_ldexp_f32 v7, v7, s35
	s_or_b32 s34, vcc_lo, s34
	v_dual_mul_f32 v7, v6, v7 :: v_dual_mov_b32 v6, v5
	s_delay_alu instid0(VALU_DEP_1)
	v_fma_f32 v5, v4, v5, -v7
	s_and_not1_b32 exec_lo, exec_lo, s34
	s_cbranch_execnz .LBB29_156
; %bb.157:
	s_or_b32 exec_lo, exec_lo, s34
.LBB29_158:
	s_delay_alu instid0(SALU_CYCLE_1)
	s_or_b32 exec_lo, exec_lo, s33
.LBB29_159:
	s_and_not1_saveexec_b32 s18, s31
; %bb.160:
	v_mov_b32_e32 v5, v4
; %bb.161:
	s_or_b32 exec_lo, exec_lo, s18
.LBB29_162:
	s_delay_alu instid0(SALU_CYCLE_1)
	s_or_b32 exec_lo, exec_lo, s21
.LBB29_163:
	s_delay_alu instid0(SALU_CYCLE_1) | instskip(SKIP_3) | instid1(SALU_CYCLE_1)
	s_or_b32 exec_lo, exec_lo, s20
	v_add_nc_u32_e32 v3, 0x80, v3
	global_store_b32 v0, v5, s[4:5]
	s_or_b32 exec_lo, exec_lo, s30
	s_mov_b32 s30, exec_lo
	v_cmpx_gt_i32_e64 s27, v3
	s_cbranch_execnz .LBB29_138
.LBB29_164:
	s_or_b32 exec_lo, exec_lo, s30
	s_delay_alu instid0(SALU_CYCLE_1)
	s_mov_b32 s20, exec_lo
	v_cmpx_gt_i32_e64 s27, v3
	s_cbranch_execnz .LBB29_187
.LBB29_165:
	s_or_b32 exec_lo, exec_lo, s20
                                        ; implicit-def: $vgpr8
                                        ; implicit-def: $vgpr3
	s_and_not1_saveexec_b32 s2, s25
	s_cbranch_execnz .LBB29_8
.LBB29_166:
	s_nop 0
	s_sendmsg sendmsg(MSG_DEALLOC_VGPRS)
	s_endpgm
.LBB29_167:
	v_dual_mov_b32 v2, v3 :: v_dual_mov_b32 v1, 0
.LBB29_168:
	s_and_b32 s34, s34, 3
	s_delay_alu instid0(SALU_CYCLE_1)
	s_cmp_eq_u32 s34, 0
	s_cbranch_scc1 .LBB29_171
; %bb.169:
	s_lshl_b32 s18, s33, 3
	s_mul_i32 s20, s33, 12
	s_add_u32 s18, s18, s0
	s_addc_u32 s19, s1, 0
	s_add_u32 s18, s18, 0xc4
	s_addc_u32 s19, s19, 0
	;; [unrolled: 2-line block ×3, first 2 shown]
	.p2align	6
.LBB29_170:                             ; =>This Inner Loop Header: Depth=1
	s_clause 0x1
	s_load_b64 s[36:37], s[20:21], 0x4
	s_load_b32 s33, s[20:21], 0xc
	s_load_b64 s[38:39], s[18:19], 0x0
	s_add_u32 s20, s20, 12
	s_addc_u32 s21, s21, 0
	s_add_u32 s18, s18, 8
	s_addc_u32 s19, s19, 0
	s_add_i32 s34, s34, -1
	s_delay_alu instid0(SALU_CYCLE_1) | instskip(SKIP_2) | instid1(VALU_DEP_1)
	s_cmp_lg_u32 s34, 0
	s_waitcnt lgkmcnt(0)
	v_mul_hi_u32 v5, s37, v2
	v_add_nc_u32_e32 v5, v2, v5
	s_delay_alu instid0(VALU_DEP_1) | instskip(NEXT) | instid1(VALU_DEP_1)
	v_lshrrev_b32_e32 v8, s33, v5
	v_mul_lo_u32 v5, v8, s36
	s_delay_alu instid0(VALU_DEP_1) | instskip(NEXT) | instid1(VALU_DEP_1)
	v_sub_nc_u32_e32 v2, v2, v5
	v_mad_u64_u32 v[5:6], null, v2, s38, v[0:1]
	v_mad_u64_u32 v[6:7], null, v2, s39, v[1:2]
	v_mov_b32_e32 v2, v8
	s_delay_alu instid0(VALU_DEP_2)
	v_dual_mov_b32 v0, v5 :: v_dual_mov_b32 v1, v6
	s_cbranch_scc1 .LBB29_170
.LBB29_171:
	s_and_not1_b32 vcc_lo, exec_lo, s31
	s_cbranch_vccnz .LBB29_174
; %bb.172:
	v_mul_hi_u32 v0, s13, v3
	s_and_not1_b32 vcc_lo, exec_lo, s26
	s_delay_alu instid0(VALU_DEP_1) | instskip(NEXT) | instid1(VALU_DEP_1)
	v_add_nc_u32_e32 v0, v3, v0
	v_lshrrev_b32_e32 v2, s14, v0
	s_delay_alu instid0(VALU_DEP_1) | instskip(NEXT) | instid1(VALU_DEP_1)
	v_mul_lo_u32 v0, v2, s12
	v_sub_nc_u32_e32 v1, v3, v0
	s_delay_alu instid0(VALU_DEP_1)
	v_mul_lo_u32 v0, v1, s8
	v_mul_lo_u32 v1, v1, s9
	s_cbranch_vccnz .LBB29_174
; %bb.173:
	v_mul_hi_u32 v5, s2, v2
	s_delay_alu instid0(VALU_DEP_1) | instskip(NEXT) | instid1(VALU_DEP_1)
	v_add_nc_u32_e32 v5, v2, v5
	v_lshrrev_b32_e32 v5, s3, v5
	s_delay_alu instid0(VALU_DEP_1) | instskip(NEXT) | instid1(VALU_DEP_1)
	v_mul_lo_u32 v5, v5, s15
	v_sub_nc_u32_e32 v2, v2, v5
	s_delay_alu instid0(VALU_DEP_1) | instskip(SKIP_1) | instid1(VALU_DEP_1)
	v_mad_u64_u32 v[5:6], null, v2, s10, v[0:1]
	v_mad_u64_u32 v[6:7], null, v2, s11, v[1:2]
	v_dual_mov_b32 v0, v5 :: v_dual_mov_b32 v1, v6
.LBB29_174:
	global_load_b32 v1, v1, s[6:7]
	s_mov_b32 s20, exec_lo
	s_waitcnt vmcnt(0)
	v_trunc_f32_e32 v2, v1
	s_delay_alu instid0(VALU_DEP_1) | instskip(NEXT) | instid1(VALU_DEP_1)
	v_mul_f32_e64 v5, 0x2f800000, |v2|
	v_floor_f32_e32 v5, v5
	s_delay_alu instid0(VALU_DEP_1) | instskip(SKIP_2) | instid1(VALU_DEP_3)
	v_fma_f32 v6, 0xcf800000, v5, |v2|
	v_ashrrev_i32_e32 v2, 31, v2
	v_cvt_u32_f32_e32 v5, v5
	v_cvt_u32_f32_e32 v6, v6
	s_delay_alu instid0(VALU_DEP_2) | instskip(NEXT) | instid1(VALU_DEP_2)
	v_xor_b32_e32 v5, v5, v2
	v_xor_b32_e32 v6, v6, v2
	s_delay_alu instid0(VALU_DEP_1) | instskip(NEXT) | instid1(VALU_DEP_3)
	v_sub_co_u32 v6, vcc_lo, v6, v2
	v_sub_co_ci_u32_e32 v2, vcc_lo, v5, v2, vcc_lo
	v_cmp_class_f32_e64 vcc_lo, v1, 0x1f8
	s_delay_alu instid0(VALU_DEP_2) | instskip(NEXT) | instid1(VALU_DEP_4)
	v_dual_mov_b32 v5, 0 :: v_dual_cndmask_b32 v2, -1, v2
	v_cndmask_b32_e32 v1, -1, v6, vcc_lo
	s_delay_alu instid0(VALU_DEP_1)
	v_cmpx_lt_i64_e32 -1, v[1:2]
	s_cbranch_execz .LBB29_186
; %bb.175:
	v_mov_b32_e32 v5, 1.0
	s_mov_b32 s21, exec_lo
	v_cmpx_lt_i64_e32 0, v[1:2]
	s_cbranch_execz .LBB29_185
; %bb.176:
                                        ; implicit-def: $vgpr5
	s_mov_b32 s18, exec_lo
	v_cmpx_ne_u64_e32 1, v[1:2]
	s_xor_b32 s31, exec_lo, s18
	s_cbranch_execz .LBB29_182
; %bb.177:
	v_mov_b32_e32 v5, 0x7fc00000
	s_mov_b32 s33, exec_lo
	v_cmpx_gt_u64_e32 0x81, v[1:2]
	s_cbranch_execz .LBB29_181
; %bb.178:
	v_lshlrev_b64 v[1:2], 1, v[1:2]
	v_dual_mov_b32 v6, 1.0 :: v_dual_mov_b32 v5, v4
	s_mov_b64 s[18:19], 2
	s_mov_b32 s34, 0
	.p2align	6
.LBB29_179:                             ; =>This Inner Loop Header: Depth=1
	s_clz_i32_u32 s35, s19
	s_delay_alu instid0(SALU_CYCLE_1) | instskip(NEXT) | instid1(SALU_CYCLE_1)
	s_min_u32 s35, s35, 32
	s_lshl_b64 s[36:37], s[18:19], s35
	s_sub_i32 s35, 32, s35
	s_min_u32 s36, s36, 1
	s_delay_alu instid0(SALU_CYCLE_1) | instskip(SKIP_3) | instid1(SALU_CYCLE_1)
	s_or_b32 s36, s37, s36
	s_add_u32 s18, s18, 2
	v_cvt_f32_u32_e32 v7, s36
	s_addc_u32 s19, s19, 0
	v_cmp_ge_u64_e32 vcc_lo, s[18:19], v[1:2]
	s_delay_alu instid0(VALU_DEP_2) | instskip(SKIP_1) | instid1(VALU_DEP_1)
	v_ldexp_f32 v7, v7, s35
	s_or_b32 s34, vcc_lo, s34
	v_dual_mul_f32 v7, v6, v7 :: v_dual_mov_b32 v6, v5
	s_delay_alu instid0(VALU_DEP_1)
	v_fma_f32 v5, v4, v5, -v7
	s_and_not1_b32 exec_lo, exec_lo, s34
	s_cbranch_execnz .LBB29_179
; %bb.180:
	s_or_b32 exec_lo, exec_lo, s34
.LBB29_181:
	s_delay_alu instid0(SALU_CYCLE_1)
	s_or_b32 exec_lo, exec_lo, s33
.LBB29_182:
	s_and_not1_saveexec_b32 s18, s31
; %bb.183:
	v_mov_b32_e32 v5, v4
; %bb.184:
	s_or_b32 exec_lo, exec_lo, s18
.LBB29_185:
	s_delay_alu instid0(SALU_CYCLE_1)
	s_or_b32 exec_lo, exec_lo, s21
.LBB29_186:
	s_delay_alu instid0(SALU_CYCLE_1) | instskip(SKIP_3) | instid1(SALU_CYCLE_1)
	s_or_b32 exec_lo, exec_lo, s20
	v_add_nc_u32_e32 v3, 0x80, v3
	global_store_b32 v0, v5, s[4:5]
	s_or_b32 exec_lo, exec_lo, s30
	s_mov_b32 s20, exec_lo
	v_cmpx_gt_i32_e64 s27, v3
	s_cbranch_execz .LBB29_165
.LBB29_187:
	s_and_not1_b32 vcc_lo, exec_lo, s24
	s_cbranch_vccnz .LBB29_192
; %bb.188:
	v_dual_mov_b32 v0, 0 :: v_dual_mov_b32 v1, 0
	s_and_not1_b32 vcc_lo, exec_lo, s29
	s_mov_b32 s21, 0
	s_cbranch_vccnz .LBB29_197
; %bb.189:
	v_mov_b32_e32 v0, 0
	s_add_i32 s28, s28, 1
	s_cmp_eq_u32 s23, 2
	s_mov_b32 s27, 0
	s_cbranch_scc1 .LBB29_193
; %bb.190:
	v_dual_mov_b32 v1, 0 :: v_dual_mov_b32 v0, 0
	v_mov_b32_e32 v2, v3
	s_and_b32 s27, s28, 28
	s_mov_b32 s29, 0
	s_mov_b64 s[18:19], s[0:1]
.LBB29_191:                             ; =>This Inner Loop Header: Depth=1
	s_clause 0x1
	s_load_b256 s[36:43], s[18:19], 0x4
	s_load_b128 s[52:55], s[18:19], 0x24
	s_load_b256 s[44:51], s[16:17], 0x0
	s_add_u32 s18, s18, 48
	s_addc_u32 s19, s19, 0
	s_add_i32 s29, s29, 4
	s_add_u32 s16, s16, 32
	s_addc_u32 s17, s17, 0
	s_cmp_eq_u32 s27, s29
	s_waitcnt lgkmcnt(0)
	v_mul_hi_u32 v5, s37, v2
	s_delay_alu instid0(VALU_DEP_1) | instskip(NEXT) | instid1(VALU_DEP_1)
	v_add_nc_u32_e32 v5, v2, v5
	v_lshrrev_b32_e32 v5, s38, v5
	s_delay_alu instid0(VALU_DEP_1) | instskip(SKIP_1) | instid1(VALU_DEP_2)
	v_mul_hi_u32 v6, s40, v5
	v_mul_lo_u32 v8, v5, s36
	v_add_nc_u32_e32 v6, v5, v6
	s_delay_alu instid0(VALU_DEP_2) | instskip(NEXT) | instid1(VALU_DEP_2)
	v_sub_nc_u32_e32 v2, v2, v8
	v_lshrrev_b32_e32 v6, s41, v6
	s_delay_alu instid0(VALU_DEP_2) | instskip(SKIP_1) | instid1(VALU_DEP_3)
	v_mul_lo_u32 v8, v2, s44
	v_mul_lo_u32 v10, v2, s45
	v_mul_hi_u32 v7, s43, v6
	s_delay_alu instid0(VALU_DEP_1) | instskip(NEXT) | instid1(VALU_DEP_1)
	v_add_nc_u32_e32 v7, v6, v7
	v_lshrrev_b32_e32 v7, s52, v7
	s_delay_alu instid0(VALU_DEP_1) | instskip(SKIP_1) | instid1(VALU_DEP_2)
	v_mul_hi_u32 v9, s54, v7
	v_mul_lo_u32 v11, v7, s42
	v_add_nc_u32_e32 v2, v7, v9
	v_mul_lo_u32 v9, v6, s39
	s_delay_alu instid0(VALU_DEP_3) | instskip(NEXT) | instid1(VALU_DEP_3)
	v_sub_nc_u32_e32 v6, v6, v11
	v_lshrrev_b32_e32 v2, s55, v2
	s_delay_alu instid0(VALU_DEP_2) | instskip(SKIP_2) | instid1(VALU_DEP_4)
	v_mul_lo_u32 v11, v6, s48
	v_mul_lo_u32 v6, v6, s49
	v_sub_nc_u32_e32 v5, v5, v9
	v_mul_lo_u32 v12, v2, s53
	s_delay_alu instid0(VALU_DEP_2) | instskip(SKIP_1) | instid1(VALU_DEP_3)
	v_mul_lo_u32 v9, v5, s46
	v_mul_lo_u32 v5, v5, s47
	v_sub_nc_u32_e32 v7, v7, v12
	s_delay_alu instid0(VALU_DEP_3) | instskip(NEXT) | instid1(VALU_DEP_2)
	v_add3_u32 v0, v8, v0, v9
	v_mul_lo_u32 v12, v7, s50
	v_mul_lo_u32 v7, v7, s51
	v_add3_u32 v1, v10, v1, v5
	s_delay_alu instid0(VALU_DEP_3) | instskip(NEXT) | instid1(VALU_DEP_2)
	v_add3_u32 v0, v11, v0, v12
	v_add3_u32 v1, v6, v1, v7
	s_cbranch_scc0 .LBB29_191
	s_branch .LBB29_194
.LBB29_192:
	s_mov_b32 s21, -1
                                        ; implicit-def: $vgpr0
                                        ; implicit-def: $vgpr1
	s_branch .LBB29_197
.LBB29_193:
	v_dual_mov_b32 v2, v3 :: v_dual_mov_b32 v1, 0
.LBB29_194:
	s_and_b32 s28, s28, 3
	s_delay_alu instid0(SALU_CYCLE_1)
	s_cmp_eq_u32 s28, 0
	s_cbranch_scc1 .LBB29_197
; %bb.195:
	s_lshl_b32 s16, s27, 3
	s_mul_i32 s18, s27, 12
	s_add_u32 s16, s16, s0
	s_addc_u32 s17, s1, 0
	s_add_u32 s16, s16, 0xc4
	s_addc_u32 s17, s17, 0
	;; [unrolled: 2-line block ×3, first 2 shown]
	.p2align	6
.LBB29_196:                             ; =>This Inner Loop Header: Depth=1
	s_clause 0x1
	s_load_b64 s[30:31], s[18:19], 0x4
	s_load_b32 s27, s[18:19], 0xc
	s_load_b64 s[34:35], s[16:17], 0x0
	s_add_u32 s18, s18, 12
	s_addc_u32 s19, s19, 0
	s_add_u32 s16, s16, 8
	s_addc_u32 s17, s17, 0
	s_add_i32 s28, s28, -1
	s_delay_alu instid0(SALU_CYCLE_1) | instskip(SKIP_2) | instid1(VALU_DEP_1)
	s_cmp_lg_u32 s28, 0
	s_waitcnt lgkmcnt(0)
	v_mul_hi_u32 v5, s31, v2
	v_add_nc_u32_e32 v5, v2, v5
	s_delay_alu instid0(VALU_DEP_1) | instskip(NEXT) | instid1(VALU_DEP_1)
	v_lshrrev_b32_e32 v8, s27, v5
	v_mul_lo_u32 v5, v8, s30
	s_delay_alu instid0(VALU_DEP_1) | instskip(NEXT) | instid1(VALU_DEP_1)
	v_sub_nc_u32_e32 v2, v2, v5
	v_mad_u64_u32 v[5:6], null, v2, s34, v[0:1]
	v_mad_u64_u32 v[6:7], null, v2, s35, v[1:2]
	v_mov_b32_e32 v2, v8
	s_delay_alu instid0(VALU_DEP_2)
	v_dual_mov_b32 v0, v5 :: v_dual_mov_b32 v1, v6
	s_cbranch_scc1 .LBB29_196
.LBB29_197:
	s_and_not1_b32 vcc_lo, exec_lo, s21
	s_cbranch_vccnz .LBB29_200
; %bb.198:
	v_mul_hi_u32 v0, s13, v3
	s_and_not1_b32 vcc_lo, exec_lo, s26
	s_delay_alu instid0(VALU_DEP_1) | instskip(NEXT) | instid1(VALU_DEP_1)
	v_add_nc_u32_e32 v0, v3, v0
	v_lshrrev_b32_e32 v2, s14, v0
	s_delay_alu instid0(VALU_DEP_1) | instskip(NEXT) | instid1(VALU_DEP_1)
	v_mul_lo_u32 v0, v2, s12
	v_sub_nc_u32_e32 v1, v3, v0
	s_delay_alu instid0(VALU_DEP_1)
	v_mul_lo_u32 v0, v1, s8
	v_mul_lo_u32 v1, v1, s9
	s_cbranch_vccnz .LBB29_200
; %bb.199:
	v_mul_hi_u32 v3, s2, v2
	s_delay_alu instid0(VALU_DEP_1) | instskip(NEXT) | instid1(VALU_DEP_1)
	v_add_nc_u32_e32 v3, v2, v3
	v_lshrrev_b32_e32 v3, s3, v3
	s_delay_alu instid0(VALU_DEP_1) | instskip(NEXT) | instid1(VALU_DEP_1)
	v_mul_lo_u32 v3, v3, s15
	v_sub_nc_u32_e32 v7, v2, v3
	s_delay_alu instid0(VALU_DEP_1) | instskip(NEXT) | instid1(VALU_DEP_1)
	v_mad_u64_u32 v[2:3], null, v7, s10, v[0:1]
	v_mad_u64_u32 v[5:6], null, v7, s11, v[1:2]
	s_delay_alu instid0(VALU_DEP_1)
	v_dual_mov_b32 v0, v2 :: v_dual_mov_b32 v1, v5
.LBB29_200:
	global_load_b32 v1, v1, s[6:7]
	s_mov_b32 s6, exec_lo
	s_waitcnt vmcnt(0)
	v_trunc_f32_e32 v2, v1
	s_delay_alu instid0(VALU_DEP_1) | instskip(NEXT) | instid1(VALU_DEP_1)
	v_mul_f32_e64 v3, 0x2f800000, |v2|
	v_floor_f32_e32 v3, v3
	s_delay_alu instid0(VALU_DEP_1) | instskip(SKIP_2) | instid1(VALU_DEP_3)
	v_fma_f32 v5, 0xcf800000, v3, |v2|
	v_ashrrev_i32_e32 v2, 31, v2
	v_cvt_u32_f32_e32 v3, v3
	v_cvt_u32_f32_e32 v5, v5
	s_delay_alu instid0(VALU_DEP_2) | instskip(NEXT) | instid1(VALU_DEP_2)
	v_xor_b32_e32 v3, v3, v2
	v_xor_b32_e32 v5, v5, v2
	s_delay_alu instid0(VALU_DEP_1) | instskip(NEXT) | instid1(VALU_DEP_3)
	v_sub_co_u32 v5, vcc_lo, v5, v2
	v_sub_co_ci_u32_e32 v2, vcc_lo, v3, v2, vcc_lo
	v_cmp_class_f32_e64 vcc_lo, v1, 0x1f8
	s_delay_alu instid0(VALU_DEP_2) | instskip(NEXT) | instid1(VALU_DEP_4)
	v_dual_mov_b32 v3, 0 :: v_dual_cndmask_b32 v2, -1, v2
	v_cndmask_b32_e32 v1, -1, v5, vcc_lo
	s_delay_alu instid0(VALU_DEP_1)
	v_cmpx_lt_i64_e32 -1, v[1:2]
	s_cbranch_execz .LBB29_212
; %bb.201:
	v_mov_b32_e32 v3, 1.0
	s_mov_b32 s7, exec_lo
	v_cmpx_lt_i64_e32 0, v[1:2]
	s_cbranch_execz .LBB29_211
; %bb.202:
                                        ; implicit-def: $vgpr3
	s_mov_b32 s2, exec_lo
	v_cmpx_ne_u64_e32 1, v[1:2]
	s_xor_b32 s8, exec_lo, s2
	s_cbranch_execz .LBB29_208
; %bb.203:
	v_mov_b32_e32 v3, 0x7fc00000
	s_mov_b32 s9, exec_lo
	v_cmpx_gt_u64_e32 0x81, v[1:2]
	s_cbranch_execz .LBB29_207
; %bb.204:
	v_lshlrev_b64 v[1:2], 1, v[1:2]
	v_mov_b32_e32 v5, 1.0
	v_mov_b32_e32 v3, v4
	s_mov_b64 s[2:3], 2
	s_mov_b32 s10, 0
	.p2align	6
.LBB29_205:                             ; =>This Inner Loop Header: Depth=1
	s_clz_i32_u32 s11, s3
	s_delay_alu instid0(SALU_CYCLE_1) | instskip(NEXT) | instid1(SALU_CYCLE_1)
	s_min_u32 s11, s11, 32
	s_lshl_b64 s[12:13], s[2:3], s11
	s_sub_i32 s11, 32, s11
	s_min_u32 s12, s12, 1
	s_delay_alu instid0(SALU_CYCLE_1) | instskip(SKIP_3) | instid1(SALU_CYCLE_1)
	s_or_b32 s12, s13, s12
	s_add_u32 s2, s2, 2
	v_cvt_f32_u32_e32 v6, s12
	s_addc_u32 s3, s3, 0
	v_cmp_ge_u64_e32 vcc_lo, s[2:3], v[1:2]
	s_delay_alu instid0(VALU_DEP_2) | instskip(SKIP_1) | instid1(VALU_DEP_1)
	v_ldexp_f32 v6, v6, s11
	s_or_b32 s10, vcc_lo, s10
	v_dual_mul_f32 v6, v5, v6 :: v_dual_mov_b32 v5, v3
	s_delay_alu instid0(VALU_DEP_1)
	v_fma_f32 v3, v4, v3, -v6
	s_and_not1_b32 exec_lo, exec_lo, s10
	s_cbranch_execnz .LBB29_205
; %bb.206:
	s_or_b32 exec_lo, exec_lo, s10
.LBB29_207:
	s_delay_alu instid0(SALU_CYCLE_1)
	s_or_b32 exec_lo, exec_lo, s9
                                        ; implicit-def: $vgpr4
.LBB29_208:
	s_and_not1_saveexec_b32 s2, s8
; %bb.209:
	v_mov_b32_e32 v3, v4
; %bb.210:
	s_or_b32 exec_lo, exec_lo, s2
.LBB29_211:
	s_delay_alu instid0(SALU_CYCLE_1)
	s_or_b32 exec_lo, exec_lo, s7
.LBB29_212:
	s_delay_alu instid0(SALU_CYCLE_1)
	s_or_b32 exec_lo, exec_lo, s6
	global_store_b32 v0, v3, s[4:5]
	s_or_b32 exec_lo, exec_lo, s20
                                        ; implicit-def: $vgpr8
                                        ; implicit-def: $vgpr3
	s_and_not1_saveexec_b32 s2, s25
	s_cbranch_execz .LBB29_166
	s_branch .LBB29_8
	.section	.rodata,"a",@progbits
	.p2align	6, 0x0
	.amdhsa_kernel _ZN2at6native32elementwise_kernel_manual_unrollILi128ELi4EZNS0_22gpu_kernel_impl_nocastINS0_13AUnaryFunctorIfffZZZNS0_12_GLOBAL__N_132hermite_polynomial_h_kernel_cudaERNS_18TensorIteratorBaseEENKUlvE_clEvENKUlvE0_clEvEUlffE_EEEEvS6_RKT_EUlibE_EEviT1_
		.amdhsa_group_segment_fixed_size 0
		.amdhsa_private_segment_fixed_size 0
		.amdhsa_kernarg_size 360
		.amdhsa_user_sgpr_count 15
		.amdhsa_user_sgpr_dispatch_ptr 0
		.amdhsa_user_sgpr_queue_ptr 0
		.amdhsa_user_sgpr_kernarg_segment_ptr 1
		.amdhsa_user_sgpr_dispatch_id 0
		.amdhsa_user_sgpr_private_segment_size 0
		.amdhsa_wavefront_size32 1
		.amdhsa_uses_dynamic_stack 0
		.amdhsa_enable_private_segment 0
		.amdhsa_system_sgpr_workgroup_id_x 1
		.amdhsa_system_sgpr_workgroup_id_y 0
		.amdhsa_system_sgpr_workgroup_id_z 0
		.amdhsa_system_sgpr_workgroup_info 0
		.amdhsa_system_vgpr_workitem_id 0
		.amdhsa_next_free_vgpr 18
		.amdhsa_next_free_sgpr 56
		.amdhsa_reserve_vcc 1
		.amdhsa_float_round_mode_32 0
		.amdhsa_float_round_mode_16_64 0
		.amdhsa_float_denorm_mode_32 3
		.amdhsa_float_denorm_mode_16_64 3
		.amdhsa_dx10_clamp 1
		.amdhsa_ieee_mode 1
		.amdhsa_fp16_overflow 0
		.amdhsa_workgroup_processor_mode 1
		.amdhsa_memory_ordered 1
		.amdhsa_forward_progress 0
		.amdhsa_shared_vgpr_count 0
		.amdhsa_exception_fp_ieee_invalid_op 0
		.amdhsa_exception_fp_denorm_src 0
		.amdhsa_exception_fp_ieee_div_zero 0
		.amdhsa_exception_fp_ieee_overflow 0
		.amdhsa_exception_fp_ieee_underflow 0
		.amdhsa_exception_fp_ieee_inexact 0
		.amdhsa_exception_int_div_zero 0
	.end_amdhsa_kernel
	.section	.text._ZN2at6native32elementwise_kernel_manual_unrollILi128ELi4EZNS0_22gpu_kernel_impl_nocastINS0_13AUnaryFunctorIfffZZZNS0_12_GLOBAL__N_132hermite_polynomial_h_kernel_cudaERNS_18TensorIteratorBaseEENKUlvE_clEvENKUlvE0_clEvEUlffE_EEEEvS6_RKT_EUlibE_EEviT1_,"axG",@progbits,_ZN2at6native32elementwise_kernel_manual_unrollILi128ELi4EZNS0_22gpu_kernel_impl_nocastINS0_13AUnaryFunctorIfffZZZNS0_12_GLOBAL__N_132hermite_polynomial_h_kernel_cudaERNS_18TensorIteratorBaseEENKUlvE_clEvENKUlvE0_clEvEUlffE_EEEEvS6_RKT_EUlibE_EEviT1_,comdat
.Lfunc_end29:
	.size	_ZN2at6native32elementwise_kernel_manual_unrollILi128ELi4EZNS0_22gpu_kernel_impl_nocastINS0_13AUnaryFunctorIfffZZZNS0_12_GLOBAL__N_132hermite_polynomial_h_kernel_cudaERNS_18TensorIteratorBaseEENKUlvE_clEvENKUlvE0_clEvEUlffE_EEEEvS6_RKT_EUlibE_EEviT1_, .Lfunc_end29-_ZN2at6native32elementwise_kernel_manual_unrollILi128ELi4EZNS0_22gpu_kernel_impl_nocastINS0_13AUnaryFunctorIfffZZZNS0_12_GLOBAL__N_132hermite_polynomial_h_kernel_cudaERNS_18TensorIteratorBaseEENKUlvE_clEvENKUlvE0_clEvEUlffE_EEEEvS6_RKT_EUlibE_EEviT1_
                                        ; -- End function
	.section	.AMDGPU.csdata,"",@progbits
; Kernel info:
; codeLenInByte = 9476
; NumSgprs: 58
; NumVgprs: 18
; ScratchSize: 0
; MemoryBound: 0
; FloatMode: 240
; IeeeMode: 1
; LDSByteSize: 0 bytes/workgroup (compile time only)
; SGPRBlocks: 7
; VGPRBlocks: 2
; NumSGPRsForWavesPerEU: 58
; NumVGPRsForWavesPerEU: 18
; Occupancy: 16
; WaveLimiterHint : 1
; COMPUTE_PGM_RSRC2:SCRATCH_EN: 0
; COMPUTE_PGM_RSRC2:USER_SGPR: 15
; COMPUTE_PGM_RSRC2:TRAP_HANDLER: 0
; COMPUTE_PGM_RSRC2:TGID_X_EN: 1
; COMPUTE_PGM_RSRC2:TGID_Y_EN: 0
; COMPUTE_PGM_RSRC2:TGID_Z_EN: 0
; COMPUTE_PGM_RSRC2:TIDIG_COMP_CNT: 0
	.section	.text._ZN2at6native32elementwise_kernel_manual_unrollILi128ELi4EZNS0_15gpu_kernel_implINS0_13AUnaryFunctorIfffZZZNS0_12_GLOBAL__N_132hermite_polynomial_h_kernel_cudaERNS_18TensorIteratorBaseEENKUlvE_clEvENKUlvE0_clEvEUlffE_EEEEvS6_RKT_EUlibE_EEviT1_,"axG",@progbits,_ZN2at6native32elementwise_kernel_manual_unrollILi128ELi4EZNS0_15gpu_kernel_implINS0_13AUnaryFunctorIfffZZZNS0_12_GLOBAL__N_132hermite_polynomial_h_kernel_cudaERNS_18TensorIteratorBaseEENKUlvE_clEvENKUlvE0_clEvEUlffE_EEEEvS6_RKT_EUlibE_EEviT1_,comdat
	.globl	_ZN2at6native32elementwise_kernel_manual_unrollILi128ELi4EZNS0_15gpu_kernel_implINS0_13AUnaryFunctorIfffZZZNS0_12_GLOBAL__N_132hermite_polynomial_h_kernel_cudaERNS_18TensorIteratorBaseEENKUlvE_clEvENKUlvE0_clEvEUlffE_EEEEvS6_RKT_EUlibE_EEviT1_ ; -- Begin function _ZN2at6native32elementwise_kernel_manual_unrollILi128ELi4EZNS0_15gpu_kernel_implINS0_13AUnaryFunctorIfffZZZNS0_12_GLOBAL__N_132hermite_polynomial_h_kernel_cudaERNS_18TensorIteratorBaseEENKUlvE_clEvENKUlvE0_clEvEUlffE_EEEEvS6_RKT_EUlibE_EEviT1_
	.p2align	8
	.type	_ZN2at6native32elementwise_kernel_manual_unrollILi128ELi4EZNS0_15gpu_kernel_implINS0_13AUnaryFunctorIfffZZZNS0_12_GLOBAL__N_132hermite_polynomial_h_kernel_cudaERNS_18TensorIteratorBaseEENKUlvE_clEvENKUlvE0_clEvEUlffE_EEEEvS6_RKT_EUlibE_EEviT1_,@function
_ZN2at6native32elementwise_kernel_manual_unrollILi128ELi4EZNS0_15gpu_kernel_implINS0_13AUnaryFunctorIfffZZZNS0_12_GLOBAL__N_132hermite_polynomial_h_kernel_cudaERNS_18TensorIteratorBaseEENKUlvE_clEvENKUlvE0_clEvEUlffE_EEEEvS6_RKT_EUlibE_EEviT1_: ; @_ZN2at6native32elementwise_kernel_manual_unrollILi128ELi4EZNS0_15gpu_kernel_implINS0_13AUnaryFunctorIfffZZZNS0_12_GLOBAL__N_132hermite_polynomial_h_kernel_cudaERNS_18TensorIteratorBaseEENKUlvE_clEvENKUlvE0_clEvEUlffE_EEEEvS6_RKT_EUlibE_EEviT1_
; %bb.0:
	s_clause 0x3
	s_load_b64 s[8:9], s[0:1], 0x24
	s_load_b32 s13, s[0:1], 0x0
	s_load_b64 s[2:3], s[0:1], 0x18
	s_load_b128 s[4:7], s[0:1], 0x8
	v_lshl_or_b32 v8, s15, 9, v0
	s_mov_b32 s10, 0
	s_mov_b32 s12, 0
	s_mov_b32 s0, exec_lo
	s_delay_alu instid0(VALU_DEP_1) | instskip(SKIP_2) | instid1(VALU_DEP_2)
	v_or_b32_e32 v0, 0x180, v8
	s_waitcnt lgkmcnt(0)
	v_lshrrev_b16 v6, 8, s9
	v_cmpx_le_i32_e64 s13, v0
	s_xor_b32 s11, exec_lo, s0
	s_cbranch_execz .LBB30_1080
; %bb.1:
	v_add_f32_e64 v4, s8, s8
	s_mov_b32 s1, -1
	s_mov_b32 s16, 0
	s_mov_b32 s14, 0
	s_mov_b32 s15, exec_lo
	v_cmpx_gt_i32_e64 s13, v8
	s_cbranch_execz .LBB30_263
; %bb.2:
	v_mul_lo_u32 v0, v8, s3
	v_cmp_gt_i16_e32 vcc_lo, 11, v6
	s_delay_alu instid0(VALU_DEP_2) | instskip(SKIP_1) | instid1(VALU_DEP_1)
	v_ashrrev_i32_e32 v1, 31, v0
	v_add_co_u32 v0, s0, s6, v0
	v_add_co_ci_u32_e64 v1, s0, s7, v1, s0
	s_cbranch_vccnz .LBB30_9
; %bb.3:
	v_cmp_lt_i16_e32 vcc_lo, 25, v6
	s_cbranch_vccz .LBB30_30
; %bb.4:
	v_cmp_lt_i16_e32 vcc_lo, 28, v6
	s_cbranch_vccz .LBB30_33
	;; [unrolled: 3-line block ×4, first 2 shown]
; %bb.7:
	v_cmp_eq_u16_e32 vcc_lo, 46, v6
	s_mov_b32 s1, 0
	s_cbranch_vccz .LBB30_38
; %bb.8:
	global_load_b32 v2, v[0:1], off
	s_mov_b32 s0, -1
	s_waitcnt vmcnt(0)
	v_lshlrev_b32_e32 v2, 16, v2
	s_branch .LBB30_40
.LBB30_9:
	s_mov_b32 s0, 0
                                        ; implicit-def: $vgpr2
	s_and_b32 vcc_lo, exec_lo, s1
	s_cbranch_vccnz .LBB30_213
.LBB30_10:
	s_and_not1_b32 vcc_lo, exec_lo, s0
	s_cbranch_vccnz .LBB30_260
.LBB30_11:
	s_waitcnt vmcnt(0)
	s_delay_alu instid0(VALU_DEP_1) | instskip(SKIP_1) | instid1(VALU_DEP_1)
	v_trunc_f32_e32 v0, v2
	s_mov_b32 s12, exec_lo
	v_mul_f32_e64 v1, 0x2f800000, |v0|
	s_delay_alu instid0(VALU_DEP_1) | instskip(NEXT) | instid1(VALU_DEP_1)
	v_floor_f32_e32 v1, v1
	v_fma_f32 v3, 0xcf800000, v1, |v0|
	v_ashrrev_i32_e32 v0, 31, v0
	v_cvt_u32_f32_e32 v1, v1
	s_delay_alu instid0(VALU_DEP_3) | instskip(NEXT) | instid1(VALU_DEP_2)
	v_cvt_u32_f32_e32 v3, v3
	v_xor_b32_e32 v1, v1, v0
	s_delay_alu instid0(VALU_DEP_2) | instskip(NEXT) | instid1(VALU_DEP_1)
	v_xor_b32_e32 v3, v3, v0
	v_sub_co_u32 v3, vcc_lo, v3, v0
	s_delay_alu instid0(VALU_DEP_3) | instskip(SKIP_1) | instid1(VALU_DEP_2)
	v_sub_co_ci_u32_e32 v0, vcc_lo, v1, v0, vcc_lo
	v_cmp_class_f32_e64 vcc_lo, v2, 0x1f8
	v_dual_cndmask_b32 v2, -1, v0 :: v_dual_cndmask_b32 v1, -1, v3
	v_mov_b32_e32 v0, 0
	s_delay_alu instid0(VALU_DEP_2)
	v_cmpx_lt_i64_e32 -1, v[1:2]
	s_cbranch_execz .LBB30_23
; %bb.12:
	v_mov_b32_e32 v0, 1.0
	s_mov_b32 s17, exec_lo
	v_cmpx_lt_i64_e32 0, v[1:2]
	s_cbranch_execz .LBB30_22
; %bb.13:
                                        ; implicit-def: $vgpr0
	s_mov_b32 s0, exec_lo
	v_cmpx_ne_u64_e32 1, v[1:2]
	s_xor_b32 s18, exec_lo, s0
	s_cbranch_execz .LBB30_19
; %bb.14:
	v_mov_b32_e32 v0, 0x7fc00000
	s_mov_b32 s19, exec_lo
	v_cmpx_gt_u64_e32 0x81, v[1:2]
	s_cbranch_execz .LBB30_18
; %bb.15:
	v_lshlrev_b64 v[1:2], 1, v[1:2]
	v_dual_mov_b32 v3, 1.0 :: v_dual_mov_b32 v0, v4
	s_mov_b64 s[0:1], 2
	s_mov_b32 s20, 0
	.p2align	6
.LBB30_16:                              ; =>This Inner Loop Header: Depth=1
	s_clz_i32_u32 s21, s1
	s_delay_alu instid0(SALU_CYCLE_1) | instskip(NEXT) | instid1(SALU_CYCLE_1)
	s_min_u32 s21, s21, 32
	s_lshl_b64 s[22:23], s[0:1], s21
	s_sub_i32 s21, 32, s21
	s_min_u32 s22, s22, 1
	s_delay_alu instid0(SALU_CYCLE_1) | instskip(SKIP_3) | instid1(SALU_CYCLE_1)
	s_or_b32 s22, s23, s22
	s_add_u32 s0, s0, 2
	v_cvt_f32_u32_e32 v5, s22
	s_addc_u32 s1, s1, 0
	v_cmp_ge_u64_e32 vcc_lo, s[0:1], v[1:2]
	s_delay_alu instid0(VALU_DEP_2) | instskip(SKIP_1) | instid1(VALU_DEP_1)
	v_ldexp_f32 v5, v5, s21
	s_or_b32 s20, vcc_lo, s20
	v_mul_f32_e32 v5, v3, v5
	v_mov_b32_e32 v3, v0
	s_delay_alu instid0(VALU_DEP_2)
	v_fma_f32 v0, v4, v0, -v5
	s_and_not1_b32 exec_lo, exec_lo, s20
	s_cbranch_execnz .LBB30_16
; %bb.17:
	s_or_b32 exec_lo, exec_lo, s20
.LBB30_18:
	s_delay_alu instid0(SALU_CYCLE_1)
	s_or_b32 exec_lo, exec_lo, s19
.LBB30_19:
	s_and_not1_saveexec_b32 s0, s18
; %bb.20:
	v_mov_b32_e32 v0, v4
; %bb.21:
	s_or_b32 exec_lo, exec_lo, s0
.LBB30_22:
	s_delay_alu instid0(SALU_CYCLE_1)
	s_or_b32 exec_lo, exec_lo, s17
.LBB30_23:
	s_delay_alu instid0(SALU_CYCLE_1) | instskip(SKIP_2) | instid1(VALU_DEP_1)
	s_or_b32 exec_lo, exec_lo, s12
	v_mul_lo_u32 v1, v8, s2
	v_and_b32_e64 v5, 0xff, s9
	v_cmp_gt_i16_e32 vcc_lo, 11, v5
	s_delay_alu instid0(VALU_DEP_3) | instskip(SKIP_1) | instid1(VALU_DEP_1)
	v_ashrrev_i32_e32 v3, 31, v1
	v_add_co_u32 v2, s0, s4, v1
	v_add_co_ci_u32_e64 v3, s0, s5, v3, s0
	s_cbranch_vccnz .LBB30_31
; %bb.24:
	v_cmp_lt_i16_e32 vcc_lo, 25, v5
	s_cbranch_vccz .LBB30_34
; %bb.25:
	v_cmp_lt_i16_e32 vcc_lo, 28, v5
	s_cbranch_vccz .LBB30_36
	;; [unrolled: 3-line block ×4, first 2 shown]
; %bb.28:
	v_cmp_eq_u16_e32 vcc_lo, 46, v5
	s_mov_b32 s12, 0
	s_mov_b32 s0, -1
	s_mov_b32 s1, 0
	s_cbranch_vccz .LBB30_44
; %bb.29:
	v_bfe_u32 v1, v0, 16, 1
	v_cmp_o_f32_e32 vcc_lo, v0, v0
	s_mov_b32 s1, -1
	s_mov_b32 s0, 0
	s_delay_alu instid0(VALU_DEP_2) | instskip(NEXT) | instid1(VALU_DEP_1)
	v_add3_u32 v1, v0, v1, 0x7fff
	v_lshrrev_b32_e32 v1, 16, v1
	s_delay_alu instid0(VALU_DEP_1)
	v_cndmask_b32_e32 v1, 0x7fc0, v1, vcc_lo
	global_store_b32 v[2:3], v1, off
	s_branch .LBB30_44
.LBB30_30:
	s_mov_b32 s0, 0
                                        ; implicit-def: $vgpr2
	s_and_b32 vcc_lo, exec_lo, s1
	s_cbranch_vccnz .LBB30_178
	s_branch .LBB30_212
.LBB30_31:
	s_mov_b32 s0, 0
	s_mov_b32 s1, 0
	s_cbranch_execnz .LBB30_113
.LBB30_32:
	s_and_not1_b32 vcc_lo, exec_lo, s1
	s_cbranch_vccnz .LBB30_261
	s_branch .LBB30_151
.LBB30_33:
	s_mov_b32 s0, 0
                                        ; implicit-def: $vgpr2
	s_branch .LBB30_159
.LBB30_34:
	s_mov_b32 s12, -1
	s_mov_b32 s0, 0
	s_mov_b32 s1, 0
	s_branch .LBB30_71
.LBB30_35:
	s_mov_b32 s0, 0
                                        ; implicit-def: $vgpr2
	s_branch .LBB30_154
.LBB30_36:
	s_mov_b32 s12, -1
	s_mov_b32 s0, 0
	s_mov_b32 s1, 0
	s_branch .LBB30_54
.LBB30_37:
	s_mov_b32 s12, -1
	s_mov_b32 s0, 0
	s_mov_b32 s1, 0
	s_branch .LBB30_50
.LBB30_38:
	s_mov_b32 s14, -1
.LBB30_39:
	s_mov_b32 s0, 0
                                        ; implicit-def: $vgpr2
.LBB30_40:
	s_and_b32 vcc_lo, exec_lo, s1
	s_cbranch_vccz .LBB30_153
; %bb.41:
	v_cmp_eq_u16_e32 vcc_lo, 44, v6
	s_cbranch_vccz .LBB30_152
; %bb.42:
	global_load_u8 v2, v[0:1], off
	s_mov_b32 s14, 0
	s_mov_b32 s0, -1
	s_waitcnt vmcnt(0)
	v_lshlrev_b32_e32 v3, 23, v2
	v_cmp_ne_u32_e32 vcc_lo, 0xff, v2
	s_delay_alu instid0(VALU_DEP_2) | instskip(SKIP_1) | instid1(VALU_DEP_2)
	v_cndmask_b32_e32 v3, 0x7f800001, v3, vcc_lo
	v_cmp_ne_u32_e32 vcc_lo, 0, v2
	v_cndmask_b32_e32 v2, 0x400000, v3, vcc_lo
	s_branch .LBB30_153
.LBB30_43:
	s_mov_b32 s12, -1
	s_mov_b32 s0, 0
	s_mov_b32 s1, 0
.LBB30_44:
	s_and_b32 vcc_lo, exec_lo, s12
	s_cbranch_vccz .LBB30_49
; %bb.45:
	v_cmp_eq_u16_e32 vcc_lo, 44, v5
	s_mov_b32 s0, -1
	s_cbranch_vccz .LBB30_49
; %bb.46:
	v_bfe_u32 v7, v0, 23, 8
	v_mov_b32_e32 v1, 0xff
	s_mov_b32 s1, exec_lo
	s_delay_alu instid0(VALU_DEP_2)
	v_cmpx_ne_u32_e32 0xff, v7
; %bb.47:
	v_and_b32_e32 v1, 0x400000, v0
	v_and_or_b32 v7, 0x3fffff, v0, v7
	s_delay_alu instid0(VALU_DEP_2) | instskip(NEXT) | instid1(VALU_DEP_2)
	v_cmp_ne_u32_e32 vcc_lo, 0, v1
	v_cmp_ne_u32_e64 s0, 0, v7
	v_lshrrev_b32_e32 v1, 23, v0
	s_delay_alu instid0(VALU_DEP_2) | instskip(NEXT) | instid1(SALU_CYCLE_1)
	s_and_b32 s0, vcc_lo, s0
	v_cndmask_b32_e64 v7, 0, 1, s0
	s_delay_alu instid0(VALU_DEP_1)
	v_add_nc_u32_e32 v1, v1, v7
; %bb.48:
	s_or_b32 exec_lo, exec_lo, s1
	s_mov_b32 s1, -1
	s_mov_b32 s0, 0
	global_store_b8 v[2:3], v1, off
.LBB30_49:
	s_mov_b32 s12, 0
.LBB30_50:
	s_delay_alu instid0(SALU_CYCLE_1)
	s_and_b32 vcc_lo, exec_lo, s12
	s_cbranch_vccz .LBB30_53
; %bb.51:
	v_cmp_eq_u16_e32 vcc_lo, 29, v5
	s_mov_b32 s0, -1
	s_cbranch_vccz .LBB30_53
; %bb.52:
	v_trunc_f32_e32 v1, v0
	s_mov_b32 s1, -1
	s_mov_b32 s0, 0
	s_mov_b32 s12, 0
	s_delay_alu instid0(VALU_DEP_1) | instskip(NEXT) | instid1(VALU_DEP_1)
	v_mul_f32_e32 v7, 0x2f800000, v1
	v_floor_f32_e32 v7, v7
	s_delay_alu instid0(VALU_DEP_1) | instskip(SKIP_1) | instid1(VALU_DEP_2)
	v_fmamk_f32 v1, v7, 0xcf800000, v1
	v_cvt_u32_f32_e32 v10, v7
	v_cvt_u32_f32_e32 v9, v1
	global_store_b64 v[2:3], v[9:10], off
	s_branch .LBB30_54
.LBB30_53:
	s_mov_b32 s12, 0
.LBB30_54:
	s_delay_alu instid0(SALU_CYCLE_1)
	s_and_b32 vcc_lo, exec_lo, s12
	s_cbranch_vccz .LBB30_70
; %bb.55:
	v_cmp_gt_i16_e32 vcc_lo, 27, v5
	s_mov_b32 s1, -1
	s_cbranch_vccnz .LBB30_61
; %bb.56:
	v_cmp_lt_i16_e32 vcc_lo, 27, v5
	s_cbranch_vccz .LBB30_58
; %bb.57:
	v_cvt_u32_f32_e32 v1, v0
	s_mov_b32 s1, 0
	global_store_b32 v[2:3], v1, off
.LBB30_58:
	s_and_not1_b32 vcc_lo, exec_lo, s1
	s_cbranch_vccnz .LBB30_60
; %bb.59:
	v_cvt_u32_f32_e32 v1, v0
	global_store_b16 v[2:3], v1, off
.LBB30_60:
	s_mov_b32 s1, 0
.LBB30_61:
	s_delay_alu instid0(SALU_CYCLE_1)
	s_and_not1_b32 vcc_lo, exec_lo, s1
	s_cbranch_vccnz .LBB30_69
; %bb.62:
	v_and_b32_e32 v1, 0x7fffffff, v0
	v_mov_b32_e32 v7, 0x80
	s_mov_b32 s1, exec_lo
	s_delay_alu instid0(VALU_DEP_2)
	v_cmpx_gt_u32_e32 0x43800000, v1
	s_cbranch_execz .LBB30_68
; %bb.63:
	v_cmp_lt_u32_e32 vcc_lo, 0x3bffffff, v1
	s_mov_b32 s12, 0
                                        ; implicit-def: $vgpr1
	s_and_saveexec_b32 s17, vcc_lo
	s_delay_alu instid0(SALU_CYCLE_1)
	s_xor_b32 s17, exec_lo, s17
	s_cbranch_execz .LBB30_299
; %bb.64:
	v_bfe_u32 v1, v0, 20, 1
	s_mov_b32 s12, exec_lo
	s_delay_alu instid0(VALU_DEP_1) | instskip(NEXT) | instid1(VALU_DEP_1)
	v_add3_u32 v1, v0, v1, 0x487ffff
	v_lshrrev_b32_e32 v1, 20, v1
	s_or_saveexec_b32 s17, s17
                                        ; implicit-def: $sgpr18
	s_delay_alu instid0(SALU_CYCLE_1)
	s_xor_b32 exec_lo, exec_lo, s17
	s_cbranch_execnz .LBB30_300
.LBB30_65:
	s_or_b32 exec_lo, exec_lo, s17
	v_mov_b32_e32 v7, s18
	s_and_saveexec_b32 s17, s12
.LBB30_66:
	v_lshrrev_b32_e32 v7, 24, v0
	s_delay_alu instid0(VALU_DEP_1)
	v_and_or_b32 v7, 0x80, v7, v1
.LBB30_67:
	s_or_b32 exec_lo, exec_lo, s17
.LBB30_68:
	s_delay_alu instid0(SALU_CYCLE_1)
	s_or_b32 exec_lo, exec_lo, s1
	global_store_b8 v[2:3], v7, off
.LBB30_69:
	s_mov_b32 s1, -1
.LBB30_70:
	s_mov_b32 s12, 0
.LBB30_71:
	s_delay_alu instid0(SALU_CYCLE_1)
	s_and_b32 vcc_lo, exec_lo, s12
	s_cbranch_vccz .LBB30_112
; %bb.72:
	v_cmp_lt_i16_e32 vcc_lo, 22, v5
	s_mov_b32 s12, -1
	s_cbranch_vccz .LBB30_104
; %bb.73:
	v_cmp_gt_i16_e32 vcc_lo, 24, v5
	s_mov_b32 s1, -1
	s_cbranch_vccnz .LBB30_93
; %bb.74:
	v_cmp_lt_i16_e32 vcc_lo, 24, v5
	s_cbranch_vccz .LBB30_82
; %bb.75:
	v_and_b32_e32 v1, 0x7fffffff, v0
	v_mov_b32_e32 v7, 0x80
	s_mov_b32 s1, exec_lo
	s_delay_alu instid0(VALU_DEP_2)
	v_cmpx_gt_u32_e32 0x47800000, v1
	s_cbranch_execz .LBB30_81
; %bb.76:
	v_cmp_lt_u32_e32 vcc_lo, 0x37ffffff, v1
	s_mov_b32 s12, 0
                                        ; implicit-def: $vgpr1
	s_and_saveexec_b32 s17, vcc_lo
	s_delay_alu instid0(SALU_CYCLE_1)
	s_xor_b32 s17, exec_lo, s17
	s_cbranch_execz .LBB30_303
; %bb.77:
	v_bfe_u32 v1, v0, 21, 1
	s_mov_b32 s12, exec_lo
	s_delay_alu instid0(VALU_DEP_1) | instskip(NEXT) | instid1(VALU_DEP_1)
	v_add3_u32 v1, v0, v1, 0x88fffff
	v_lshrrev_b32_e32 v1, 21, v1
	s_or_saveexec_b32 s17, s17
                                        ; implicit-def: $sgpr18
	s_delay_alu instid0(SALU_CYCLE_1)
	s_xor_b32 exec_lo, exec_lo, s17
	s_cbranch_execnz .LBB30_304
.LBB30_78:
	s_or_b32 exec_lo, exec_lo, s17
	v_mov_b32_e32 v7, s18
	s_and_saveexec_b32 s17, s12
.LBB30_79:
	v_lshrrev_b32_e32 v7, 24, v0
	s_delay_alu instid0(VALU_DEP_1)
	v_and_or_b32 v7, 0x80, v7, v1
.LBB30_80:
	s_or_b32 exec_lo, exec_lo, s17
.LBB30_81:
	s_delay_alu instid0(SALU_CYCLE_1)
	s_or_b32 exec_lo, exec_lo, s1
	s_mov_b32 s1, 0
	global_store_b8 v[2:3], v7, off
.LBB30_82:
	s_and_b32 vcc_lo, exec_lo, s1
	s_cbranch_vccz .LBB30_92
; %bb.83:
	v_and_b32_e32 v7, 0x7fffffff, v0
	s_mov_b32 s1, exec_lo
                                        ; implicit-def: $vgpr1
	s_delay_alu instid0(VALU_DEP_1)
	v_cmpx_gt_u32_e32 0x43f00000, v7
	s_xor_b32 s1, exec_lo, s1
	s_cbranch_execz .LBB30_89
; %bb.84:
	s_mov_b32 s12, exec_lo
                                        ; implicit-def: $vgpr1
	v_cmpx_lt_u32_e32 0x3c7fffff, v7
	s_xor_b32 s12, exec_lo, s12
; %bb.85:
	v_bfe_u32 v1, v0, 20, 1
	s_delay_alu instid0(VALU_DEP_1) | instskip(NEXT) | instid1(VALU_DEP_1)
	v_add3_u32 v1, v0, v1, 0x407ffff
	v_and_b32_e32 v7, 0xff00000, v1
	v_lshrrev_b32_e32 v1, 20, v1
	s_delay_alu instid0(VALU_DEP_2) | instskip(NEXT) | instid1(VALU_DEP_2)
	v_cmp_ne_u32_e32 vcc_lo, 0x7f00000, v7
	v_cndmask_b32_e32 v1, 0x7e, v1, vcc_lo
; %bb.86:
	s_and_not1_saveexec_b32 s12, s12
; %bb.87:
	v_add_f32_e64 v1, 0x46800000, |v0|
; %bb.88:
	s_or_b32 exec_lo, exec_lo, s12
                                        ; implicit-def: $vgpr7
.LBB30_89:
	s_and_not1_saveexec_b32 s1, s1
; %bb.90:
	v_mov_b32_e32 v1, 0x7f
	v_cmp_lt_u32_e32 vcc_lo, 0x7f800000, v7
	s_delay_alu instid0(VALU_DEP_2)
	v_cndmask_b32_e32 v1, 0x7e, v1, vcc_lo
; %bb.91:
	s_or_b32 exec_lo, exec_lo, s1
	v_lshrrev_b32_e32 v7, 24, v0
	s_delay_alu instid0(VALU_DEP_1)
	v_and_or_b32 v1, 0x80, v7, v1
	global_store_b8 v[2:3], v1, off
.LBB30_92:
	s_mov_b32 s1, 0
.LBB30_93:
	s_delay_alu instid0(SALU_CYCLE_1)
	s_and_not1_b32 vcc_lo, exec_lo, s1
	s_cbranch_vccnz .LBB30_103
; %bb.94:
	v_and_b32_e32 v7, 0x7fffffff, v0
	s_mov_b32 s1, exec_lo
                                        ; implicit-def: $vgpr1
	s_delay_alu instid0(VALU_DEP_1)
	v_cmpx_gt_u32_e32 0x47800000, v7
	s_xor_b32 s1, exec_lo, s1
	s_cbranch_execz .LBB30_100
; %bb.95:
	s_mov_b32 s12, exec_lo
                                        ; implicit-def: $vgpr1
	v_cmpx_lt_u32_e32 0x387fffff, v7
	s_xor_b32 s12, exec_lo, s12
; %bb.96:
	v_bfe_u32 v1, v0, 21, 1
	s_delay_alu instid0(VALU_DEP_1) | instskip(NEXT) | instid1(VALU_DEP_1)
	v_add3_u32 v1, v0, v1, 0x80fffff
	v_lshrrev_b32_e32 v1, 21, v1
; %bb.97:
	s_and_not1_saveexec_b32 s12, s12
; %bb.98:
	v_add_f32_e64 v1, 0x43000000, |v0|
; %bb.99:
	s_or_b32 exec_lo, exec_lo, s12
                                        ; implicit-def: $vgpr7
.LBB30_100:
	s_and_not1_saveexec_b32 s1, s1
; %bb.101:
	v_mov_b32_e32 v1, 0x7f
	v_cmp_lt_u32_e32 vcc_lo, 0x7f800000, v7
	s_delay_alu instid0(VALU_DEP_2)
	v_cndmask_b32_e32 v1, 0x7c, v1, vcc_lo
; %bb.102:
	s_or_b32 exec_lo, exec_lo, s1
	v_lshrrev_b32_e32 v7, 24, v0
	s_delay_alu instid0(VALU_DEP_1)
	v_and_or_b32 v1, 0x80, v7, v1
	global_store_b8 v[2:3], v1, off
.LBB30_103:
	s_mov_b32 s12, 0
	s_mov_b32 s1, -1
.LBB30_104:
	s_and_not1_b32 vcc_lo, exec_lo, s12
	s_cbranch_vccnz .LBB30_112
; %bb.105:
	v_cmp_lt_i16_e32 vcc_lo, 14, v5
	s_mov_b32 s12, -1
	s_cbranch_vccz .LBB30_109
; %bb.106:
	v_cmp_eq_u16_e32 vcc_lo, 15, v5
	s_mov_b32 s0, -1
	s_cbranch_vccz .LBB30_108
; %bb.107:
	v_bfe_u32 v1, v0, 16, 1
	v_cmp_o_f32_e32 vcc_lo, v0, v0
	s_mov_b32 s1, -1
	s_mov_b32 s0, 0
	s_delay_alu instid0(VALU_DEP_2) | instskip(NEXT) | instid1(VALU_DEP_1)
	v_add3_u32 v1, v0, v1, 0x7fff
	v_lshrrev_b32_e32 v1, 16, v1
	s_delay_alu instid0(VALU_DEP_1)
	v_cndmask_b32_e32 v1, 0x7fc0, v1, vcc_lo
	global_store_b16 v[2:3], v1, off
.LBB30_108:
	s_mov_b32 s12, 0
.LBB30_109:
	s_delay_alu instid0(SALU_CYCLE_1)
	s_and_b32 vcc_lo, exec_lo, s12
	s_cbranch_vccz .LBB30_112
; %bb.110:
	v_cmp_eq_u16_e32 vcc_lo, 11, v5
	s_mov_b32 s0, -1
	s_cbranch_vccz .LBB30_112
; %bb.111:
	v_cmp_neq_f32_e32 vcc_lo, 0, v0
	s_mov_b32 s0, 0
	s_mov_b32 s1, -1
	v_cndmask_b32_e64 v1, 0, 1, vcc_lo
	global_store_b8 v[2:3], v1, off
.LBB30_112:
	s_branch .LBB30_32
.LBB30_113:
	v_cmp_gt_i16_e32 vcc_lo, 5, v5
	s_mov_b32 s1, -1
	s_cbranch_vccnz .LBB30_134
; %bb.114:
	v_cmp_gt_i16_e32 vcc_lo, 8, v5
	s_cbranch_vccnz .LBB30_124
; %bb.115:
	v_cmp_gt_i16_e32 vcc_lo, 9, v5
	s_cbranch_vccnz .LBB30_121
; %bb.116:
	v_cmp_lt_i16_e32 vcc_lo, 9, v5
	s_cbranch_vccz .LBB30_118
; %bb.117:
	v_cvt_f64_f32_e32 v[9:10], v0
	v_mov_b32_e32 v11, 0
	s_mov_b32 s1, 0
	s_delay_alu instid0(VALU_DEP_1)
	v_mov_b32_e32 v12, v11
	global_store_b128 v[2:3], v[9:12], off
.LBB30_118:
	s_and_not1_b32 vcc_lo, exec_lo, s1
	s_cbranch_vccnz .LBB30_120
; %bb.119:
	v_mov_b32_e32 v1, 0
	global_store_b64 v[2:3], v[0:1], off
.LBB30_120:
	s_mov_b32 s1, 0
.LBB30_121:
	s_delay_alu instid0(SALU_CYCLE_1)
	s_and_not1_b32 vcc_lo, exec_lo, s1
	s_cbranch_vccnz .LBB30_123
; %bb.122:
	v_cvt_f16_f32_e32 v1, v0
	s_delay_alu instid0(VALU_DEP_1)
	v_and_b32_e32 v1, 0xffff, v1
	global_store_b32 v[2:3], v1, off
.LBB30_123:
	s_mov_b32 s1, 0
.LBB30_124:
	s_delay_alu instid0(SALU_CYCLE_1)
	s_and_not1_b32 vcc_lo, exec_lo, s1
	s_cbranch_vccnz .LBB30_133
; %bb.125:
	v_cmp_gt_i16_e32 vcc_lo, 6, v5
	s_mov_b32 s1, -1
	s_cbranch_vccnz .LBB30_131
; %bb.126:
	v_cmp_lt_i16_e32 vcc_lo, 6, v5
	s_cbranch_vccz .LBB30_128
; %bb.127:
	v_cvt_f64_f32_e32 v[9:10], v0
	s_mov_b32 s1, 0
	global_store_b64 v[2:3], v[9:10], off
.LBB30_128:
	s_and_not1_b32 vcc_lo, exec_lo, s1
	s_cbranch_vccnz .LBB30_130
; %bb.129:
	global_store_b32 v[2:3], v0, off
.LBB30_130:
	s_mov_b32 s1, 0
.LBB30_131:
	s_delay_alu instid0(SALU_CYCLE_1)
	s_and_not1_b32 vcc_lo, exec_lo, s1
	s_cbranch_vccnz .LBB30_133
; %bb.132:
	v_cvt_f16_f32_e32 v1, v0
	global_store_b16 v[2:3], v1, off
.LBB30_133:
	s_mov_b32 s1, 0
.LBB30_134:
	s_delay_alu instid0(SALU_CYCLE_1)
	s_and_not1_b32 vcc_lo, exec_lo, s1
	s_cbranch_vccnz .LBB30_150
; %bb.135:
	v_cmp_gt_i16_e32 vcc_lo, 2, v5
	s_mov_b32 s1, -1
	s_cbranch_vccnz .LBB30_145
; %bb.136:
	v_cmp_gt_i16_e32 vcc_lo, 3, v5
	s_cbranch_vccnz .LBB30_142
; %bb.137:
	v_cmp_lt_i16_e32 vcc_lo, 3, v5
	s_cbranch_vccz .LBB30_139
; %bb.138:
	v_trunc_f32_e32 v1, v0
	s_mov_b32 s1, 0
	s_delay_alu instid0(VALU_DEP_1) | instskip(NEXT) | instid1(VALU_DEP_1)
	v_mul_f32_e64 v7, 0x2f800000, |v1|
	v_floor_f32_e32 v7, v7
	s_delay_alu instid0(VALU_DEP_1) | instskip(SKIP_2) | instid1(VALU_DEP_3)
	v_fma_f32 v9, 0xcf800000, v7, |v1|
	v_ashrrev_i32_e32 v1, 31, v1
	v_cvt_u32_f32_e32 v7, v7
	v_cvt_u32_f32_e32 v9, v9
	s_delay_alu instid0(VALU_DEP_2) | instskip(NEXT) | instid1(VALU_DEP_2)
	v_xor_b32_e32 v7, v7, v1
	v_xor_b32_e32 v9, v9, v1
	s_delay_alu instid0(VALU_DEP_1) | instskip(NEXT) | instid1(VALU_DEP_3)
	v_sub_co_u32 v9, vcc_lo, v9, v1
	v_sub_co_ci_u32_e32 v10, vcc_lo, v7, v1, vcc_lo
	global_store_b64 v[2:3], v[9:10], off
.LBB30_139:
	s_and_not1_b32 vcc_lo, exec_lo, s1
	s_cbranch_vccnz .LBB30_141
; %bb.140:
	v_cvt_i32_f32_e32 v1, v0
	global_store_b32 v[2:3], v1, off
.LBB30_141:
	s_mov_b32 s1, 0
.LBB30_142:
	s_delay_alu instid0(SALU_CYCLE_1)
	s_and_not1_b32 vcc_lo, exec_lo, s1
	s_cbranch_vccnz .LBB30_144
; %bb.143:
	v_cvt_i32_f32_e32 v1, v0
	global_store_b16 v[2:3], v1, off
.LBB30_144:
	s_mov_b32 s1, 0
.LBB30_145:
	s_delay_alu instid0(SALU_CYCLE_1)
	s_and_not1_b32 vcc_lo, exec_lo, s1
	s_cbranch_vccnz .LBB30_150
; %bb.146:
	v_cmp_lt_i16_e32 vcc_lo, 0, v5
	s_mov_b32 s1, -1
	s_cbranch_vccz .LBB30_148
; %bb.147:
	v_cvt_i32_f32_e32 v1, v0
	s_mov_b32 s1, 0
	global_store_b8 v[2:3], v1, off
.LBB30_148:
	s_and_not1_b32 vcc_lo, exec_lo, s1
	s_cbranch_vccnz .LBB30_150
; %bb.149:
	v_trunc_f32_e32 v0, v0
	s_delay_alu instid0(VALU_DEP_1) | instskip(NEXT) | instid1(VALU_DEP_1)
	v_mul_f32_e64 v1, 0x2f800000, |v0|
	v_floor_f32_e32 v1, v1
	s_delay_alu instid0(VALU_DEP_1) | instskip(SKIP_1) | instid1(VALU_DEP_2)
	v_fma_f32 v1, 0xcf800000, v1, |v0|
	v_ashrrev_i32_e32 v0, 31, v0
	v_cvt_u32_f32_e32 v1, v1
	s_delay_alu instid0(VALU_DEP_1) | instskip(NEXT) | instid1(VALU_DEP_1)
	v_xor_b32_e32 v1, v1, v0
	v_sub_nc_u32_e32 v0, v1, v0
	global_store_b8 v[2:3], v0, off
.LBB30_150:
.LBB30_151:
	v_add_nc_u32_e32 v8, 0x80, v8
	s_mov_b32 s1, -1
	s_branch .LBB30_262
.LBB30_152:
	s_mov_b32 s14, -1
                                        ; implicit-def: $vgpr2
.LBB30_153:
	s_mov_b32 s1, 0
.LBB30_154:
	s_delay_alu instid0(SALU_CYCLE_1)
	s_and_b32 vcc_lo, exec_lo, s1
	s_cbranch_vccz .LBB30_158
; %bb.155:
	v_cmp_eq_u16_e32 vcc_lo, 29, v6
	s_cbranch_vccz .LBB30_157
; %bb.156:
	global_load_b64 v[2:3], v[0:1], off
	s_mov_b32 s0, -1
	s_mov_b32 s14, 0
	s_mov_b32 s1, 0
	s_waitcnt vmcnt(0)
	v_clz_i32_u32_e32 v5, v3
	s_delay_alu instid0(VALU_DEP_1) | instskip(NEXT) | instid1(VALU_DEP_1)
	v_min_u32_e32 v5, 32, v5
	v_lshlrev_b64 v[2:3], v5, v[2:3]
	s_delay_alu instid0(VALU_DEP_1) | instskip(NEXT) | instid1(VALU_DEP_1)
	v_min_u32_e32 v2, 1, v2
	v_or_b32_e32 v2, v3, v2
	v_sub_nc_u32_e32 v3, 32, v5
	s_delay_alu instid0(VALU_DEP_2) | instskip(NEXT) | instid1(VALU_DEP_1)
	v_cvt_f32_u32_e32 v2, v2
	v_ldexp_f32 v2, v2, v3
	s_branch .LBB30_159
.LBB30_157:
	s_mov_b32 s14, -1
                                        ; implicit-def: $vgpr2
.LBB30_158:
	s_mov_b32 s1, 0
.LBB30_159:
	s_delay_alu instid0(SALU_CYCLE_1)
	s_and_b32 vcc_lo, exec_lo, s1
	s_cbranch_vccz .LBB30_177
; %bb.160:
	v_cmp_gt_i16_e32 vcc_lo, 27, v6
	s_cbranch_vccnz .LBB30_163
; %bb.161:
	v_cmp_lt_i16_e32 vcc_lo, 27, v6
	s_cbranch_vccz .LBB30_164
; %bb.162:
	global_load_b32 v2, v[0:1], off
	s_mov_b32 s0, 0
	s_waitcnt vmcnt(0)
	v_cvt_f32_u32_e32 v2, v2
	s_branch .LBB30_165
.LBB30_163:
	s_mov_b32 s0, -1
                                        ; implicit-def: $vgpr2
	s_branch .LBB30_168
.LBB30_164:
	s_mov_b32 s0, -1
                                        ; implicit-def: $vgpr2
.LBB30_165:
	s_delay_alu instid0(SALU_CYCLE_1)
	s_and_not1_b32 vcc_lo, exec_lo, s0
	s_cbranch_vccnz .LBB30_167
; %bb.166:
	global_load_u16 v2, v[0:1], off
	s_waitcnt vmcnt(0)
	v_cvt_f32_u32_e32 v2, v2
.LBB30_167:
	s_mov_b32 s0, 0
.LBB30_168:
	s_delay_alu instid0(SALU_CYCLE_1)
	s_and_not1_b32 vcc_lo, exec_lo, s0
	s_cbranch_vccnz .LBB30_176
; %bb.169:
	global_load_u8 v3, v[0:1], off
	s_mov_b32 s0, 0
	s_mov_b32 s12, exec_lo
                                        ; implicit-def: $sgpr1
	s_waitcnt vmcnt(0)
	v_cmpx_lt_i16_e32 0x7f, v3
	s_xor_b32 s12, exec_lo, s12
	s_cbranch_execz .LBB30_189
; %bb.170:
	s_mov_b32 s0, -1
	s_mov_b32 s17, exec_lo
                                        ; implicit-def: $sgpr1
	v_cmpx_eq_u16_e32 0x80, v3
; %bb.171:
	s_mov_b32 s1, 0x7f800001
	s_xor_b32 s0, exec_lo, -1
; %bb.172:
	s_or_b32 exec_lo, exec_lo, s17
	s_delay_alu instid0(SALU_CYCLE_1)
	s_and_b32 s0, s0, exec_lo
	s_or_saveexec_b32 s12, s12
	v_mov_b32_e32 v2, s1
	s_xor_b32 exec_lo, exec_lo, s12
	s_cbranch_execnz .LBB30_190
.LBB30_173:
	s_or_b32 exec_lo, exec_lo, s12
	s_and_saveexec_b32 s1, s0
	s_cbranch_execz .LBB30_175
.LBB30_174:
	v_and_b32_e32 v2, 0xffff, v3
	v_lshlrev_b32_e32 v3, 24, v3
	s_delay_alu instid0(VALU_DEP_2) | instskip(NEXT) | instid1(VALU_DEP_2)
	v_and_b32_e32 v5, 7, v2
	v_and_b32_e32 v3, 0x80000000, v3
	s_delay_alu instid0(VALU_DEP_2) | instskip(NEXT) | instid1(VALU_DEP_1)
	v_clz_i32_u32_e32 v7, v5
	v_min_u32_e32 v7, 32, v7
	s_delay_alu instid0(VALU_DEP_1) | instskip(SKIP_1) | instid1(VALU_DEP_2)
	v_subrev_nc_u32_e32 v9, 28, v7
	v_sub_nc_u32_e32 v7, 29, v7
	v_lshlrev_b32_e32 v9, v9, v2
	v_bfe_u32 v2, v2, 3, 4
	s_delay_alu instid0(VALU_DEP_2) | instskip(NEXT) | instid1(VALU_DEP_2)
	v_and_b32_e32 v9, 7, v9
	v_cmp_eq_u32_e32 vcc_lo, 0, v2
	s_delay_alu instid0(VALU_DEP_2) | instskip(NEXT) | instid1(VALU_DEP_1)
	v_dual_cndmask_b32 v2, v2, v7 :: v_dual_cndmask_b32 v5, v5, v9
	v_lshl_add_u32 v2, v2, 23, 0x3b800000
	s_delay_alu instid0(VALU_DEP_2) | instskip(NEXT) | instid1(VALU_DEP_1)
	v_lshlrev_b32_e32 v5, 20, v5
	v_or3_b32 v2, v3, v2, v5
.LBB30_175:
	s_or_b32 exec_lo, exec_lo, s1
.LBB30_176:
	s_mov_b32 s0, -1
.LBB30_177:
	s_branch .LBB30_212
.LBB30_178:
	v_cmp_lt_i16_e32 vcc_lo, 22, v6
	s_cbranch_vccz .LBB30_188
; %bb.179:
	v_cmp_gt_i16_e32 vcc_lo, 24, v6
	s_cbranch_vccnz .LBB30_191
; %bb.180:
	v_cmp_lt_i16_e32 vcc_lo, 24, v6
	s_cbranch_vccz .LBB30_192
; %bb.181:
	global_load_u8 v3, v[0:1], off
	s_mov_b32 s0, 0
	s_mov_b32 s12, exec_lo
                                        ; implicit-def: $sgpr1
	s_waitcnt vmcnt(0)
	v_cmpx_lt_i16_e32 0x7f, v3
	s_xor_b32 s12, exec_lo, s12
	s_cbranch_execz .LBB30_204
; %bb.182:
	s_mov_b32 s0, -1
	s_mov_b32 s17, exec_lo
                                        ; implicit-def: $sgpr1
	v_cmpx_eq_u16_e32 0x80, v3
; %bb.183:
	s_mov_b32 s1, 0x7f800001
	s_xor_b32 s0, exec_lo, -1
; %bb.184:
	s_or_b32 exec_lo, exec_lo, s17
	s_delay_alu instid0(SALU_CYCLE_1)
	s_and_b32 s0, s0, exec_lo
	s_or_saveexec_b32 s12, s12
	v_mov_b32_e32 v2, s1
	s_xor_b32 exec_lo, exec_lo, s12
	s_cbranch_execnz .LBB30_205
.LBB30_185:
	s_or_b32 exec_lo, exec_lo, s12
	s_and_saveexec_b32 s1, s0
	s_cbranch_execz .LBB30_187
.LBB30_186:
	v_and_b32_e32 v2, 0xffff, v3
	v_lshlrev_b32_e32 v3, 24, v3
	s_delay_alu instid0(VALU_DEP_2) | instskip(NEXT) | instid1(VALU_DEP_2)
	v_and_b32_e32 v5, 3, v2
	v_and_b32_e32 v3, 0x80000000, v3
	s_delay_alu instid0(VALU_DEP_2) | instskip(NEXT) | instid1(VALU_DEP_1)
	v_clz_i32_u32_e32 v7, v5
	v_min_u32_e32 v7, 32, v7
	s_delay_alu instid0(VALU_DEP_1) | instskip(SKIP_1) | instid1(VALU_DEP_2)
	v_subrev_nc_u32_e32 v9, 29, v7
	v_sub_nc_u32_e32 v7, 30, v7
	v_lshlrev_b32_e32 v9, v9, v2
	v_bfe_u32 v2, v2, 2, 5
	s_delay_alu instid0(VALU_DEP_2) | instskip(NEXT) | instid1(VALU_DEP_2)
	v_and_b32_e32 v9, 3, v9
	v_cmp_eq_u32_e32 vcc_lo, 0, v2
	s_delay_alu instid0(VALU_DEP_2) | instskip(NEXT) | instid1(VALU_DEP_1)
	v_dual_cndmask_b32 v2, v2, v7 :: v_dual_cndmask_b32 v5, v5, v9
	v_lshl_add_u32 v2, v2, 23, 0x37800000
	s_delay_alu instid0(VALU_DEP_2) | instskip(NEXT) | instid1(VALU_DEP_1)
	v_lshlrev_b32_e32 v5, 21, v5
	v_or3_b32 v2, v3, v2, v5
.LBB30_187:
	s_or_b32 exec_lo, exec_lo, s1
	s_mov_b32 s0, 0
	s_branch .LBB30_193
.LBB30_188:
	s_mov_b32 s1, -1
                                        ; implicit-def: $vgpr2
	s_branch .LBB30_199
.LBB30_189:
	s_or_saveexec_b32 s12, s12
	v_mov_b32_e32 v2, s1
	s_xor_b32 exec_lo, exec_lo, s12
	s_cbranch_execz .LBB30_173
.LBB30_190:
	v_cmp_ne_u16_e32 vcc_lo, 0, v3
	v_mov_b32_e32 v2, 0
	s_and_not1_b32 s0, s0, exec_lo
	s_and_b32 s1, vcc_lo, exec_lo
	s_delay_alu instid0(SALU_CYCLE_1)
	s_or_b32 s0, s0, s1
	s_or_b32 exec_lo, exec_lo, s12
	s_and_saveexec_b32 s1, s0
	s_cbranch_execnz .LBB30_174
	s_branch .LBB30_175
.LBB30_191:
	s_mov_b32 s0, -1
                                        ; implicit-def: $vgpr2
	s_branch .LBB30_196
.LBB30_192:
	s_mov_b32 s0, -1
                                        ; implicit-def: $vgpr2
.LBB30_193:
	s_delay_alu instid0(SALU_CYCLE_1)
	s_and_b32 vcc_lo, exec_lo, s0
	s_cbranch_vccz .LBB30_195
; %bb.194:
	global_load_u8 v2, v[0:1], off
	s_waitcnt vmcnt(0)
	v_lshlrev_b32_e32 v2, 24, v2
	s_delay_alu instid0(VALU_DEP_1) | instskip(NEXT) | instid1(VALU_DEP_1)
	v_and_b32_e32 v3, 0x7f000000, v2
	v_clz_i32_u32_e32 v5, v3
	v_add_nc_u32_e32 v9, 0x1000000, v3
	v_cmp_ne_u32_e32 vcc_lo, 0, v3
	s_delay_alu instid0(VALU_DEP_3) | instskip(NEXT) | instid1(VALU_DEP_1)
	v_min_u32_e32 v5, 32, v5
	v_sub_nc_u32_e64 v5, v5, 4 clamp
	s_delay_alu instid0(VALU_DEP_1) | instskip(SKIP_1) | instid1(VALU_DEP_2)
	v_lshlrev_b32_e32 v7, v5, v3
	v_lshlrev_b32_e32 v5, 23, v5
	v_lshrrev_b32_e32 v7, 4, v7
	s_delay_alu instid0(VALU_DEP_1) | instskip(SKIP_1) | instid1(VALU_DEP_2)
	v_sub_nc_u32_e32 v5, v7, v5
	v_ashrrev_i32_e32 v7, 8, v9
	v_add_nc_u32_e32 v5, 0x3c000000, v5
	s_delay_alu instid0(VALU_DEP_1) | instskip(NEXT) | instid1(VALU_DEP_1)
	v_and_or_b32 v5, 0x7f800000, v7, v5
	v_cndmask_b32_e32 v3, 0, v5, vcc_lo
	s_delay_alu instid0(VALU_DEP_1)
	v_and_or_b32 v2, 0x80000000, v2, v3
.LBB30_195:
	s_mov_b32 s0, 0
.LBB30_196:
	s_delay_alu instid0(SALU_CYCLE_1)
	s_and_not1_b32 vcc_lo, exec_lo, s0
	s_cbranch_vccnz .LBB30_198
; %bb.197:
	global_load_u8 v2, v[0:1], off
	s_waitcnt vmcnt(0)
	v_lshlrev_b32_e32 v3, 25, v2
	v_lshlrev_b16 v2, 8, v2
	s_delay_alu instid0(VALU_DEP_2) | instskip(NEXT) | instid1(VALU_DEP_2)
	v_lshrrev_b32_e32 v5, 4, v3
	v_and_or_b32 v7, 0x7f00, v2, 0.5
	v_cmp_gt_u32_e32 vcc_lo, 0x8000000, v3
	v_bfe_i32 v2, v2, 0, 16
	s_delay_alu instid0(VALU_DEP_4) | instskip(NEXT) | instid1(VALU_DEP_4)
	v_or_b32_e32 v5, 0x70000000, v5
	v_add_f32_e32 v7, -0.5, v7
	s_delay_alu instid0(VALU_DEP_2) | instskip(NEXT) | instid1(VALU_DEP_1)
	v_mul_f32_e32 v5, 0x7800000, v5
	v_cndmask_b32_e32 v3, v5, v7, vcc_lo
	s_delay_alu instid0(VALU_DEP_1)
	v_and_or_b32 v2, 0x80000000, v2, v3
.LBB30_198:
	s_mov_b32 s1, 0
	s_mov_b32 s0, -1
.LBB30_199:
	s_and_not1_b32 vcc_lo, exec_lo, s1
	s_cbranch_vccnz .LBB30_212
; %bb.200:
	v_cmp_lt_i16_e32 vcc_lo, 14, v6
	s_cbranch_vccz .LBB30_203
; %bb.201:
	v_cmp_eq_u16_e32 vcc_lo, 15, v6
	s_cbranch_vccz .LBB30_206
; %bb.202:
	global_load_u16 v2, v[0:1], off
	s_mov_b32 s0, -1
	s_mov_b32 s14, 0
	s_waitcnt vmcnt(0)
	v_lshlrev_b32_e32 v2, 16, v2
	s_branch .LBB30_207
.LBB30_203:
	s_mov_b32 s1, -1
                                        ; implicit-def: $vgpr2
	s_branch .LBB30_208
.LBB30_204:
	s_or_saveexec_b32 s12, s12
	v_mov_b32_e32 v2, s1
	s_xor_b32 exec_lo, exec_lo, s12
	s_cbranch_execz .LBB30_185
.LBB30_205:
	v_cmp_ne_u16_e32 vcc_lo, 0, v3
	v_mov_b32_e32 v2, 0
	s_and_not1_b32 s0, s0, exec_lo
	s_and_b32 s1, vcc_lo, exec_lo
	s_delay_alu instid0(SALU_CYCLE_1)
	s_or_b32 s0, s0, s1
	s_or_b32 exec_lo, exec_lo, s12
	s_and_saveexec_b32 s1, s0
	s_cbranch_execnz .LBB30_186
	s_branch .LBB30_187
.LBB30_206:
	s_mov_b32 s14, -1
                                        ; implicit-def: $vgpr2
.LBB30_207:
	s_mov_b32 s1, 0
.LBB30_208:
	s_delay_alu instid0(SALU_CYCLE_1)
	s_and_b32 vcc_lo, exec_lo, s1
	s_cbranch_vccz .LBB30_212
; %bb.209:
	v_cmp_eq_u16_e32 vcc_lo, 11, v6
	s_cbranch_vccz .LBB30_211
; %bb.210:
	global_load_u8 v2, v[0:1], off
	s_mov_b32 s14, 0
	s_mov_b32 s0, -1
	s_waitcnt vmcnt(0)
	v_cmp_ne_u16_e32 vcc_lo, 0, v2
	v_cndmask_b32_e64 v2, 0, 1.0, vcc_lo
	s_branch .LBB30_212
.LBB30_211:
	s_mov_b32 s14, -1
                                        ; implicit-def: $vgpr2
.LBB30_212:
	s_branch .LBB30_10
.LBB30_213:
	v_cmp_gt_i16_e32 vcc_lo, 5, v6
	s_cbranch_vccnz .LBB30_218
; %bb.214:
	v_cmp_gt_i16_e32 vcc_lo, 8, v6
	s_cbranch_vccnz .LBB30_219
; %bb.215:
	;; [unrolled: 3-line block ×3, first 2 shown]
	v_cmp_lt_i16_e32 vcc_lo, 9, v6
	s_cbranch_vccz .LBB30_221
; %bb.217:
	global_load_b64 v[2:3], v[0:1], off
	s_mov_b32 s0, 0
	s_waitcnt vmcnt(0)
	v_cvt_f32_f64_e32 v2, v[2:3]
	s_branch .LBB30_222
.LBB30_218:
                                        ; implicit-def: $vgpr2
	s_branch .LBB30_240
.LBB30_219:
	s_mov_b32 s0, -1
                                        ; implicit-def: $vgpr2
	s_branch .LBB30_228
.LBB30_220:
	s_mov_b32 s0, -1
                                        ; implicit-def: $vgpr2
	s_branch .LBB30_225
.LBB30_221:
	s_mov_b32 s0, -1
                                        ; implicit-def: $vgpr2
.LBB30_222:
	s_delay_alu instid0(SALU_CYCLE_1)
	s_and_not1_b32 vcc_lo, exec_lo, s0
	s_cbranch_vccnz .LBB30_224
; %bb.223:
	global_load_b32 v2, v[0:1], off
.LBB30_224:
	s_mov_b32 s0, 0
.LBB30_225:
	s_delay_alu instid0(SALU_CYCLE_1)
	s_and_not1_b32 vcc_lo, exec_lo, s0
	s_cbranch_vccnz .LBB30_227
; %bb.226:
	global_load_b32 v2, v[0:1], off
	s_waitcnt vmcnt(0)
	v_cvt_f32_f16_e32 v2, v2
.LBB30_227:
	s_mov_b32 s0, 0
.LBB30_228:
	s_delay_alu instid0(SALU_CYCLE_1)
	s_and_not1_b32 vcc_lo, exec_lo, s0
	s_cbranch_vccnz .LBB30_239
; %bb.229:
	v_cmp_gt_i16_e32 vcc_lo, 6, v6
	s_cbranch_vccnz .LBB30_232
; %bb.230:
	v_cmp_lt_i16_e32 vcc_lo, 6, v6
	s_cbranch_vccz .LBB30_233
; %bb.231:
	global_load_b64 v[2:3], v[0:1], off
	s_mov_b32 s0, 0
	s_waitcnt vmcnt(0)
	v_cvt_f32_f64_e32 v2, v[2:3]
	s_branch .LBB30_234
.LBB30_232:
	s_mov_b32 s0, -1
                                        ; implicit-def: $vgpr2
	s_branch .LBB30_237
.LBB30_233:
	s_mov_b32 s0, -1
                                        ; implicit-def: $vgpr2
.LBB30_234:
	s_delay_alu instid0(SALU_CYCLE_1)
	s_and_not1_b32 vcc_lo, exec_lo, s0
	s_cbranch_vccnz .LBB30_236
; %bb.235:
	global_load_b32 v2, v[0:1], off
.LBB30_236:
	s_mov_b32 s0, 0
.LBB30_237:
	s_delay_alu instid0(SALU_CYCLE_1)
	s_and_not1_b32 vcc_lo, exec_lo, s0
	s_cbranch_vccnz .LBB30_239
; %bb.238:
	global_load_u16 v2, v[0:1], off
	s_waitcnt vmcnt(0)
	v_cvt_f32_f16_e32 v2, v2
.LBB30_239:
	s_cbranch_execnz .LBB30_259
.LBB30_240:
	v_cmp_gt_i16_e32 vcc_lo, 2, v6
	s_cbranch_vccnz .LBB30_244
; %bb.241:
	v_cmp_gt_i16_e32 vcc_lo, 3, v6
	s_cbranch_vccnz .LBB30_245
; %bb.242:
	v_cmp_lt_i16_e32 vcc_lo, 3, v6
	s_cbranch_vccz .LBB30_246
; %bb.243:
	global_load_b64 v[2:3], v[0:1], off
	s_mov_b32 s0, 0
	s_waitcnt vmcnt(0)
	v_xor_b32_e32 v5, v2, v3
	v_cls_i32_e32 v7, v3
	s_delay_alu instid0(VALU_DEP_2) | instskip(NEXT) | instid1(VALU_DEP_2)
	v_ashrrev_i32_e32 v5, 31, v5
	v_add_nc_u32_e32 v7, -1, v7
	s_delay_alu instid0(VALU_DEP_2) | instskip(NEXT) | instid1(VALU_DEP_1)
	v_add_nc_u32_e32 v5, 32, v5
	v_min_u32_e32 v5, v7, v5
	s_delay_alu instid0(VALU_DEP_1) | instskip(NEXT) | instid1(VALU_DEP_1)
	v_lshlrev_b64 v[2:3], v5, v[2:3]
	v_min_u32_e32 v2, 1, v2
	s_delay_alu instid0(VALU_DEP_1) | instskip(SKIP_1) | instid1(VALU_DEP_2)
	v_or_b32_e32 v2, v3, v2
	v_sub_nc_u32_e32 v3, 32, v5
	v_cvt_f32_i32_e32 v2, v2
	s_delay_alu instid0(VALU_DEP_1)
	v_ldexp_f32 v2, v2, v3
	s_branch .LBB30_247
.LBB30_244:
	s_mov_b32 s0, -1
                                        ; implicit-def: $vgpr2
	s_branch .LBB30_253
.LBB30_245:
	s_mov_b32 s0, -1
                                        ; implicit-def: $vgpr2
	s_branch .LBB30_250
.LBB30_246:
	s_mov_b32 s0, -1
                                        ; implicit-def: $vgpr2
.LBB30_247:
	s_delay_alu instid0(SALU_CYCLE_1)
	s_and_not1_b32 vcc_lo, exec_lo, s0
	s_cbranch_vccnz .LBB30_249
; %bb.248:
	global_load_b32 v2, v[0:1], off
	s_waitcnt vmcnt(0)
	v_cvt_f32_i32_e32 v2, v2
.LBB30_249:
	s_mov_b32 s0, 0
.LBB30_250:
	s_delay_alu instid0(SALU_CYCLE_1)
	s_and_not1_b32 vcc_lo, exec_lo, s0
	s_cbranch_vccnz .LBB30_252
; %bb.251:
	global_load_i16 v2, v[0:1], off
	s_waitcnt vmcnt(0)
	v_cvt_f32_i32_e32 v2, v2
.LBB30_252:
	s_mov_b32 s0, 0
.LBB30_253:
	s_delay_alu instid0(SALU_CYCLE_1)
	s_and_not1_b32 vcc_lo, exec_lo, s0
	s_cbranch_vccnz .LBB30_259
; %bb.254:
	v_cmp_lt_i16_e32 vcc_lo, 0, v6
	s_mov_b32 s0, 0
	s_cbranch_vccz .LBB30_256
; %bb.255:
	global_load_i8 v2, v[0:1], off
	s_waitcnt vmcnt(0)
	v_cvt_f32_i32_e32 v2, v2
	s_branch .LBB30_257
.LBB30_256:
	s_mov_b32 s0, -1
                                        ; implicit-def: $vgpr2
.LBB30_257:
	s_delay_alu instid0(SALU_CYCLE_1)
	s_and_not1_b32 vcc_lo, exec_lo, s0
	s_cbranch_vccnz .LBB30_259
; %bb.258:
	global_load_u8 v0, v[0:1], off
	s_waitcnt vmcnt(0)
	v_cvt_f32_ubyte0_e32 v2, v0
.LBB30_259:
	s_branch .LBB30_11
.LBB30_260:
	s_mov_b32 s0, 0
.LBB30_261:
	s_mov_b32 s1, 0
                                        ; implicit-def: $vgpr8
.LBB30_262:
	s_and_b32 s12, s0, exec_lo
	s_and_b32 s14, s14, exec_lo
	s_or_not1_b32 s1, s1, exec_lo
.LBB30_263:
	s_or_b32 exec_lo, exec_lo, s15
	s_mov_b32 s17, 0
	s_mov_b32 s0, 0
                                        ; implicit-def: $vgpr0_vgpr1
                                        ; implicit-def: $vgpr7
	s_and_saveexec_b32 s15, s1
	s_cbranch_execz .LBB30_895
; %bb.264:
	s_mov_b32 s20, -1
	s_mov_b32 s16, s14
	s_mov_b32 s17, s12
	s_mov_b32 s18, exec_lo
	v_cmpx_gt_i32_e64 s13, v8
	s_cbranch_execz .LBB30_535
; %bb.265:
	v_mul_lo_u32 v0, v8, s3
	v_cmp_gt_i16_e32 vcc_lo, 11, v6
	s_delay_alu instid0(VALU_DEP_2) | instskip(SKIP_1) | instid1(VALU_DEP_1)
	v_ashrrev_i32_e32 v1, 31, v0
	v_add_co_u32 v0, s0, s6, v0
	v_add_co_ci_u32_e64 v1, s0, s7, v1, s0
	s_cbranch_vccnz .LBB30_272
; %bb.266:
	v_cmp_lt_i16_e32 vcc_lo, 25, v6
	s_cbranch_vccz .LBB30_293
; %bb.267:
	v_cmp_lt_i16_e32 vcc_lo, 28, v6
	s_cbranch_vccz .LBB30_295
	;; [unrolled: 3-line block ×4, first 2 shown]
; %bb.270:
	v_cmp_eq_u16_e32 vcc_lo, 46, v6
	s_mov_b32 s1, 0
	s_cbranch_vccz .LBB30_305
; %bb.271:
	global_load_b32 v2, v[0:1], off
	s_mov_b32 s0, -1
	s_mov_b32 s16, 0
	s_waitcnt vmcnt(0)
	v_lshlrev_b32_e32 v2, 16, v2
	s_branch .LBB30_307
.LBB30_272:
	s_mov_b32 s0, 0
	s_mov_b32 s16, s14
                                        ; implicit-def: $vgpr2
	s_cbranch_execnz .LBB30_484
.LBB30_273:
	s_and_not1_b32 vcc_lo, exec_lo, s0
	s_cbranch_vccnz .LBB30_532
.LBB30_274:
	s_waitcnt vmcnt(0)
	s_delay_alu instid0(VALU_DEP_1) | instskip(SKIP_1) | instid1(VALU_DEP_1)
	v_trunc_f32_e32 v0, v2
	s_mov_b32 s17, exec_lo
	v_mul_f32_e64 v1, 0x2f800000, |v0|
	s_delay_alu instid0(VALU_DEP_1) | instskip(NEXT) | instid1(VALU_DEP_1)
	v_floor_f32_e32 v1, v1
	v_fma_f32 v3, 0xcf800000, v1, |v0|
	v_ashrrev_i32_e32 v0, 31, v0
	v_cvt_u32_f32_e32 v1, v1
	s_delay_alu instid0(VALU_DEP_3) | instskip(NEXT) | instid1(VALU_DEP_2)
	v_cvt_u32_f32_e32 v3, v3
	v_xor_b32_e32 v1, v1, v0
	s_delay_alu instid0(VALU_DEP_2) | instskip(NEXT) | instid1(VALU_DEP_1)
	v_xor_b32_e32 v3, v3, v0
	v_sub_co_u32 v3, vcc_lo, v3, v0
	s_delay_alu instid0(VALU_DEP_3) | instskip(SKIP_1) | instid1(VALU_DEP_2)
	v_sub_co_ci_u32_e32 v0, vcc_lo, v1, v0, vcc_lo
	v_cmp_class_f32_e64 vcc_lo, v2, 0x1f8
	v_dual_cndmask_b32 v2, -1, v0 :: v_dual_cndmask_b32 v1, -1, v3
	v_mov_b32_e32 v0, 0
	s_delay_alu instid0(VALU_DEP_2)
	v_cmpx_lt_i64_e32 -1, v[1:2]
	s_cbranch_execz .LBB30_286
; %bb.275:
	v_mov_b32_e32 v0, 1.0
	s_mov_b32 s19, exec_lo
	v_cmpx_lt_i64_e32 0, v[1:2]
	s_cbranch_execz .LBB30_285
; %bb.276:
                                        ; implicit-def: $vgpr0
	s_mov_b32 s0, exec_lo
	v_cmpx_ne_u64_e32 1, v[1:2]
	s_xor_b32 s20, exec_lo, s0
	s_cbranch_execz .LBB30_282
; %bb.277:
	v_mov_b32_e32 v0, 0x7fc00000
	s_mov_b32 s21, exec_lo
	v_cmpx_gt_u64_e32 0x81, v[1:2]
	s_cbranch_execz .LBB30_281
; %bb.278:
	v_lshlrev_b64 v[1:2], 1, v[1:2]
	v_dual_mov_b32 v3, 1.0 :: v_dual_mov_b32 v0, v4
	s_mov_b64 s[0:1], 2
	s_mov_b32 s22, 0
.LBB30_279:                             ; =>This Inner Loop Header: Depth=1
	s_clz_i32_u32 s23, s1
	s_delay_alu instid0(SALU_CYCLE_1) | instskip(NEXT) | instid1(SALU_CYCLE_1)
	s_min_u32 s23, s23, 32
	s_lshl_b64 s[24:25], s[0:1], s23
	s_sub_i32 s23, 32, s23
	s_min_u32 s24, s24, 1
	s_delay_alu instid0(SALU_CYCLE_1) | instskip(SKIP_3) | instid1(SALU_CYCLE_1)
	s_or_b32 s24, s25, s24
	s_add_u32 s0, s0, 2
	v_cvt_f32_u32_e32 v5, s24
	s_addc_u32 s1, s1, 0
	v_cmp_ge_u64_e32 vcc_lo, s[0:1], v[1:2]
	s_delay_alu instid0(VALU_DEP_2) | instskip(SKIP_1) | instid1(VALU_DEP_1)
	v_ldexp_f32 v5, v5, s23
	s_or_b32 s22, vcc_lo, s22
	v_mul_f32_e32 v5, v3, v5
	v_mov_b32_e32 v3, v0
	s_delay_alu instid0(VALU_DEP_2)
	v_fma_f32 v0, v4, v0, -v5
	s_and_not1_b32 exec_lo, exec_lo, s22
	s_cbranch_execnz .LBB30_279
; %bb.280:
	s_or_b32 exec_lo, exec_lo, s22
.LBB30_281:
	s_delay_alu instid0(SALU_CYCLE_1)
	s_or_b32 exec_lo, exec_lo, s21
.LBB30_282:
	s_and_not1_saveexec_b32 s0, s20
; %bb.283:
	v_mov_b32_e32 v0, v4
; %bb.284:
	s_or_b32 exec_lo, exec_lo, s0
.LBB30_285:
	s_delay_alu instid0(SALU_CYCLE_1)
	s_or_b32 exec_lo, exec_lo, s19
.LBB30_286:
	s_delay_alu instid0(SALU_CYCLE_1) | instskip(SKIP_2) | instid1(VALU_DEP_1)
	s_or_b32 exec_lo, exec_lo, s17
	v_mul_lo_u32 v1, v8, s2
	v_and_b32_e64 v5, 0xff, s9
	v_cmp_gt_i16_e32 vcc_lo, 11, v5
	s_delay_alu instid0(VALU_DEP_3) | instskip(SKIP_1) | instid1(VALU_DEP_1)
	v_ashrrev_i32_e32 v3, 31, v1
	v_add_co_u32 v2, s0, s4, v1
	v_add_co_ci_u32_e64 v3, s0, s5, v3, s0
	s_cbranch_vccnz .LBB30_294
; %bb.287:
	v_cmp_lt_i16_e32 vcc_lo, 25, v5
	s_cbranch_vccz .LBB30_296
; %bb.288:
	v_cmp_lt_i16_e32 vcc_lo, 28, v5
	s_cbranch_vccz .LBB30_298
	;; [unrolled: 3-line block ×4, first 2 shown]
; %bb.291:
	v_cmp_eq_u16_e32 vcc_lo, 46, v5
	s_mov_b32 s17, 0
	s_mov_b32 s0, -1
	s_mov_b32 s1, 0
	s_cbranch_vccz .LBB30_311
; %bb.292:
	v_bfe_u32 v1, v0, 16, 1
	v_cmp_o_f32_e32 vcc_lo, v0, v0
	s_mov_b32 s1, -1
	s_mov_b32 s0, 0
	s_delay_alu instid0(VALU_DEP_2) | instskip(NEXT) | instid1(VALU_DEP_1)
	v_add3_u32 v1, v0, v1, 0x7fff
	v_lshrrev_b32_e32 v1, 16, v1
	s_delay_alu instid0(VALU_DEP_1)
	v_cndmask_b32_e32 v1, 0x7fc0, v1, vcc_lo
	global_store_b32 v[2:3], v1, off
	s_branch .LBB30_311
.LBB30_293:
	s_mov_b32 s1, -1
	s_mov_b32 s0, 0
	s_mov_b32 s16, s14
                                        ; implicit-def: $vgpr2
	s_branch .LBB30_448
.LBB30_294:
	s_mov_b32 s17, -1
	s_mov_b32 s1, 0
	s_mov_b32 s0, s12
	s_branch .LBB30_380
.LBB30_295:
	s_mov_b32 s1, -1
	s_mov_b32 s0, 0
	s_mov_b32 s16, s14
                                        ; implicit-def: $vgpr2
	s_branch .LBB30_429
.LBB30_296:
	s_mov_b32 s17, -1
	s_mov_b32 s1, 0
	s_mov_b32 s0, s12
	s_branch .LBB30_338
.LBB30_297:
	s_mov_b32 s1, -1
	s_mov_b32 s0, 0
	s_mov_b32 s16, s14
                                        ; implicit-def: $vgpr2
	s_branch .LBB30_424
.LBB30_298:
	s_mov_b32 s17, -1
	s_mov_b32 s1, 0
	s_mov_b32 s0, s12
	s_branch .LBB30_321
.LBB30_299:
	s_or_saveexec_b32 s17, s17
                                        ; implicit-def: $sgpr18
	s_delay_alu instid0(SALU_CYCLE_1)
	s_xor_b32 exec_lo, exec_lo, s17
	s_cbranch_execz .LBB30_65
.LBB30_300:
	v_add_f32_e64 v1, 0x46000000, |v0|
	s_and_not1_b32 s12, s12, exec_lo
	s_mov_b32 s18, 0
	s_delay_alu instid0(VALU_DEP_1) | instskip(NEXT) | instid1(VALU_DEP_1)
	v_and_b32_e32 v1, 0xff, v1
	v_cmp_ne_u32_e32 vcc_lo, 0, v1
	s_and_b32 s19, vcc_lo, exec_lo
	s_delay_alu instid0(SALU_CYCLE_1)
	s_or_b32 s12, s12, s19
	s_or_b32 exec_lo, exec_lo, s17
	v_mov_b32_e32 v7, s18
	s_and_saveexec_b32 s17, s12
	s_cbranch_execnz .LBB30_66
	s_branch .LBB30_67
.LBB30_301:
	s_mov_b32 s1, -1
	s_mov_b32 s0, 0
	s_mov_b32 s16, s14
	s_branch .LBB30_306
.LBB30_302:
	s_mov_b32 s17, -1
	s_mov_b32 s1, 0
	s_mov_b32 s0, s12
	s_branch .LBB30_317
.LBB30_303:
	s_or_saveexec_b32 s17, s17
                                        ; implicit-def: $sgpr18
	s_delay_alu instid0(SALU_CYCLE_1)
	s_xor_b32 exec_lo, exec_lo, s17
	s_cbranch_execz .LBB30_78
.LBB30_304:
	v_add_f32_e64 v1, 0x42800000, |v0|
	s_and_not1_b32 s12, s12, exec_lo
	s_mov_b32 s18, 0
	s_delay_alu instid0(VALU_DEP_1) | instskip(NEXT) | instid1(VALU_DEP_1)
	v_and_b32_e32 v1, 0xff, v1
	v_cmp_ne_u32_e32 vcc_lo, 0, v1
	s_and_b32 s19, vcc_lo, exec_lo
	s_delay_alu instid0(SALU_CYCLE_1)
	s_or_b32 s12, s12, s19
	s_or_b32 exec_lo, exec_lo, s17
	v_mov_b32_e32 v7, s18
	s_and_saveexec_b32 s17, s12
	s_cbranch_execnz .LBB30_79
	s_branch .LBB30_80
.LBB30_305:
	s_mov_b32 s16, -1
	s_mov_b32 s0, 0
.LBB30_306:
                                        ; implicit-def: $vgpr2
.LBB30_307:
	s_and_b32 vcc_lo, exec_lo, s1
	s_cbranch_vccz .LBB30_423
; %bb.308:
	v_cmp_eq_u16_e32 vcc_lo, 44, v6
	s_cbranch_vccz .LBB30_422
; %bb.309:
	global_load_u8 v2, v[0:1], off
	s_mov_b32 s16, 0
	s_mov_b32 s0, -1
	s_waitcnt vmcnt(0)
	v_lshlrev_b32_e32 v3, 23, v2
	v_cmp_ne_u32_e32 vcc_lo, 0xff, v2
	s_delay_alu instid0(VALU_DEP_2) | instskip(SKIP_1) | instid1(VALU_DEP_2)
	v_cndmask_b32_e32 v3, 0x7f800001, v3, vcc_lo
	v_cmp_ne_u32_e32 vcc_lo, 0, v2
	v_cndmask_b32_e32 v2, 0x400000, v3, vcc_lo
	s_branch .LBB30_423
.LBB30_310:
	s_mov_b32 s17, -1
	s_mov_b32 s1, 0
	s_mov_b32 s0, s12
.LBB30_311:
	s_and_b32 vcc_lo, exec_lo, s17
	s_cbranch_vccz .LBB30_316
; %bb.312:
	v_cmp_eq_u16_e32 vcc_lo, 44, v5
	s_mov_b32 s0, -1
	s_cbranch_vccz .LBB30_316
; %bb.313:
	v_bfe_u32 v7, v0, 23, 8
	v_mov_b32_e32 v1, 0xff
	s_mov_b32 s1, exec_lo
	s_delay_alu instid0(VALU_DEP_2)
	v_cmpx_ne_u32_e32 0xff, v7
; %bb.314:
	v_and_b32_e32 v1, 0x400000, v0
	v_and_or_b32 v7, 0x3fffff, v0, v7
	s_delay_alu instid0(VALU_DEP_2) | instskip(NEXT) | instid1(VALU_DEP_2)
	v_cmp_ne_u32_e32 vcc_lo, 0, v1
	v_cmp_ne_u32_e64 s0, 0, v7
	v_lshrrev_b32_e32 v1, 23, v0
	s_delay_alu instid0(VALU_DEP_2) | instskip(NEXT) | instid1(SALU_CYCLE_1)
	s_and_b32 s0, vcc_lo, s0
	v_cndmask_b32_e64 v7, 0, 1, s0
	s_delay_alu instid0(VALU_DEP_1)
	v_add_nc_u32_e32 v1, v1, v7
; %bb.315:
	s_or_b32 exec_lo, exec_lo, s1
	s_mov_b32 s1, -1
	s_mov_b32 s0, 0
	global_store_b8 v[2:3], v1, off
.LBB30_316:
	s_mov_b32 s17, 0
.LBB30_317:
	s_delay_alu instid0(SALU_CYCLE_1)
	s_and_b32 vcc_lo, exec_lo, s17
	s_cbranch_vccz .LBB30_320
; %bb.318:
	v_cmp_eq_u16_e32 vcc_lo, 29, v5
	s_mov_b32 s0, -1
	s_cbranch_vccz .LBB30_320
; %bb.319:
	v_trunc_f32_e32 v1, v0
	s_mov_b32 s1, -1
	s_mov_b32 s0, 0
	s_mov_b32 s17, 0
	s_delay_alu instid0(VALU_DEP_1) | instskip(NEXT) | instid1(VALU_DEP_1)
	v_mul_f32_e32 v7, 0x2f800000, v1
	v_floor_f32_e32 v7, v7
	s_delay_alu instid0(VALU_DEP_1) | instskip(SKIP_1) | instid1(VALU_DEP_2)
	v_fmamk_f32 v1, v7, 0xcf800000, v1
	v_cvt_u32_f32_e32 v10, v7
	v_cvt_u32_f32_e32 v9, v1
	global_store_b64 v[2:3], v[9:10], off
	s_branch .LBB30_321
.LBB30_320:
	s_mov_b32 s17, 0
.LBB30_321:
	s_delay_alu instid0(SALU_CYCLE_1)
	s_and_b32 vcc_lo, exec_lo, s17
	s_cbranch_vccz .LBB30_337
; %bb.322:
	v_cmp_gt_i16_e32 vcc_lo, 27, v5
	s_mov_b32 s1, -1
	s_cbranch_vccnz .LBB30_328
; %bb.323:
	v_cmp_lt_i16_e32 vcc_lo, 27, v5
	s_cbranch_vccz .LBB30_325
; %bb.324:
	v_cvt_u32_f32_e32 v1, v0
	s_mov_b32 s1, 0
	global_store_b32 v[2:3], v1, off
.LBB30_325:
	s_and_not1_b32 vcc_lo, exec_lo, s1
	s_cbranch_vccnz .LBB30_327
; %bb.326:
	v_cvt_u32_f32_e32 v1, v0
	global_store_b16 v[2:3], v1, off
.LBB30_327:
	s_mov_b32 s1, 0
.LBB30_328:
	s_delay_alu instid0(SALU_CYCLE_1)
	s_and_not1_b32 vcc_lo, exec_lo, s1
	s_cbranch_vccnz .LBB30_336
; %bb.329:
	v_and_b32_e32 v1, 0x7fffffff, v0
	v_mov_b32_e32 v7, 0x80
	s_mov_b32 s1, exec_lo
	s_delay_alu instid0(VALU_DEP_2)
	v_cmpx_gt_u32_e32 0x43800000, v1
	s_cbranch_execz .LBB30_335
; %bb.330:
	v_cmp_lt_u32_e32 vcc_lo, 0x3bffffff, v1
	s_mov_b32 s17, 0
                                        ; implicit-def: $vgpr1
	s_and_saveexec_b32 s19, vcc_lo
	s_delay_alu instid0(SALU_CYCLE_1)
	s_xor_b32 s19, exec_lo, s19
	s_cbranch_execz .LBB30_548
; %bb.331:
	v_bfe_u32 v1, v0, 20, 1
	s_mov_b32 s17, exec_lo
	s_delay_alu instid0(VALU_DEP_1) | instskip(NEXT) | instid1(VALU_DEP_1)
	v_add3_u32 v1, v0, v1, 0x487ffff
	v_lshrrev_b32_e32 v1, 20, v1
	s_or_saveexec_b32 s19, s19
                                        ; implicit-def: $sgpr20
	s_delay_alu instid0(SALU_CYCLE_1)
	s_xor_b32 exec_lo, exec_lo, s19
	s_cbranch_execnz .LBB30_549
.LBB30_332:
	s_or_b32 exec_lo, exec_lo, s19
	v_mov_b32_e32 v7, s20
	s_and_saveexec_b32 s19, s17
.LBB30_333:
	v_lshrrev_b32_e32 v7, 24, v0
	s_delay_alu instid0(VALU_DEP_1)
	v_and_or_b32 v7, 0x80, v7, v1
.LBB30_334:
	s_or_b32 exec_lo, exec_lo, s19
.LBB30_335:
	s_delay_alu instid0(SALU_CYCLE_1)
	s_or_b32 exec_lo, exec_lo, s1
	global_store_b8 v[2:3], v7, off
.LBB30_336:
	s_mov_b32 s1, -1
.LBB30_337:
	s_mov_b32 s17, 0
.LBB30_338:
	s_delay_alu instid0(SALU_CYCLE_1)
	s_and_b32 vcc_lo, exec_lo, s17
	s_cbranch_vccz .LBB30_379
; %bb.339:
	v_cmp_lt_i16_e32 vcc_lo, 22, v5
	s_mov_b32 s17, -1
	s_cbranch_vccz .LBB30_371
; %bb.340:
	v_cmp_gt_i16_e32 vcc_lo, 24, v5
	s_mov_b32 s1, -1
	s_cbranch_vccnz .LBB30_360
; %bb.341:
	v_cmp_lt_i16_e32 vcc_lo, 24, v5
	s_cbranch_vccz .LBB30_349
; %bb.342:
	v_and_b32_e32 v1, 0x7fffffff, v0
	v_mov_b32_e32 v7, 0x80
	s_mov_b32 s1, exec_lo
	s_delay_alu instid0(VALU_DEP_2)
	v_cmpx_gt_u32_e32 0x47800000, v1
	s_cbranch_execz .LBB30_348
; %bb.343:
	v_cmp_lt_u32_e32 vcc_lo, 0x37ffffff, v1
	s_mov_b32 s17, 0
                                        ; implicit-def: $vgpr1
	s_and_saveexec_b32 s19, vcc_lo
	s_delay_alu instid0(SALU_CYCLE_1)
	s_xor_b32 s19, exec_lo, s19
	s_cbranch_execz .LBB30_551
; %bb.344:
	v_bfe_u32 v1, v0, 21, 1
	s_mov_b32 s17, exec_lo
	s_delay_alu instid0(VALU_DEP_1) | instskip(NEXT) | instid1(VALU_DEP_1)
	v_add3_u32 v1, v0, v1, 0x88fffff
	v_lshrrev_b32_e32 v1, 21, v1
	s_or_saveexec_b32 s19, s19
                                        ; implicit-def: $sgpr20
	s_delay_alu instid0(SALU_CYCLE_1)
	s_xor_b32 exec_lo, exec_lo, s19
	s_cbranch_execnz .LBB30_552
.LBB30_345:
	s_or_b32 exec_lo, exec_lo, s19
	v_mov_b32_e32 v7, s20
	s_and_saveexec_b32 s19, s17
.LBB30_346:
	v_lshrrev_b32_e32 v7, 24, v0
	s_delay_alu instid0(VALU_DEP_1)
	v_and_or_b32 v7, 0x80, v7, v1
.LBB30_347:
	s_or_b32 exec_lo, exec_lo, s19
.LBB30_348:
	s_delay_alu instid0(SALU_CYCLE_1)
	s_or_b32 exec_lo, exec_lo, s1
	s_mov_b32 s1, 0
	global_store_b8 v[2:3], v7, off
.LBB30_349:
	s_and_b32 vcc_lo, exec_lo, s1
	s_cbranch_vccz .LBB30_359
; %bb.350:
	v_and_b32_e32 v7, 0x7fffffff, v0
	s_mov_b32 s1, exec_lo
                                        ; implicit-def: $vgpr1
	s_delay_alu instid0(VALU_DEP_1)
	v_cmpx_gt_u32_e32 0x43f00000, v7
	s_xor_b32 s1, exec_lo, s1
	s_cbranch_execz .LBB30_356
; %bb.351:
	s_mov_b32 s17, exec_lo
                                        ; implicit-def: $vgpr1
	v_cmpx_lt_u32_e32 0x3c7fffff, v7
	s_xor_b32 s17, exec_lo, s17
; %bb.352:
	v_bfe_u32 v1, v0, 20, 1
	s_delay_alu instid0(VALU_DEP_1) | instskip(NEXT) | instid1(VALU_DEP_1)
	v_add3_u32 v1, v0, v1, 0x407ffff
	v_and_b32_e32 v7, 0xff00000, v1
	v_lshrrev_b32_e32 v1, 20, v1
	s_delay_alu instid0(VALU_DEP_2) | instskip(NEXT) | instid1(VALU_DEP_2)
	v_cmp_ne_u32_e32 vcc_lo, 0x7f00000, v7
	v_cndmask_b32_e32 v1, 0x7e, v1, vcc_lo
; %bb.353:
	s_and_not1_saveexec_b32 s17, s17
; %bb.354:
	v_add_f32_e64 v1, 0x46800000, |v0|
; %bb.355:
	s_or_b32 exec_lo, exec_lo, s17
                                        ; implicit-def: $vgpr7
.LBB30_356:
	s_and_not1_saveexec_b32 s1, s1
; %bb.357:
	v_mov_b32_e32 v1, 0x7f
	v_cmp_lt_u32_e32 vcc_lo, 0x7f800000, v7
	s_delay_alu instid0(VALU_DEP_2)
	v_cndmask_b32_e32 v1, 0x7e, v1, vcc_lo
; %bb.358:
	s_or_b32 exec_lo, exec_lo, s1
	v_lshrrev_b32_e32 v7, 24, v0
	s_delay_alu instid0(VALU_DEP_1)
	v_and_or_b32 v1, 0x80, v7, v1
	global_store_b8 v[2:3], v1, off
.LBB30_359:
	s_mov_b32 s1, 0
.LBB30_360:
	s_delay_alu instid0(SALU_CYCLE_1)
	s_and_not1_b32 vcc_lo, exec_lo, s1
	s_cbranch_vccnz .LBB30_370
; %bb.361:
	v_and_b32_e32 v7, 0x7fffffff, v0
	s_mov_b32 s1, exec_lo
                                        ; implicit-def: $vgpr1
	s_delay_alu instid0(VALU_DEP_1)
	v_cmpx_gt_u32_e32 0x47800000, v7
	s_xor_b32 s1, exec_lo, s1
	s_cbranch_execz .LBB30_367
; %bb.362:
	s_mov_b32 s17, exec_lo
                                        ; implicit-def: $vgpr1
	v_cmpx_lt_u32_e32 0x387fffff, v7
	s_xor_b32 s17, exec_lo, s17
; %bb.363:
	v_bfe_u32 v1, v0, 21, 1
	s_delay_alu instid0(VALU_DEP_1) | instskip(NEXT) | instid1(VALU_DEP_1)
	v_add3_u32 v1, v0, v1, 0x80fffff
	v_lshrrev_b32_e32 v1, 21, v1
; %bb.364:
	s_and_not1_saveexec_b32 s17, s17
; %bb.365:
	v_add_f32_e64 v1, 0x43000000, |v0|
; %bb.366:
	s_or_b32 exec_lo, exec_lo, s17
                                        ; implicit-def: $vgpr7
.LBB30_367:
	s_and_not1_saveexec_b32 s1, s1
; %bb.368:
	v_mov_b32_e32 v1, 0x7f
	v_cmp_lt_u32_e32 vcc_lo, 0x7f800000, v7
	s_delay_alu instid0(VALU_DEP_2)
	v_cndmask_b32_e32 v1, 0x7c, v1, vcc_lo
; %bb.369:
	s_or_b32 exec_lo, exec_lo, s1
	v_lshrrev_b32_e32 v7, 24, v0
	s_delay_alu instid0(VALU_DEP_1)
	v_and_or_b32 v1, 0x80, v7, v1
	global_store_b8 v[2:3], v1, off
.LBB30_370:
	s_mov_b32 s17, 0
	s_mov_b32 s1, -1
.LBB30_371:
	s_and_not1_b32 vcc_lo, exec_lo, s17
	s_cbranch_vccnz .LBB30_379
; %bb.372:
	v_cmp_lt_i16_e32 vcc_lo, 14, v5
	s_mov_b32 s17, -1
	s_cbranch_vccz .LBB30_376
; %bb.373:
	v_cmp_eq_u16_e32 vcc_lo, 15, v5
	s_mov_b32 s0, -1
	s_cbranch_vccz .LBB30_375
; %bb.374:
	v_bfe_u32 v1, v0, 16, 1
	v_cmp_o_f32_e32 vcc_lo, v0, v0
	s_mov_b32 s1, -1
	s_mov_b32 s0, 0
	s_delay_alu instid0(VALU_DEP_2) | instskip(NEXT) | instid1(VALU_DEP_1)
	v_add3_u32 v1, v0, v1, 0x7fff
	v_lshrrev_b32_e32 v1, 16, v1
	s_delay_alu instid0(VALU_DEP_1)
	v_cndmask_b32_e32 v1, 0x7fc0, v1, vcc_lo
	global_store_b16 v[2:3], v1, off
.LBB30_375:
	s_mov_b32 s17, 0
.LBB30_376:
	s_delay_alu instid0(SALU_CYCLE_1)
	s_and_b32 vcc_lo, exec_lo, s17
	s_cbranch_vccz .LBB30_379
; %bb.377:
	v_cmp_eq_u16_e32 vcc_lo, 11, v5
	s_mov_b32 s0, -1
	s_cbranch_vccz .LBB30_379
; %bb.378:
	v_cmp_neq_f32_e32 vcc_lo, 0, v0
	s_mov_b32 s0, 0
	s_mov_b32 s1, -1
	v_cndmask_b32_e64 v1, 0, 1, vcc_lo
	global_store_b8 v[2:3], v1, off
.LBB30_379:
	s_mov_b32 s17, 0
.LBB30_380:
	s_delay_alu instid0(SALU_CYCLE_1)
	s_and_b32 vcc_lo, exec_lo, s17
	s_cbranch_vccz .LBB30_419
; %bb.381:
	v_cmp_gt_i16_e32 vcc_lo, 5, v5
	s_mov_b32 s1, -1
	s_cbranch_vccnz .LBB30_402
; %bb.382:
	v_cmp_gt_i16_e32 vcc_lo, 8, v5
	s_cbranch_vccnz .LBB30_392
; %bb.383:
	v_cmp_gt_i16_e32 vcc_lo, 9, v5
	s_cbranch_vccnz .LBB30_389
; %bb.384:
	v_cmp_lt_i16_e32 vcc_lo, 9, v5
	s_cbranch_vccz .LBB30_386
; %bb.385:
	v_cvt_f64_f32_e32 v[9:10], v0
	v_mov_b32_e32 v11, 0
	s_mov_b32 s1, 0
	s_delay_alu instid0(VALU_DEP_1)
	v_mov_b32_e32 v12, v11
	global_store_b128 v[2:3], v[9:12], off
.LBB30_386:
	s_and_not1_b32 vcc_lo, exec_lo, s1
	s_cbranch_vccnz .LBB30_388
; %bb.387:
	v_mov_b32_e32 v1, 0
	global_store_b64 v[2:3], v[0:1], off
.LBB30_388:
	s_mov_b32 s1, 0
.LBB30_389:
	s_delay_alu instid0(SALU_CYCLE_1)
	s_and_not1_b32 vcc_lo, exec_lo, s1
	s_cbranch_vccnz .LBB30_391
; %bb.390:
	v_cvt_f16_f32_e32 v1, v0
	s_delay_alu instid0(VALU_DEP_1)
	v_and_b32_e32 v1, 0xffff, v1
	global_store_b32 v[2:3], v1, off
.LBB30_391:
	s_mov_b32 s1, 0
.LBB30_392:
	s_delay_alu instid0(SALU_CYCLE_1)
	s_and_not1_b32 vcc_lo, exec_lo, s1
	s_cbranch_vccnz .LBB30_401
; %bb.393:
	v_cmp_gt_i16_e32 vcc_lo, 6, v5
	s_mov_b32 s1, -1
	s_cbranch_vccnz .LBB30_399
; %bb.394:
	v_cmp_lt_i16_e32 vcc_lo, 6, v5
	s_cbranch_vccz .LBB30_396
; %bb.395:
	v_cvt_f64_f32_e32 v[9:10], v0
	s_mov_b32 s1, 0
	global_store_b64 v[2:3], v[9:10], off
.LBB30_396:
	s_and_not1_b32 vcc_lo, exec_lo, s1
	s_cbranch_vccnz .LBB30_398
; %bb.397:
	global_store_b32 v[2:3], v0, off
.LBB30_398:
	s_mov_b32 s1, 0
.LBB30_399:
	s_delay_alu instid0(SALU_CYCLE_1)
	s_and_not1_b32 vcc_lo, exec_lo, s1
	s_cbranch_vccnz .LBB30_401
; %bb.400:
	v_cvt_f16_f32_e32 v1, v0
	global_store_b16 v[2:3], v1, off
.LBB30_401:
	s_mov_b32 s1, 0
.LBB30_402:
	s_delay_alu instid0(SALU_CYCLE_1)
	s_and_not1_b32 vcc_lo, exec_lo, s1
	s_cbranch_vccnz .LBB30_418
; %bb.403:
	v_cmp_gt_i16_e32 vcc_lo, 2, v5
	s_mov_b32 s1, -1
	s_cbranch_vccnz .LBB30_413
; %bb.404:
	v_cmp_gt_i16_e32 vcc_lo, 3, v5
	s_cbranch_vccnz .LBB30_410
; %bb.405:
	v_cmp_lt_i16_e32 vcc_lo, 3, v5
	s_cbranch_vccz .LBB30_407
; %bb.406:
	v_trunc_f32_e32 v1, v0
	s_mov_b32 s1, 0
	s_delay_alu instid0(VALU_DEP_1) | instskip(NEXT) | instid1(VALU_DEP_1)
	v_mul_f32_e64 v7, 0x2f800000, |v1|
	v_floor_f32_e32 v7, v7
	s_delay_alu instid0(VALU_DEP_1) | instskip(SKIP_2) | instid1(VALU_DEP_3)
	v_fma_f32 v9, 0xcf800000, v7, |v1|
	v_ashrrev_i32_e32 v1, 31, v1
	v_cvt_u32_f32_e32 v7, v7
	v_cvt_u32_f32_e32 v9, v9
	s_delay_alu instid0(VALU_DEP_2) | instskip(NEXT) | instid1(VALU_DEP_2)
	v_xor_b32_e32 v7, v7, v1
	v_xor_b32_e32 v9, v9, v1
	s_delay_alu instid0(VALU_DEP_1) | instskip(NEXT) | instid1(VALU_DEP_3)
	v_sub_co_u32 v9, vcc_lo, v9, v1
	v_sub_co_ci_u32_e32 v10, vcc_lo, v7, v1, vcc_lo
	global_store_b64 v[2:3], v[9:10], off
.LBB30_407:
	s_and_not1_b32 vcc_lo, exec_lo, s1
	s_cbranch_vccnz .LBB30_409
; %bb.408:
	v_cvt_i32_f32_e32 v1, v0
	global_store_b32 v[2:3], v1, off
.LBB30_409:
	s_mov_b32 s1, 0
.LBB30_410:
	s_delay_alu instid0(SALU_CYCLE_1)
	s_and_not1_b32 vcc_lo, exec_lo, s1
	s_cbranch_vccnz .LBB30_412
; %bb.411:
	v_cvt_i32_f32_e32 v1, v0
	global_store_b16 v[2:3], v1, off
.LBB30_412:
	s_mov_b32 s1, 0
.LBB30_413:
	s_delay_alu instid0(SALU_CYCLE_1)
	s_and_not1_b32 vcc_lo, exec_lo, s1
	s_cbranch_vccnz .LBB30_418
; %bb.414:
	v_cmp_lt_i16_e32 vcc_lo, 0, v5
	s_mov_b32 s1, -1
	s_cbranch_vccz .LBB30_416
; %bb.415:
	v_cvt_i32_f32_e32 v1, v0
	s_mov_b32 s1, 0
	global_store_b8 v[2:3], v1, off
.LBB30_416:
	s_and_not1_b32 vcc_lo, exec_lo, s1
	s_cbranch_vccnz .LBB30_418
; %bb.417:
	v_trunc_f32_e32 v0, v0
	s_delay_alu instid0(VALU_DEP_1) | instskip(NEXT) | instid1(VALU_DEP_1)
	v_mul_f32_e64 v1, 0x2f800000, |v0|
	v_floor_f32_e32 v1, v1
	s_delay_alu instid0(VALU_DEP_1) | instskip(SKIP_1) | instid1(VALU_DEP_2)
	v_fma_f32 v1, 0xcf800000, v1, |v0|
	v_ashrrev_i32_e32 v0, 31, v0
	v_cvt_u32_f32_e32 v1, v1
	s_delay_alu instid0(VALU_DEP_1) | instskip(NEXT) | instid1(VALU_DEP_1)
	v_xor_b32_e32 v1, v1, v0
	v_sub_nc_u32_e32 v0, v1, v0
	global_store_b8 v[2:3], v0, off
.LBB30_418:
	s_mov_b32 s1, -1
.LBB30_419:
	s_delay_alu instid0(SALU_CYCLE_1)
	s_and_not1_b32 vcc_lo, exec_lo, s1
	s_cbranch_vccnz .LBB30_421
; %bb.420:
	v_add_nc_u32_e32 v8, 0x80, v8
	s_mov_b32 s1, -1
	s_branch .LBB30_534
.LBB30_421:
	s_mov_b32 s1, 0
	s_branch .LBB30_533
.LBB30_422:
	s_mov_b32 s16, -1
                                        ; implicit-def: $vgpr2
.LBB30_423:
	s_mov_b32 s1, 0
.LBB30_424:
	s_delay_alu instid0(SALU_CYCLE_1)
	s_and_b32 vcc_lo, exec_lo, s1
	s_cbranch_vccz .LBB30_428
; %bb.425:
	v_cmp_eq_u16_e32 vcc_lo, 29, v6
	s_cbranch_vccz .LBB30_427
; %bb.426:
	global_load_b64 v[2:3], v[0:1], off
	s_mov_b32 s0, -1
	s_mov_b32 s16, 0
	s_mov_b32 s1, 0
	s_waitcnt vmcnt(0)
	v_clz_i32_u32_e32 v5, v3
	s_delay_alu instid0(VALU_DEP_1) | instskip(NEXT) | instid1(VALU_DEP_1)
	v_min_u32_e32 v5, 32, v5
	v_lshlrev_b64 v[2:3], v5, v[2:3]
	s_delay_alu instid0(VALU_DEP_1) | instskip(NEXT) | instid1(VALU_DEP_1)
	v_min_u32_e32 v2, 1, v2
	v_or_b32_e32 v2, v3, v2
	v_sub_nc_u32_e32 v3, 32, v5
	s_delay_alu instid0(VALU_DEP_2) | instskip(NEXT) | instid1(VALU_DEP_1)
	v_cvt_f32_u32_e32 v2, v2
	v_ldexp_f32 v2, v2, v3
	s_branch .LBB30_429
.LBB30_427:
	s_mov_b32 s16, -1
                                        ; implicit-def: $vgpr2
.LBB30_428:
	s_mov_b32 s1, 0
.LBB30_429:
	s_delay_alu instid0(SALU_CYCLE_1)
	s_and_b32 vcc_lo, exec_lo, s1
	s_cbranch_vccz .LBB30_447
; %bb.430:
	v_cmp_gt_i16_e32 vcc_lo, 27, v6
	s_cbranch_vccnz .LBB30_433
; %bb.431:
	v_cmp_lt_i16_e32 vcc_lo, 27, v6
	s_cbranch_vccz .LBB30_434
; %bb.432:
	global_load_b32 v2, v[0:1], off
	s_mov_b32 s0, 0
	s_waitcnt vmcnt(0)
	v_cvt_f32_u32_e32 v2, v2
	s_branch .LBB30_435
.LBB30_433:
	s_mov_b32 s0, -1
                                        ; implicit-def: $vgpr2
	s_branch .LBB30_438
.LBB30_434:
	s_mov_b32 s0, -1
                                        ; implicit-def: $vgpr2
.LBB30_435:
	s_delay_alu instid0(SALU_CYCLE_1)
	s_and_not1_b32 vcc_lo, exec_lo, s0
	s_cbranch_vccnz .LBB30_437
; %bb.436:
	global_load_u16 v2, v[0:1], off
	s_waitcnt vmcnt(0)
	v_cvt_f32_u32_e32 v2, v2
.LBB30_437:
	s_mov_b32 s0, 0
.LBB30_438:
	s_delay_alu instid0(SALU_CYCLE_1)
	s_and_not1_b32 vcc_lo, exec_lo, s0
	s_cbranch_vccnz .LBB30_446
; %bb.439:
	global_load_u8 v3, v[0:1], off
	s_mov_b32 s0, 0
	s_mov_b32 s17, exec_lo
                                        ; implicit-def: $sgpr1
	s_waitcnt vmcnt(0)
	v_cmpx_lt_i16_e32 0x7f, v3
	s_xor_b32 s17, exec_lo, s17
	s_cbranch_execz .LBB30_460
; %bb.440:
	s_mov_b32 s0, -1
	s_mov_b32 s19, exec_lo
                                        ; implicit-def: $sgpr1
	v_cmpx_eq_u16_e32 0x80, v3
; %bb.441:
	s_mov_b32 s1, 0x7f800001
	s_xor_b32 s0, exec_lo, -1
; %bb.442:
	s_or_b32 exec_lo, exec_lo, s19
	s_delay_alu instid0(SALU_CYCLE_1)
	s_and_b32 s0, s0, exec_lo
	s_or_saveexec_b32 s17, s17
	v_mov_b32_e32 v2, s1
	s_xor_b32 exec_lo, exec_lo, s17
	s_cbranch_execnz .LBB30_461
.LBB30_443:
	s_or_b32 exec_lo, exec_lo, s17
	s_and_saveexec_b32 s1, s0
	s_cbranch_execz .LBB30_445
.LBB30_444:
	v_and_b32_e32 v2, 0xffff, v3
	v_lshlrev_b32_e32 v3, 24, v3
	s_delay_alu instid0(VALU_DEP_2) | instskip(NEXT) | instid1(VALU_DEP_2)
	v_and_b32_e32 v5, 7, v2
	v_and_b32_e32 v3, 0x80000000, v3
	s_delay_alu instid0(VALU_DEP_2) | instskip(NEXT) | instid1(VALU_DEP_1)
	v_clz_i32_u32_e32 v7, v5
	v_min_u32_e32 v7, 32, v7
	s_delay_alu instid0(VALU_DEP_1) | instskip(SKIP_1) | instid1(VALU_DEP_2)
	v_subrev_nc_u32_e32 v9, 28, v7
	v_sub_nc_u32_e32 v7, 29, v7
	v_lshlrev_b32_e32 v9, v9, v2
	v_bfe_u32 v2, v2, 3, 4
	s_delay_alu instid0(VALU_DEP_2) | instskip(NEXT) | instid1(VALU_DEP_2)
	v_and_b32_e32 v9, 7, v9
	v_cmp_eq_u32_e32 vcc_lo, 0, v2
	s_delay_alu instid0(VALU_DEP_2) | instskip(NEXT) | instid1(VALU_DEP_1)
	v_dual_cndmask_b32 v2, v2, v7 :: v_dual_cndmask_b32 v5, v5, v9
	v_lshl_add_u32 v2, v2, 23, 0x3b800000
	s_delay_alu instid0(VALU_DEP_2) | instskip(NEXT) | instid1(VALU_DEP_1)
	v_lshlrev_b32_e32 v5, 20, v5
	v_or3_b32 v2, v3, v2, v5
.LBB30_445:
	s_or_b32 exec_lo, exec_lo, s1
.LBB30_446:
	s_mov_b32 s0, -1
.LBB30_447:
	s_mov_b32 s1, 0
.LBB30_448:
	s_delay_alu instid0(SALU_CYCLE_1)
	s_and_b32 vcc_lo, exec_lo, s1
	s_cbranch_vccz .LBB30_483
; %bb.449:
	v_cmp_lt_i16_e32 vcc_lo, 22, v6
	s_cbranch_vccz .LBB30_459
; %bb.450:
	v_cmp_gt_i16_e32 vcc_lo, 24, v6
	s_cbranch_vccnz .LBB30_462
; %bb.451:
	v_cmp_lt_i16_e32 vcc_lo, 24, v6
	s_cbranch_vccz .LBB30_463
; %bb.452:
	global_load_u8 v3, v[0:1], off
	s_mov_b32 s0, 0
	s_mov_b32 s17, exec_lo
                                        ; implicit-def: $sgpr1
	s_waitcnt vmcnt(0)
	v_cmpx_lt_i16_e32 0x7f, v3
	s_xor_b32 s17, exec_lo, s17
	s_cbranch_execz .LBB30_475
; %bb.453:
	s_mov_b32 s0, -1
	s_mov_b32 s19, exec_lo
                                        ; implicit-def: $sgpr1
	v_cmpx_eq_u16_e32 0x80, v3
; %bb.454:
	s_mov_b32 s1, 0x7f800001
	s_xor_b32 s0, exec_lo, -1
; %bb.455:
	s_or_b32 exec_lo, exec_lo, s19
	s_delay_alu instid0(SALU_CYCLE_1)
	s_and_b32 s0, s0, exec_lo
	s_or_saveexec_b32 s17, s17
	v_mov_b32_e32 v2, s1
	s_xor_b32 exec_lo, exec_lo, s17
	s_cbranch_execnz .LBB30_476
.LBB30_456:
	s_or_b32 exec_lo, exec_lo, s17
	s_and_saveexec_b32 s1, s0
	s_cbranch_execz .LBB30_458
.LBB30_457:
	v_and_b32_e32 v2, 0xffff, v3
	v_lshlrev_b32_e32 v3, 24, v3
	s_delay_alu instid0(VALU_DEP_2) | instskip(NEXT) | instid1(VALU_DEP_2)
	v_and_b32_e32 v5, 3, v2
	v_and_b32_e32 v3, 0x80000000, v3
	s_delay_alu instid0(VALU_DEP_2) | instskip(NEXT) | instid1(VALU_DEP_1)
	v_clz_i32_u32_e32 v7, v5
	v_min_u32_e32 v7, 32, v7
	s_delay_alu instid0(VALU_DEP_1) | instskip(SKIP_1) | instid1(VALU_DEP_2)
	v_subrev_nc_u32_e32 v9, 29, v7
	v_sub_nc_u32_e32 v7, 30, v7
	v_lshlrev_b32_e32 v9, v9, v2
	v_bfe_u32 v2, v2, 2, 5
	s_delay_alu instid0(VALU_DEP_2) | instskip(NEXT) | instid1(VALU_DEP_2)
	v_and_b32_e32 v9, 3, v9
	v_cmp_eq_u32_e32 vcc_lo, 0, v2
	s_delay_alu instid0(VALU_DEP_2) | instskip(NEXT) | instid1(VALU_DEP_1)
	v_dual_cndmask_b32 v2, v2, v7 :: v_dual_cndmask_b32 v5, v5, v9
	v_lshl_add_u32 v2, v2, 23, 0x37800000
	s_delay_alu instid0(VALU_DEP_2) | instskip(NEXT) | instid1(VALU_DEP_1)
	v_lshlrev_b32_e32 v5, 21, v5
	v_or3_b32 v2, v3, v2, v5
.LBB30_458:
	s_or_b32 exec_lo, exec_lo, s1
	s_mov_b32 s0, 0
	s_branch .LBB30_464
.LBB30_459:
	s_mov_b32 s1, -1
                                        ; implicit-def: $vgpr2
	s_branch .LBB30_470
.LBB30_460:
	s_or_saveexec_b32 s17, s17
	v_mov_b32_e32 v2, s1
	s_xor_b32 exec_lo, exec_lo, s17
	s_cbranch_execz .LBB30_443
.LBB30_461:
	v_cmp_ne_u16_e32 vcc_lo, 0, v3
	v_mov_b32_e32 v2, 0
	s_and_not1_b32 s0, s0, exec_lo
	s_and_b32 s1, vcc_lo, exec_lo
	s_delay_alu instid0(SALU_CYCLE_1)
	s_or_b32 s0, s0, s1
	s_or_b32 exec_lo, exec_lo, s17
	s_and_saveexec_b32 s1, s0
	s_cbranch_execnz .LBB30_444
	s_branch .LBB30_445
.LBB30_462:
	s_mov_b32 s0, -1
                                        ; implicit-def: $vgpr2
	s_branch .LBB30_467
.LBB30_463:
	s_mov_b32 s0, -1
                                        ; implicit-def: $vgpr2
.LBB30_464:
	s_delay_alu instid0(SALU_CYCLE_1)
	s_and_b32 vcc_lo, exec_lo, s0
	s_cbranch_vccz .LBB30_466
; %bb.465:
	global_load_u8 v2, v[0:1], off
	s_waitcnt vmcnt(0)
	v_lshlrev_b32_e32 v2, 24, v2
	s_delay_alu instid0(VALU_DEP_1) | instskip(NEXT) | instid1(VALU_DEP_1)
	v_and_b32_e32 v3, 0x7f000000, v2
	v_clz_i32_u32_e32 v5, v3
	v_add_nc_u32_e32 v9, 0x1000000, v3
	v_cmp_ne_u32_e32 vcc_lo, 0, v3
	s_delay_alu instid0(VALU_DEP_3) | instskip(NEXT) | instid1(VALU_DEP_1)
	v_min_u32_e32 v5, 32, v5
	v_sub_nc_u32_e64 v5, v5, 4 clamp
	s_delay_alu instid0(VALU_DEP_1) | instskip(SKIP_1) | instid1(VALU_DEP_2)
	v_lshlrev_b32_e32 v7, v5, v3
	v_lshlrev_b32_e32 v5, 23, v5
	v_lshrrev_b32_e32 v7, 4, v7
	s_delay_alu instid0(VALU_DEP_1) | instskip(SKIP_1) | instid1(VALU_DEP_2)
	v_sub_nc_u32_e32 v5, v7, v5
	v_ashrrev_i32_e32 v7, 8, v9
	v_add_nc_u32_e32 v5, 0x3c000000, v5
	s_delay_alu instid0(VALU_DEP_1) | instskip(NEXT) | instid1(VALU_DEP_1)
	v_and_or_b32 v5, 0x7f800000, v7, v5
	v_cndmask_b32_e32 v3, 0, v5, vcc_lo
	s_delay_alu instid0(VALU_DEP_1)
	v_and_or_b32 v2, 0x80000000, v2, v3
.LBB30_466:
	s_mov_b32 s0, 0
.LBB30_467:
	s_delay_alu instid0(SALU_CYCLE_1)
	s_and_not1_b32 vcc_lo, exec_lo, s0
	s_cbranch_vccnz .LBB30_469
; %bb.468:
	global_load_u8 v2, v[0:1], off
	s_waitcnt vmcnt(0)
	v_lshlrev_b32_e32 v3, 25, v2
	v_lshlrev_b16 v2, 8, v2
	s_delay_alu instid0(VALU_DEP_2) | instskip(NEXT) | instid1(VALU_DEP_2)
	v_lshrrev_b32_e32 v5, 4, v3
	v_and_or_b32 v7, 0x7f00, v2, 0.5
	v_cmp_gt_u32_e32 vcc_lo, 0x8000000, v3
	v_bfe_i32 v2, v2, 0, 16
	s_delay_alu instid0(VALU_DEP_4) | instskip(NEXT) | instid1(VALU_DEP_4)
	v_or_b32_e32 v5, 0x70000000, v5
	v_add_f32_e32 v7, -0.5, v7
	s_delay_alu instid0(VALU_DEP_2) | instskip(NEXT) | instid1(VALU_DEP_1)
	v_mul_f32_e32 v5, 0x7800000, v5
	v_cndmask_b32_e32 v3, v5, v7, vcc_lo
	s_delay_alu instid0(VALU_DEP_1)
	v_and_or_b32 v2, 0x80000000, v2, v3
.LBB30_469:
	s_mov_b32 s1, 0
	s_mov_b32 s0, -1
.LBB30_470:
	s_and_not1_b32 vcc_lo, exec_lo, s1
	s_cbranch_vccnz .LBB30_483
; %bb.471:
	v_cmp_lt_i16_e32 vcc_lo, 14, v6
	s_cbranch_vccz .LBB30_474
; %bb.472:
	v_cmp_eq_u16_e32 vcc_lo, 15, v6
	s_cbranch_vccz .LBB30_477
; %bb.473:
	global_load_u16 v2, v[0:1], off
	s_mov_b32 s0, -1
	s_mov_b32 s16, 0
	s_waitcnt vmcnt(0)
	v_lshlrev_b32_e32 v2, 16, v2
	s_branch .LBB30_478
.LBB30_474:
	s_mov_b32 s1, -1
                                        ; implicit-def: $vgpr2
	s_branch .LBB30_479
.LBB30_475:
	s_or_saveexec_b32 s17, s17
	v_mov_b32_e32 v2, s1
	s_xor_b32 exec_lo, exec_lo, s17
	s_cbranch_execz .LBB30_456
.LBB30_476:
	v_cmp_ne_u16_e32 vcc_lo, 0, v3
	v_mov_b32_e32 v2, 0
	s_and_not1_b32 s0, s0, exec_lo
	s_and_b32 s1, vcc_lo, exec_lo
	s_delay_alu instid0(SALU_CYCLE_1)
	s_or_b32 s0, s0, s1
	s_or_b32 exec_lo, exec_lo, s17
	s_and_saveexec_b32 s1, s0
	s_cbranch_execnz .LBB30_457
	s_branch .LBB30_458
.LBB30_477:
	s_mov_b32 s16, -1
                                        ; implicit-def: $vgpr2
.LBB30_478:
	s_mov_b32 s1, 0
.LBB30_479:
	s_delay_alu instid0(SALU_CYCLE_1)
	s_and_b32 vcc_lo, exec_lo, s1
	s_cbranch_vccz .LBB30_483
; %bb.480:
	v_cmp_eq_u16_e32 vcc_lo, 11, v6
	s_cbranch_vccz .LBB30_482
; %bb.481:
	global_load_u8 v2, v[0:1], off
	s_mov_b32 s16, 0
	s_mov_b32 s0, -1
	s_waitcnt vmcnt(0)
	v_cmp_ne_u16_e32 vcc_lo, 0, v2
	v_cndmask_b32_e64 v2, 0, 1.0, vcc_lo
	s_branch .LBB30_483
.LBB30_482:
	s_mov_b32 s16, -1
                                        ; implicit-def: $vgpr2
.LBB30_483:
	s_branch .LBB30_273
.LBB30_484:
	v_cmp_gt_i16_e32 vcc_lo, 5, v6
	s_cbranch_vccnz .LBB30_489
; %bb.485:
	v_cmp_gt_i16_e32 vcc_lo, 8, v6
	s_cbranch_vccnz .LBB30_490
; %bb.486:
	;; [unrolled: 3-line block ×3, first 2 shown]
	v_cmp_lt_i16_e32 vcc_lo, 9, v6
	s_cbranch_vccz .LBB30_492
; %bb.488:
	global_load_b64 v[2:3], v[0:1], off
	s_mov_b32 s0, 0
	s_waitcnt vmcnt(0)
	v_cvt_f32_f64_e32 v2, v[2:3]
	s_branch .LBB30_493
.LBB30_489:
	s_mov_b32 s0, -1
                                        ; implicit-def: $vgpr2
	s_branch .LBB30_511
.LBB30_490:
	s_mov_b32 s0, -1
                                        ; implicit-def: $vgpr2
	s_branch .LBB30_499
.LBB30_491:
	s_mov_b32 s0, -1
                                        ; implicit-def: $vgpr2
	s_branch .LBB30_496
.LBB30_492:
	s_mov_b32 s0, -1
                                        ; implicit-def: $vgpr2
.LBB30_493:
	s_delay_alu instid0(SALU_CYCLE_1)
	s_and_not1_b32 vcc_lo, exec_lo, s0
	s_cbranch_vccnz .LBB30_495
; %bb.494:
	global_load_b32 v2, v[0:1], off
.LBB30_495:
	s_mov_b32 s0, 0
.LBB30_496:
	s_delay_alu instid0(SALU_CYCLE_1)
	s_and_not1_b32 vcc_lo, exec_lo, s0
	s_cbranch_vccnz .LBB30_498
; %bb.497:
	global_load_b32 v2, v[0:1], off
	s_waitcnt vmcnt(0)
	v_cvt_f32_f16_e32 v2, v2
.LBB30_498:
	s_mov_b32 s0, 0
.LBB30_499:
	s_delay_alu instid0(SALU_CYCLE_1)
	s_and_not1_b32 vcc_lo, exec_lo, s0
	s_cbranch_vccnz .LBB30_510
; %bb.500:
	v_cmp_gt_i16_e32 vcc_lo, 6, v6
	s_cbranch_vccnz .LBB30_503
; %bb.501:
	v_cmp_lt_i16_e32 vcc_lo, 6, v6
	s_cbranch_vccz .LBB30_504
; %bb.502:
	global_load_b64 v[2:3], v[0:1], off
	s_mov_b32 s0, 0
	s_waitcnt vmcnt(0)
	v_cvt_f32_f64_e32 v2, v[2:3]
	s_branch .LBB30_505
.LBB30_503:
	s_mov_b32 s0, -1
                                        ; implicit-def: $vgpr2
	s_branch .LBB30_508
.LBB30_504:
	s_mov_b32 s0, -1
                                        ; implicit-def: $vgpr2
.LBB30_505:
	s_delay_alu instid0(SALU_CYCLE_1)
	s_and_not1_b32 vcc_lo, exec_lo, s0
	s_cbranch_vccnz .LBB30_507
; %bb.506:
	global_load_b32 v2, v[0:1], off
.LBB30_507:
	s_mov_b32 s0, 0
.LBB30_508:
	s_delay_alu instid0(SALU_CYCLE_1)
	s_and_not1_b32 vcc_lo, exec_lo, s0
	s_cbranch_vccnz .LBB30_510
; %bb.509:
	global_load_u16 v2, v[0:1], off
	s_waitcnt vmcnt(0)
	v_cvt_f32_f16_e32 v2, v2
.LBB30_510:
	s_mov_b32 s0, 0
.LBB30_511:
	s_delay_alu instid0(SALU_CYCLE_1)
	s_and_not1_b32 vcc_lo, exec_lo, s0
	s_cbranch_vccnz .LBB30_531
; %bb.512:
	v_cmp_gt_i16_e32 vcc_lo, 2, v6
	s_cbranch_vccnz .LBB30_516
; %bb.513:
	v_cmp_gt_i16_e32 vcc_lo, 3, v6
	s_cbranch_vccnz .LBB30_517
; %bb.514:
	v_cmp_lt_i16_e32 vcc_lo, 3, v6
	s_cbranch_vccz .LBB30_518
; %bb.515:
	global_load_b64 v[2:3], v[0:1], off
	s_mov_b32 s0, 0
	s_waitcnt vmcnt(0)
	v_xor_b32_e32 v5, v2, v3
	v_cls_i32_e32 v7, v3
	s_delay_alu instid0(VALU_DEP_2) | instskip(NEXT) | instid1(VALU_DEP_2)
	v_ashrrev_i32_e32 v5, 31, v5
	v_add_nc_u32_e32 v7, -1, v7
	s_delay_alu instid0(VALU_DEP_2) | instskip(NEXT) | instid1(VALU_DEP_1)
	v_add_nc_u32_e32 v5, 32, v5
	v_min_u32_e32 v5, v7, v5
	s_delay_alu instid0(VALU_DEP_1) | instskip(NEXT) | instid1(VALU_DEP_1)
	v_lshlrev_b64 v[2:3], v5, v[2:3]
	v_min_u32_e32 v2, 1, v2
	s_delay_alu instid0(VALU_DEP_1) | instskip(SKIP_1) | instid1(VALU_DEP_2)
	v_or_b32_e32 v2, v3, v2
	v_sub_nc_u32_e32 v3, 32, v5
	v_cvt_f32_i32_e32 v2, v2
	s_delay_alu instid0(VALU_DEP_1)
	v_ldexp_f32 v2, v2, v3
	s_branch .LBB30_519
.LBB30_516:
	s_mov_b32 s0, -1
                                        ; implicit-def: $vgpr2
	s_branch .LBB30_525
.LBB30_517:
	s_mov_b32 s0, -1
                                        ; implicit-def: $vgpr2
	s_branch .LBB30_522
.LBB30_518:
	s_mov_b32 s0, -1
                                        ; implicit-def: $vgpr2
.LBB30_519:
	s_delay_alu instid0(SALU_CYCLE_1)
	s_and_not1_b32 vcc_lo, exec_lo, s0
	s_cbranch_vccnz .LBB30_521
; %bb.520:
	global_load_b32 v2, v[0:1], off
	s_waitcnt vmcnt(0)
	v_cvt_f32_i32_e32 v2, v2
.LBB30_521:
	s_mov_b32 s0, 0
.LBB30_522:
	s_delay_alu instid0(SALU_CYCLE_1)
	s_and_not1_b32 vcc_lo, exec_lo, s0
	s_cbranch_vccnz .LBB30_524
; %bb.523:
	global_load_i16 v2, v[0:1], off
	s_waitcnt vmcnt(0)
	v_cvt_f32_i32_e32 v2, v2
.LBB30_524:
	s_mov_b32 s0, 0
.LBB30_525:
	s_delay_alu instid0(SALU_CYCLE_1)
	s_and_not1_b32 vcc_lo, exec_lo, s0
	s_cbranch_vccnz .LBB30_531
; %bb.526:
	v_cmp_lt_i16_e32 vcc_lo, 0, v6
	s_mov_b32 s0, 0
	s_cbranch_vccz .LBB30_528
; %bb.527:
	global_load_i8 v2, v[0:1], off
	s_waitcnt vmcnt(0)
	v_cvt_f32_i32_e32 v2, v2
	s_branch .LBB30_529
.LBB30_528:
	s_mov_b32 s0, -1
                                        ; implicit-def: $vgpr2
.LBB30_529:
	s_delay_alu instid0(SALU_CYCLE_1)
	s_and_not1_b32 vcc_lo, exec_lo, s0
	s_cbranch_vccnz .LBB30_531
; %bb.530:
	global_load_u8 v0, v[0:1], off
	s_waitcnt vmcnt(0)
	v_cvt_f32_ubyte0_e32 v2, v0
.LBB30_531:
	s_branch .LBB30_274
.LBB30_532:
	s_mov_b32 s1, 0
	s_mov_b32 s0, s12
.LBB30_533:
                                        ; implicit-def: $vgpr8
.LBB30_534:
	s_and_not1_b32 s17, s12, exec_lo
	s_and_b32 s0, s0, exec_lo
	s_and_not1_b32 s19, s14, exec_lo
	s_and_b32 s16, s16, exec_lo
	s_or_b32 s17, s17, s0
	s_or_b32 s16, s19, s16
	s_or_not1_b32 s20, s1, exec_lo
.LBB30_535:
	s_or_b32 exec_lo, exec_lo, s18
	s_mov_b32 s1, 0
	s_mov_b32 s19, 0
	s_mov_b32 s0, 0
                                        ; implicit-def: $vgpr0_vgpr1
                                        ; implicit-def: $vgpr7
	s_and_saveexec_b32 s18, s20
	s_cbranch_execz .LBB30_894
; %bb.536:
	s_mov_b32 s0, -1
	s_mov_b32 s1, s16
	s_mov_b32 s20, s17
	s_mov_b32 s19, exec_lo
	v_cmpx_gt_i32_e64 s13, v8
	s_cbranch_execz .LBB30_808
; %bb.537:
	v_mul_lo_u32 v0, v8, s3
	v_cmp_gt_i16_e32 vcc_lo, 11, v6
	s_delay_alu instid0(VALU_DEP_2) | instskip(SKIP_1) | instid1(VALU_DEP_1)
	v_ashrrev_i32_e32 v1, 31, v0
	v_add_co_u32 v0, s0, s6, v0
	v_add_co_ci_u32_e64 v1, s0, s7, v1, s0
	s_cbranch_vccnz .LBB30_544
; %bb.538:
	v_cmp_lt_i16_e32 vcc_lo, 25, v6
	s_cbranch_vccz .LBB30_545
; %bb.539:
	v_cmp_lt_i16_e32 vcc_lo, 28, v6
	s_cbranch_vccz .LBB30_546
	;; [unrolled: 3-line block ×4, first 2 shown]
; %bb.542:
	v_cmp_eq_u16_e32 vcc_lo, 46, v6
	s_mov_b32 s1, 0
	s_cbranch_vccz .LBB30_553
; %bb.543:
	global_load_b32 v2, v[0:1], off
	s_mov_b32 s0, -1
	s_mov_b32 s20, 0
	s_waitcnt vmcnt(0)
	v_lshlrev_b32_e32 v2, 16, v2
	s_branch .LBB30_555
.LBB30_544:
	s_mov_b32 s1, -1
	s_mov_b32 s0, 0
	s_mov_b32 s20, s16
                                        ; implicit-def: $vgpr2
	s_branch .LBB30_620
.LBB30_545:
	s_mov_b32 s1, -1
	s_mov_b32 s0, 0
	s_mov_b32 s20, s16
                                        ; implicit-def: $vgpr2
	s_branch .LBB30_584
.LBB30_546:
	s_mov_b32 s1, -1
	s_mov_b32 s0, 0
	s_mov_b32 s20, s16
                                        ; implicit-def: $vgpr2
	s_branch .LBB30_565
.LBB30_547:
	s_mov_b32 s1, -1
	s_mov_b32 s0, 0
	s_mov_b32 s20, s16
                                        ; implicit-def: $vgpr2
	s_branch .LBB30_560
.LBB30_548:
	s_or_saveexec_b32 s19, s19
                                        ; implicit-def: $sgpr20
	s_delay_alu instid0(SALU_CYCLE_1)
	s_xor_b32 exec_lo, exec_lo, s19
	s_cbranch_execz .LBB30_332
.LBB30_549:
	v_add_f32_e64 v1, 0x46000000, |v0|
	s_and_not1_b32 s17, s17, exec_lo
	s_mov_b32 s20, 0
	s_delay_alu instid0(VALU_DEP_1) | instskip(NEXT) | instid1(VALU_DEP_1)
	v_and_b32_e32 v1, 0xff, v1
	v_cmp_ne_u32_e32 vcc_lo, 0, v1
	s_and_b32 s21, vcc_lo, exec_lo
	s_delay_alu instid0(SALU_CYCLE_1)
	s_or_b32 s17, s17, s21
	s_or_b32 exec_lo, exec_lo, s19
	v_mov_b32_e32 v7, s20
	s_and_saveexec_b32 s19, s17
	s_cbranch_execnz .LBB30_333
	s_branch .LBB30_334
.LBB30_550:
	s_mov_b32 s1, -1
	s_mov_b32 s0, 0
	s_mov_b32 s20, s16
	s_branch .LBB30_554
.LBB30_551:
	s_or_saveexec_b32 s19, s19
                                        ; implicit-def: $sgpr20
	s_delay_alu instid0(SALU_CYCLE_1)
	s_xor_b32 exec_lo, exec_lo, s19
	s_cbranch_execz .LBB30_345
.LBB30_552:
	v_add_f32_e64 v1, 0x42800000, |v0|
	s_and_not1_b32 s17, s17, exec_lo
	s_mov_b32 s20, 0
	s_delay_alu instid0(VALU_DEP_1) | instskip(NEXT) | instid1(VALU_DEP_1)
	v_and_b32_e32 v1, 0xff, v1
	v_cmp_ne_u32_e32 vcc_lo, 0, v1
	s_and_b32 s21, vcc_lo, exec_lo
	s_delay_alu instid0(SALU_CYCLE_1)
	s_or_b32 s17, s17, s21
	s_or_b32 exec_lo, exec_lo, s19
	v_mov_b32_e32 v7, s20
	s_and_saveexec_b32 s19, s17
	s_cbranch_execnz .LBB30_346
	s_branch .LBB30_347
.LBB30_553:
	s_mov_b32 s20, -1
	s_mov_b32 s0, 0
.LBB30_554:
                                        ; implicit-def: $vgpr2
.LBB30_555:
	s_and_b32 vcc_lo, exec_lo, s1
	s_cbranch_vccz .LBB30_559
; %bb.556:
	v_cmp_eq_u16_e32 vcc_lo, 44, v6
	s_cbranch_vccz .LBB30_558
; %bb.557:
	global_load_u8 v2, v[0:1], off
	s_mov_b32 s20, 0
	s_mov_b32 s0, -1
	s_waitcnt vmcnt(0)
	v_lshlrev_b32_e32 v3, 23, v2
	v_cmp_ne_u32_e32 vcc_lo, 0xff, v2
	s_delay_alu instid0(VALU_DEP_2) | instskip(SKIP_1) | instid1(VALU_DEP_2)
	v_cndmask_b32_e32 v3, 0x7f800001, v3, vcc_lo
	v_cmp_ne_u32_e32 vcc_lo, 0, v2
	v_cndmask_b32_e32 v2, 0x400000, v3, vcc_lo
	s_branch .LBB30_559
.LBB30_558:
	s_mov_b32 s20, -1
                                        ; implicit-def: $vgpr2
.LBB30_559:
	s_mov_b32 s1, 0
.LBB30_560:
	s_delay_alu instid0(SALU_CYCLE_1)
	s_and_b32 vcc_lo, exec_lo, s1
	s_cbranch_vccz .LBB30_564
; %bb.561:
	v_cmp_eq_u16_e32 vcc_lo, 29, v6
	s_cbranch_vccz .LBB30_563
; %bb.562:
	global_load_b64 v[2:3], v[0:1], off
	s_mov_b32 s0, -1
	s_mov_b32 s20, 0
	s_mov_b32 s1, 0
	s_waitcnt vmcnt(0)
	v_clz_i32_u32_e32 v5, v3
	s_delay_alu instid0(VALU_DEP_1) | instskip(NEXT) | instid1(VALU_DEP_1)
	v_min_u32_e32 v5, 32, v5
	v_lshlrev_b64 v[2:3], v5, v[2:3]
	s_delay_alu instid0(VALU_DEP_1) | instskip(NEXT) | instid1(VALU_DEP_1)
	v_min_u32_e32 v2, 1, v2
	v_or_b32_e32 v2, v3, v2
	v_sub_nc_u32_e32 v3, 32, v5
	s_delay_alu instid0(VALU_DEP_2) | instskip(NEXT) | instid1(VALU_DEP_1)
	v_cvt_f32_u32_e32 v2, v2
	v_ldexp_f32 v2, v2, v3
	s_branch .LBB30_565
.LBB30_563:
	s_mov_b32 s20, -1
                                        ; implicit-def: $vgpr2
.LBB30_564:
	s_mov_b32 s1, 0
.LBB30_565:
	s_delay_alu instid0(SALU_CYCLE_1)
	s_and_b32 vcc_lo, exec_lo, s1
	s_cbranch_vccz .LBB30_583
; %bb.566:
	v_cmp_gt_i16_e32 vcc_lo, 27, v6
	s_cbranch_vccnz .LBB30_569
; %bb.567:
	v_cmp_lt_i16_e32 vcc_lo, 27, v6
	s_cbranch_vccz .LBB30_570
; %bb.568:
	global_load_b32 v2, v[0:1], off
	s_mov_b32 s0, 0
	s_waitcnt vmcnt(0)
	v_cvt_f32_u32_e32 v2, v2
	s_branch .LBB30_571
.LBB30_569:
	s_mov_b32 s0, -1
                                        ; implicit-def: $vgpr2
	s_branch .LBB30_574
.LBB30_570:
	s_mov_b32 s0, -1
                                        ; implicit-def: $vgpr2
.LBB30_571:
	s_delay_alu instid0(SALU_CYCLE_1)
	s_and_not1_b32 vcc_lo, exec_lo, s0
	s_cbranch_vccnz .LBB30_573
; %bb.572:
	global_load_u16 v2, v[0:1], off
	s_waitcnt vmcnt(0)
	v_cvt_f32_u32_e32 v2, v2
.LBB30_573:
	s_mov_b32 s0, 0
.LBB30_574:
	s_delay_alu instid0(SALU_CYCLE_1)
	s_and_not1_b32 vcc_lo, exec_lo, s0
	s_cbranch_vccnz .LBB30_582
; %bb.575:
	global_load_u8 v3, v[0:1], off
	s_mov_b32 s0, 0
	s_mov_b32 s21, exec_lo
                                        ; implicit-def: $sgpr1
	s_waitcnt vmcnt(0)
	v_cmpx_lt_i16_e32 0x7f, v3
	s_xor_b32 s21, exec_lo, s21
	s_cbranch_execz .LBB30_596
; %bb.576:
	s_mov_b32 s0, -1
	s_mov_b32 s22, exec_lo
                                        ; implicit-def: $sgpr1
	v_cmpx_eq_u16_e32 0x80, v3
; %bb.577:
	s_mov_b32 s1, 0x7f800001
	s_xor_b32 s0, exec_lo, -1
; %bb.578:
	s_or_b32 exec_lo, exec_lo, s22
	s_delay_alu instid0(SALU_CYCLE_1)
	s_and_b32 s0, s0, exec_lo
	s_or_saveexec_b32 s21, s21
	v_mov_b32_e32 v2, s1
	s_xor_b32 exec_lo, exec_lo, s21
	s_cbranch_execnz .LBB30_597
.LBB30_579:
	s_or_b32 exec_lo, exec_lo, s21
	s_and_saveexec_b32 s1, s0
	s_cbranch_execz .LBB30_581
.LBB30_580:
	v_and_b32_e32 v2, 0xffff, v3
	v_lshlrev_b32_e32 v3, 24, v3
	s_delay_alu instid0(VALU_DEP_2) | instskip(NEXT) | instid1(VALU_DEP_2)
	v_and_b32_e32 v5, 7, v2
	v_and_b32_e32 v3, 0x80000000, v3
	s_delay_alu instid0(VALU_DEP_2) | instskip(NEXT) | instid1(VALU_DEP_1)
	v_clz_i32_u32_e32 v7, v5
	v_min_u32_e32 v7, 32, v7
	s_delay_alu instid0(VALU_DEP_1) | instskip(SKIP_1) | instid1(VALU_DEP_2)
	v_subrev_nc_u32_e32 v9, 28, v7
	v_sub_nc_u32_e32 v7, 29, v7
	v_lshlrev_b32_e32 v9, v9, v2
	v_bfe_u32 v2, v2, 3, 4
	s_delay_alu instid0(VALU_DEP_2) | instskip(NEXT) | instid1(VALU_DEP_2)
	v_and_b32_e32 v9, 7, v9
	v_cmp_eq_u32_e32 vcc_lo, 0, v2
	s_delay_alu instid0(VALU_DEP_2) | instskip(NEXT) | instid1(VALU_DEP_1)
	v_dual_cndmask_b32 v2, v2, v7 :: v_dual_cndmask_b32 v5, v5, v9
	v_lshl_add_u32 v2, v2, 23, 0x3b800000
	s_delay_alu instid0(VALU_DEP_2) | instskip(NEXT) | instid1(VALU_DEP_1)
	v_lshlrev_b32_e32 v5, 20, v5
	v_or3_b32 v2, v3, v2, v5
.LBB30_581:
	s_or_b32 exec_lo, exec_lo, s1
.LBB30_582:
	s_mov_b32 s0, -1
.LBB30_583:
	s_mov_b32 s1, 0
.LBB30_584:
	s_delay_alu instid0(SALU_CYCLE_1)
	s_and_b32 vcc_lo, exec_lo, s1
	s_cbranch_vccz .LBB30_619
; %bb.585:
	v_cmp_lt_i16_e32 vcc_lo, 22, v6
	s_cbranch_vccz .LBB30_595
; %bb.586:
	v_cmp_gt_i16_e32 vcc_lo, 24, v6
	s_cbranch_vccnz .LBB30_598
; %bb.587:
	v_cmp_lt_i16_e32 vcc_lo, 24, v6
	s_cbranch_vccz .LBB30_599
; %bb.588:
	global_load_u8 v3, v[0:1], off
	s_mov_b32 s0, 0
	s_mov_b32 s21, exec_lo
                                        ; implicit-def: $sgpr1
	s_waitcnt vmcnt(0)
	v_cmpx_lt_i16_e32 0x7f, v3
	s_xor_b32 s21, exec_lo, s21
	s_cbranch_execz .LBB30_611
; %bb.589:
	s_mov_b32 s0, -1
	s_mov_b32 s22, exec_lo
                                        ; implicit-def: $sgpr1
	v_cmpx_eq_u16_e32 0x80, v3
; %bb.590:
	s_mov_b32 s1, 0x7f800001
	s_xor_b32 s0, exec_lo, -1
; %bb.591:
	s_or_b32 exec_lo, exec_lo, s22
	s_delay_alu instid0(SALU_CYCLE_1)
	s_and_b32 s0, s0, exec_lo
	s_or_saveexec_b32 s21, s21
	v_mov_b32_e32 v2, s1
	s_xor_b32 exec_lo, exec_lo, s21
	s_cbranch_execnz .LBB30_612
.LBB30_592:
	s_or_b32 exec_lo, exec_lo, s21
	s_and_saveexec_b32 s1, s0
	s_cbranch_execz .LBB30_594
.LBB30_593:
	v_and_b32_e32 v2, 0xffff, v3
	v_lshlrev_b32_e32 v3, 24, v3
	s_delay_alu instid0(VALU_DEP_2) | instskip(NEXT) | instid1(VALU_DEP_2)
	v_and_b32_e32 v5, 3, v2
	v_and_b32_e32 v3, 0x80000000, v3
	s_delay_alu instid0(VALU_DEP_2) | instskip(NEXT) | instid1(VALU_DEP_1)
	v_clz_i32_u32_e32 v7, v5
	v_min_u32_e32 v7, 32, v7
	s_delay_alu instid0(VALU_DEP_1) | instskip(SKIP_1) | instid1(VALU_DEP_2)
	v_subrev_nc_u32_e32 v9, 29, v7
	v_sub_nc_u32_e32 v7, 30, v7
	v_lshlrev_b32_e32 v9, v9, v2
	v_bfe_u32 v2, v2, 2, 5
	s_delay_alu instid0(VALU_DEP_2) | instskip(NEXT) | instid1(VALU_DEP_2)
	v_and_b32_e32 v9, 3, v9
	v_cmp_eq_u32_e32 vcc_lo, 0, v2
	s_delay_alu instid0(VALU_DEP_2) | instskip(NEXT) | instid1(VALU_DEP_1)
	v_dual_cndmask_b32 v2, v2, v7 :: v_dual_cndmask_b32 v5, v5, v9
	v_lshl_add_u32 v2, v2, 23, 0x37800000
	s_delay_alu instid0(VALU_DEP_2) | instskip(NEXT) | instid1(VALU_DEP_1)
	v_lshlrev_b32_e32 v5, 21, v5
	v_or3_b32 v2, v3, v2, v5
.LBB30_594:
	s_or_b32 exec_lo, exec_lo, s1
	s_mov_b32 s0, 0
	s_branch .LBB30_600
.LBB30_595:
	s_mov_b32 s1, -1
                                        ; implicit-def: $vgpr2
	s_branch .LBB30_606
.LBB30_596:
	s_or_saveexec_b32 s21, s21
	v_mov_b32_e32 v2, s1
	s_xor_b32 exec_lo, exec_lo, s21
	s_cbranch_execz .LBB30_579
.LBB30_597:
	v_cmp_ne_u16_e32 vcc_lo, 0, v3
	v_mov_b32_e32 v2, 0
	s_and_not1_b32 s0, s0, exec_lo
	s_and_b32 s1, vcc_lo, exec_lo
	s_delay_alu instid0(SALU_CYCLE_1)
	s_or_b32 s0, s0, s1
	s_or_b32 exec_lo, exec_lo, s21
	s_and_saveexec_b32 s1, s0
	s_cbranch_execnz .LBB30_580
	s_branch .LBB30_581
.LBB30_598:
	s_mov_b32 s0, -1
                                        ; implicit-def: $vgpr2
	s_branch .LBB30_603
.LBB30_599:
	s_mov_b32 s0, -1
                                        ; implicit-def: $vgpr2
.LBB30_600:
	s_delay_alu instid0(SALU_CYCLE_1)
	s_and_b32 vcc_lo, exec_lo, s0
	s_cbranch_vccz .LBB30_602
; %bb.601:
	global_load_u8 v2, v[0:1], off
	s_waitcnt vmcnt(0)
	v_lshlrev_b32_e32 v2, 24, v2
	s_delay_alu instid0(VALU_DEP_1) | instskip(NEXT) | instid1(VALU_DEP_1)
	v_and_b32_e32 v3, 0x7f000000, v2
	v_clz_i32_u32_e32 v5, v3
	v_add_nc_u32_e32 v9, 0x1000000, v3
	v_cmp_ne_u32_e32 vcc_lo, 0, v3
	s_delay_alu instid0(VALU_DEP_3) | instskip(NEXT) | instid1(VALU_DEP_1)
	v_min_u32_e32 v5, 32, v5
	v_sub_nc_u32_e64 v5, v5, 4 clamp
	s_delay_alu instid0(VALU_DEP_1) | instskip(SKIP_1) | instid1(VALU_DEP_2)
	v_lshlrev_b32_e32 v7, v5, v3
	v_lshlrev_b32_e32 v5, 23, v5
	v_lshrrev_b32_e32 v7, 4, v7
	s_delay_alu instid0(VALU_DEP_1) | instskip(SKIP_1) | instid1(VALU_DEP_2)
	v_sub_nc_u32_e32 v5, v7, v5
	v_ashrrev_i32_e32 v7, 8, v9
	v_add_nc_u32_e32 v5, 0x3c000000, v5
	s_delay_alu instid0(VALU_DEP_1) | instskip(NEXT) | instid1(VALU_DEP_1)
	v_and_or_b32 v5, 0x7f800000, v7, v5
	v_cndmask_b32_e32 v3, 0, v5, vcc_lo
	s_delay_alu instid0(VALU_DEP_1)
	v_and_or_b32 v2, 0x80000000, v2, v3
.LBB30_602:
	s_mov_b32 s0, 0
.LBB30_603:
	s_delay_alu instid0(SALU_CYCLE_1)
	s_and_not1_b32 vcc_lo, exec_lo, s0
	s_cbranch_vccnz .LBB30_605
; %bb.604:
	global_load_u8 v2, v[0:1], off
	s_waitcnt vmcnt(0)
	v_lshlrev_b32_e32 v3, 25, v2
	v_lshlrev_b16 v2, 8, v2
	s_delay_alu instid0(VALU_DEP_2) | instskip(NEXT) | instid1(VALU_DEP_2)
	v_lshrrev_b32_e32 v5, 4, v3
	v_and_or_b32 v7, 0x7f00, v2, 0.5
	v_cmp_gt_u32_e32 vcc_lo, 0x8000000, v3
	v_bfe_i32 v2, v2, 0, 16
	s_delay_alu instid0(VALU_DEP_4) | instskip(NEXT) | instid1(VALU_DEP_4)
	v_or_b32_e32 v5, 0x70000000, v5
	v_add_f32_e32 v7, -0.5, v7
	s_delay_alu instid0(VALU_DEP_2) | instskip(NEXT) | instid1(VALU_DEP_1)
	v_mul_f32_e32 v5, 0x7800000, v5
	v_cndmask_b32_e32 v3, v5, v7, vcc_lo
	s_delay_alu instid0(VALU_DEP_1)
	v_and_or_b32 v2, 0x80000000, v2, v3
.LBB30_605:
	s_mov_b32 s1, 0
	s_mov_b32 s0, -1
.LBB30_606:
	s_and_not1_b32 vcc_lo, exec_lo, s1
	s_cbranch_vccnz .LBB30_619
; %bb.607:
	v_cmp_lt_i16_e32 vcc_lo, 14, v6
	s_cbranch_vccz .LBB30_610
; %bb.608:
	v_cmp_eq_u16_e32 vcc_lo, 15, v6
	s_cbranch_vccz .LBB30_613
; %bb.609:
	global_load_u16 v2, v[0:1], off
	s_mov_b32 s0, -1
	s_mov_b32 s20, 0
	s_waitcnt vmcnt(0)
	v_lshlrev_b32_e32 v2, 16, v2
	s_branch .LBB30_614
.LBB30_610:
	s_mov_b32 s1, -1
                                        ; implicit-def: $vgpr2
	s_branch .LBB30_615
.LBB30_611:
	s_or_saveexec_b32 s21, s21
	v_mov_b32_e32 v2, s1
	s_xor_b32 exec_lo, exec_lo, s21
	s_cbranch_execz .LBB30_592
.LBB30_612:
	v_cmp_ne_u16_e32 vcc_lo, 0, v3
	v_mov_b32_e32 v2, 0
	s_and_not1_b32 s0, s0, exec_lo
	s_and_b32 s1, vcc_lo, exec_lo
	s_delay_alu instid0(SALU_CYCLE_1)
	s_or_b32 s0, s0, s1
	s_or_b32 exec_lo, exec_lo, s21
	s_and_saveexec_b32 s1, s0
	s_cbranch_execnz .LBB30_593
	s_branch .LBB30_594
.LBB30_613:
	s_mov_b32 s20, -1
                                        ; implicit-def: $vgpr2
.LBB30_614:
	s_mov_b32 s1, 0
.LBB30_615:
	s_delay_alu instid0(SALU_CYCLE_1)
	s_and_b32 vcc_lo, exec_lo, s1
	s_cbranch_vccz .LBB30_619
; %bb.616:
	v_cmp_eq_u16_e32 vcc_lo, 11, v6
	s_cbranch_vccz .LBB30_618
; %bb.617:
	global_load_u8 v2, v[0:1], off
	s_mov_b32 s20, 0
	s_mov_b32 s0, -1
	s_waitcnt vmcnt(0)
	v_cmp_ne_u16_e32 vcc_lo, 0, v2
	v_cndmask_b32_e64 v2, 0, 1.0, vcc_lo
	s_branch .LBB30_619
.LBB30_618:
	s_mov_b32 s20, -1
                                        ; implicit-def: $vgpr2
.LBB30_619:
	s_mov_b32 s1, 0
.LBB30_620:
	s_delay_alu instid0(SALU_CYCLE_1)
	s_and_b32 vcc_lo, exec_lo, s1
	s_cbranch_vccz .LBB30_669
; %bb.621:
	v_cmp_gt_i16_e32 vcc_lo, 5, v6
	s_cbranch_vccnz .LBB30_626
; %bb.622:
	v_cmp_gt_i16_e32 vcc_lo, 8, v6
	s_cbranch_vccnz .LBB30_627
	;; [unrolled: 3-line block ×3, first 2 shown]
; %bb.624:
	v_cmp_lt_i16_e32 vcc_lo, 9, v6
	s_cbranch_vccz .LBB30_629
; %bb.625:
	global_load_b64 v[2:3], v[0:1], off
	s_mov_b32 s0, 0
	s_waitcnt vmcnt(0)
	v_cvt_f32_f64_e32 v2, v[2:3]
	s_branch .LBB30_630
.LBB30_626:
	s_mov_b32 s0, -1
                                        ; implicit-def: $vgpr2
	s_branch .LBB30_648
.LBB30_627:
	s_mov_b32 s0, -1
                                        ; implicit-def: $vgpr2
	s_branch .LBB30_636
.LBB30_628:
	s_mov_b32 s0, -1
                                        ; implicit-def: $vgpr2
	s_branch .LBB30_633
.LBB30_629:
	s_mov_b32 s0, -1
                                        ; implicit-def: $vgpr2
.LBB30_630:
	s_delay_alu instid0(SALU_CYCLE_1)
	s_and_not1_b32 vcc_lo, exec_lo, s0
	s_cbranch_vccnz .LBB30_632
; %bb.631:
	global_load_b32 v2, v[0:1], off
.LBB30_632:
	s_mov_b32 s0, 0
.LBB30_633:
	s_delay_alu instid0(SALU_CYCLE_1)
	s_and_not1_b32 vcc_lo, exec_lo, s0
	s_cbranch_vccnz .LBB30_635
; %bb.634:
	global_load_b32 v2, v[0:1], off
	s_waitcnt vmcnt(0)
	v_cvt_f32_f16_e32 v2, v2
.LBB30_635:
	s_mov_b32 s0, 0
.LBB30_636:
	s_delay_alu instid0(SALU_CYCLE_1)
	s_and_not1_b32 vcc_lo, exec_lo, s0
	s_cbranch_vccnz .LBB30_647
; %bb.637:
	v_cmp_gt_i16_e32 vcc_lo, 6, v6
	s_cbranch_vccnz .LBB30_640
; %bb.638:
	v_cmp_lt_i16_e32 vcc_lo, 6, v6
	s_cbranch_vccz .LBB30_641
; %bb.639:
	global_load_b64 v[2:3], v[0:1], off
	s_mov_b32 s0, 0
	s_waitcnt vmcnt(0)
	v_cvt_f32_f64_e32 v2, v[2:3]
	s_branch .LBB30_642
.LBB30_640:
	s_mov_b32 s0, -1
                                        ; implicit-def: $vgpr2
	s_branch .LBB30_645
.LBB30_641:
	s_mov_b32 s0, -1
                                        ; implicit-def: $vgpr2
.LBB30_642:
	s_delay_alu instid0(SALU_CYCLE_1)
	s_and_not1_b32 vcc_lo, exec_lo, s0
	s_cbranch_vccnz .LBB30_644
; %bb.643:
	global_load_b32 v2, v[0:1], off
.LBB30_644:
	s_mov_b32 s0, 0
.LBB30_645:
	s_delay_alu instid0(SALU_CYCLE_1)
	s_and_not1_b32 vcc_lo, exec_lo, s0
	s_cbranch_vccnz .LBB30_647
; %bb.646:
	global_load_u16 v2, v[0:1], off
	s_waitcnt vmcnt(0)
	v_cvt_f32_f16_e32 v2, v2
.LBB30_647:
	s_mov_b32 s0, 0
.LBB30_648:
	s_delay_alu instid0(SALU_CYCLE_1)
	s_and_not1_b32 vcc_lo, exec_lo, s0
	s_cbranch_vccnz .LBB30_668
; %bb.649:
	v_cmp_gt_i16_e32 vcc_lo, 2, v6
	s_cbranch_vccnz .LBB30_653
; %bb.650:
	v_cmp_gt_i16_e32 vcc_lo, 3, v6
	s_cbranch_vccnz .LBB30_654
; %bb.651:
	v_cmp_lt_i16_e32 vcc_lo, 3, v6
	s_cbranch_vccz .LBB30_655
; %bb.652:
	global_load_b64 v[2:3], v[0:1], off
	s_mov_b32 s0, 0
	s_waitcnt vmcnt(0)
	v_xor_b32_e32 v5, v2, v3
	v_cls_i32_e32 v7, v3
	s_delay_alu instid0(VALU_DEP_2) | instskip(NEXT) | instid1(VALU_DEP_2)
	v_ashrrev_i32_e32 v5, 31, v5
	v_add_nc_u32_e32 v7, -1, v7
	s_delay_alu instid0(VALU_DEP_2) | instskip(NEXT) | instid1(VALU_DEP_1)
	v_add_nc_u32_e32 v5, 32, v5
	v_min_u32_e32 v5, v7, v5
	s_delay_alu instid0(VALU_DEP_1) | instskip(NEXT) | instid1(VALU_DEP_1)
	v_lshlrev_b64 v[2:3], v5, v[2:3]
	v_min_u32_e32 v2, 1, v2
	s_delay_alu instid0(VALU_DEP_1) | instskip(SKIP_1) | instid1(VALU_DEP_2)
	v_or_b32_e32 v2, v3, v2
	v_sub_nc_u32_e32 v3, 32, v5
	v_cvt_f32_i32_e32 v2, v2
	s_delay_alu instid0(VALU_DEP_1)
	v_ldexp_f32 v2, v2, v3
	s_branch .LBB30_656
.LBB30_653:
	s_mov_b32 s0, -1
                                        ; implicit-def: $vgpr2
	s_branch .LBB30_662
.LBB30_654:
	s_mov_b32 s0, -1
                                        ; implicit-def: $vgpr2
	s_branch .LBB30_659
.LBB30_655:
	s_mov_b32 s0, -1
                                        ; implicit-def: $vgpr2
.LBB30_656:
	s_delay_alu instid0(SALU_CYCLE_1)
	s_and_not1_b32 vcc_lo, exec_lo, s0
	s_cbranch_vccnz .LBB30_658
; %bb.657:
	global_load_b32 v2, v[0:1], off
	s_waitcnt vmcnt(0)
	v_cvt_f32_i32_e32 v2, v2
.LBB30_658:
	s_mov_b32 s0, 0
.LBB30_659:
	s_delay_alu instid0(SALU_CYCLE_1)
	s_and_not1_b32 vcc_lo, exec_lo, s0
	s_cbranch_vccnz .LBB30_661
; %bb.660:
	global_load_i16 v2, v[0:1], off
	s_waitcnt vmcnt(0)
	v_cvt_f32_i32_e32 v2, v2
.LBB30_661:
	s_mov_b32 s0, 0
.LBB30_662:
	s_delay_alu instid0(SALU_CYCLE_1)
	s_and_not1_b32 vcc_lo, exec_lo, s0
	s_cbranch_vccnz .LBB30_668
; %bb.663:
	v_cmp_lt_i16_e32 vcc_lo, 0, v6
	s_mov_b32 s0, 0
	s_cbranch_vccz .LBB30_665
; %bb.664:
	global_load_i8 v2, v[0:1], off
	s_waitcnt vmcnt(0)
	v_cvt_f32_i32_e32 v2, v2
	s_branch .LBB30_666
.LBB30_665:
	s_mov_b32 s0, -1
                                        ; implicit-def: $vgpr2
.LBB30_666:
	s_delay_alu instid0(SALU_CYCLE_1)
	s_and_not1_b32 vcc_lo, exec_lo, s0
	s_cbranch_vccnz .LBB30_668
; %bb.667:
	global_load_u8 v0, v[0:1], off
	s_waitcnt vmcnt(0)
	v_cvt_f32_ubyte0_e32 v2, v0
.LBB30_668:
	s_mov_b32 s0, -1
.LBB30_669:
	s_delay_alu instid0(SALU_CYCLE_1)
	s_and_not1_b32 vcc_lo, exec_lo, s0
	s_cbranch_vccnz .LBB30_689
; %bb.670:
	s_waitcnt vmcnt(0)
	s_delay_alu instid0(VALU_DEP_1) | instskip(SKIP_1) | instid1(VALU_DEP_1)
	v_trunc_f32_e32 v0, v2
	s_mov_b32 s21, exec_lo
	v_mul_f32_e64 v1, 0x2f800000, |v0|
	s_delay_alu instid0(VALU_DEP_1) | instskip(NEXT) | instid1(VALU_DEP_1)
	v_floor_f32_e32 v1, v1
	v_fma_f32 v3, 0xcf800000, v1, |v0|
	v_ashrrev_i32_e32 v0, 31, v0
	v_cvt_u32_f32_e32 v1, v1
	s_delay_alu instid0(VALU_DEP_3) | instskip(NEXT) | instid1(VALU_DEP_2)
	v_cvt_u32_f32_e32 v3, v3
	v_xor_b32_e32 v1, v1, v0
	s_delay_alu instid0(VALU_DEP_2) | instskip(NEXT) | instid1(VALU_DEP_1)
	v_xor_b32_e32 v3, v3, v0
	v_sub_co_u32 v3, vcc_lo, v3, v0
	s_delay_alu instid0(VALU_DEP_3) | instskip(SKIP_1) | instid1(VALU_DEP_2)
	v_sub_co_ci_u32_e32 v0, vcc_lo, v1, v0, vcc_lo
	v_cmp_class_f32_e64 vcc_lo, v2, 0x1f8
	v_dual_cndmask_b32 v2, -1, v0 :: v_dual_cndmask_b32 v1, -1, v3
	v_mov_b32_e32 v0, 0
	s_delay_alu instid0(VALU_DEP_2)
	v_cmpx_lt_i64_e32 -1, v[1:2]
	s_cbranch_execz .LBB30_682
; %bb.671:
	v_mov_b32_e32 v0, 1.0
	s_mov_b32 s22, exec_lo
	v_cmpx_lt_i64_e32 0, v[1:2]
	s_cbranch_execz .LBB30_681
; %bb.672:
                                        ; implicit-def: $vgpr0
	s_mov_b32 s0, exec_lo
	v_cmpx_ne_u64_e32 1, v[1:2]
	s_xor_b32 s23, exec_lo, s0
	s_cbranch_execz .LBB30_678
; %bb.673:
	v_mov_b32_e32 v0, 0x7fc00000
	s_mov_b32 s24, exec_lo
	v_cmpx_gt_u64_e32 0x81, v[1:2]
	s_cbranch_execz .LBB30_677
; %bb.674:
	v_lshlrev_b64 v[1:2], 1, v[1:2]
	v_dual_mov_b32 v3, 1.0 :: v_dual_mov_b32 v0, v4
	s_mov_b64 s[0:1], 2
	s_mov_b32 s25, 0
.LBB30_675:                             ; =>This Inner Loop Header: Depth=1
	s_clz_i32_u32 s26, s1
	s_delay_alu instid0(SALU_CYCLE_1) | instskip(NEXT) | instid1(SALU_CYCLE_1)
	s_min_u32 s28, s26, 32
	s_lshl_b64 s[26:27], s[0:1], s28
	s_delay_alu instid0(SALU_CYCLE_1) | instskip(NEXT) | instid1(SALU_CYCLE_1)
	s_min_u32 s26, s26, 1
	s_or_b32 s26, s27, s26
	s_delay_alu instid0(SALU_CYCLE_1) | instskip(SKIP_3) | instid1(SALU_CYCLE_1)
	v_cvt_f32_u32_e32 v5, s26
	s_sub_i32 s26, 32, s28
	s_add_u32 s0, s0, 2
	s_addc_u32 s1, s1, 0
	v_cmp_ge_u64_e32 vcc_lo, s[0:1], v[1:2]
	v_ldexp_f32 v5, v5, s26
	s_delay_alu instid0(VALU_DEP_1) | instskip(SKIP_2) | instid1(VALU_DEP_2)
	v_mul_f32_e32 v5, v3, v5
	v_mov_b32_e32 v3, v0
	s_or_b32 s25, vcc_lo, s25
	v_fma_f32 v0, v4, v0, -v5
	s_and_not1_b32 exec_lo, exec_lo, s25
	s_cbranch_execnz .LBB30_675
; %bb.676:
	s_or_b32 exec_lo, exec_lo, s25
.LBB30_677:
	s_delay_alu instid0(SALU_CYCLE_1)
	s_or_b32 exec_lo, exec_lo, s24
.LBB30_678:
	s_and_not1_saveexec_b32 s0, s23
; %bb.679:
	v_mov_b32_e32 v0, v4
; %bb.680:
	s_or_b32 exec_lo, exec_lo, s0
.LBB30_681:
	s_delay_alu instid0(SALU_CYCLE_1)
	s_or_b32 exec_lo, exec_lo, s22
.LBB30_682:
	s_delay_alu instid0(SALU_CYCLE_1) | instskip(SKIP_2) | instid1(VALU_DEP_1)
	s_or_b32 exec_lo, exec_lo, s21
	v_mul_lo_u32 v1, v8, s2
	v_and_b32_e64 v5, 0xff, s9
	v_cmp_gt_i16_e32 vcc_lo, 11, v5
	s_delay_alu instid0(VALU_DEP_3) | instskip(SKIP_1) | instid1(VALU_DEP_1)
	v_ashrrev_i32_e32 v3, 31, v1
	v_add_co_u32 v2, s0, s4, v1
	v_add_co_ci_u32_e64 v3, s0, s5, v3, s0
	s_cbranch_vccnz .LBB30_690
; %bb.683:
	v_cmp_lt_i16_e32 vcc_lo, 25, v5
	s_cbranch_vccz .LBB30_691
; %bb.684:
	v_cmp_lt_i16_e32 vcc_lo, 28, v5
	s_cbranch_vccz .LBB30_692
	;; [unrolled: 3-line block ×4, first 2 shown]
; %bb.687:
	v_cmp_eq_u16_e32 vcc_lo, 46, v5
	s_mov_b32 s21, 0
	s_mov_b32 s0, -1
	s_mov_b32 s1, 0
	s_cbranch_vccz .LBB30_695
; %bb.688:
	v_bfe_u32 v1, v0, 16, 1
	v_cmp_o_f32_e32 vcc_lo, v0, v0
	s_mov_b32 s1, -1
	s_mov_b32 s0, 0
	s_delay_alu instid0(VALU_DEP_2) | instskip(NEXT) | instid1(VALU_DEP_1)
	v_add3_u32 v1, v0, v1, 0x7fff
	v_lshrrev_b32_e32 v1, 16, v1
	s_delay_alu instid0(VALU_DEP_1)
	v_cndmask_b32_e32 v1, 0x7fc0, v1, vcc_lo
	global_store_b32 v[2:3], v1, off
	s_branch .LBB30_695
.LBB30_689:
	s_mov_b32 s21, 0
	s_mov_b32 s0, s17
	s_branch .LBB30_806
.LBB30_690:
	s_mov_b32 s21, -1
	s_mov_b32 s1, 0
	s_mov_b32 s0, s17
	s_branch .LBB30_764
.LBB30_691:
	s_mov_b32 s21, -1
	s_mov_b32 s1, 0
	s_mov_b32 s0, s17
	s_branch .LBB30_722
.LBB30_692:
	s_mov_b32 s21, -1
	s_mov_b32 s1, 0
	s_mov_b32 s0, s17
	s_branch .LBB30_705
.LBB30_693:
	s_mov_b32 s21, -1
	s_mov_b32 s1, 0
	s_mov_b32 s0, s17
	s_branch .LBB30_701
.LBB30_694:
	s_mov_b32 s21, -1
	s_mov_b32 s1, 0
	s_mov_b32 s0, s17
.LBB30_695:
	s_and_b32 vcc_lo, exec_lo, s21
	s_cbranch_vccz .LBB30_700
; %bb.696:
	v_cmp_eq_u16_e32 vcc_lo, 44, v5
	s_mov_b32 s0, -1
	s_cbranch_vccz .LBB30_700
; %bb.697:
	v_bfe_u32 v7, v0, 23, 8
	v_mov_b32_e32 v1, 0xff
	s_mov_b32 s1, exec_lo
	s_delay_alu instid0(VALU_DEP_2)
	v_cmpx_ne_u32_e32 0xff, v7
; %bb.698:
	v_and_b32_e32 v1, 0x400000, v0
	v_and_or_b32 v7, 0x3fffff, v0, v7
	s_delay_alu instid0(VALU_DEP_2) | instskip(NEXT) | instid1(VALU_DEP_2)
	v_cmp_ne_u32_e32 vcc_lo, 0, v1
	v_cmp_ne_u32_e64 s0, 0, v7
	v_lshrrev_b32_e32 v1, 23, v0
	s_delay_alu instid0(VALU_DEP_2) | instskip(NEXT) | instid1(SALU_CYCLE_1)
	s_and_b32 s0, vcc_lo, s0
	v_cndmask_b32_e64 v7, 0, 1, s0
	s_delay_alu instid0(VALU_DEP_1)
	v_add_nc_u32_e32 v1, v1, v7
; %bb.699:
	s_or_b32 exec_lo, exec_lo, s1
	s_mov_b32 s1, -1
	s_mov_b32 s0, 0
	global_store_b8 v[2:3], v1, off
.LBB30_700:
	s_mov_b32 s21, 0
.LBB30_701:
	s_delay_alu instid0(SALU_CYCLE_1)
	s_and_b32 vcc_lo, exec_lo, s21
	s_cbranch_vccz .LBB30_704
; %bb.702:
	v_cmp_eq_u16_e32 vcc_lo, 29, v5
	s_mov_b32 s0, -1
	s_cbranch_vccz .LBB30_704
; %bb.703:
	v_trunc_f32_e32 v1, v0
	s_mov_b32 s1, -1
	s_mov_b32 s0, 0
	s_mov_b32 s21, 0
	s_delay_alu instid0(VALU_DEP_1) | instskip(NEXT) | instid1(VALU_DEP_1)
	v_mul_f32_e32 v7, 0x2f800000, v1
	v_floor_f32_e32 v7, v7
	s_delay_alu instid0(VALU_DEP_1) | instskip(SKIP_1) | instid1(VALU_DEP_2)
	v_fmamk_f32 v1, v7, 0xcf800000, v1
	v_cvt_u32_f32_e32 v10, v7
	v_cvt_u32_f32_e32 v9, v1
	global_store_b64 v[2:3], v[9:10], off
	s_branch .LBB30_705
.LBB30_704:
	s_mov_b32 s21, 0
.LBB30_705:
	s_delay_alu instid0(SALU_CYCLE_1)
	s_and_b32 vcc_lo, exec_lo, s21
	s_cbranch_vccz .LBB30_721
; %bb.706:
	v_cmp_gt_i16_e32 vcc_lo, 27, v5
	s_mov_b32 s1, -1
	s_cbranch_vccnz .LBB30_712
; %bb.707:
	v_cmp_lt_i16_e32 vcc_lo, 27, v5
	s_cbranch_vccz .LBB30_709
; %bb.708:
	v_cvt_u32_f32_e32 v1, v0
	s_mov_b32 s1, 0
	global_store_b32 v[2:3], v1, off
.LBB30_709:
	s_and_not1_b32 vcc_lo, exec_lo, s1
	s_cbranch_vccnz .LBB30_711
; %bb.710:
	v_cvt_u32_f32_e32 v1, v0
	global_store_b16 v[2:3], v1, off
.LBB30_711:
	s_mov_b32 s1, 0
.LBB30_712:
	s_delay_alu instid0(SALU_CYCLE_1)
	s_and_not1_b32 vcc_lo, exec_lo, s1
	s_cbranch_vccnz .LBB30_720
; %bb.713:
	v_and_b32_e32 v1, 0x7fffffff, v0
	v_mov_b32_e32 v7, 0x80
	s_mov_b32 s1, exec_lo
	s_delay_alu instid0(VALU_DEP_2)
	v_cmpx_gt_u32_e32 0x43800000, v1
	s_cbranch_execz .LBB30_719
; %bb.714:
	v_cmp_lt_u32_e32 vcc_lo, 0x3bffffff, v1
	s_mov_b32 s21, 0
                                        ; implicit-def: $vgpr1
	s_and_saveexec_b32 s22, vcc_lo
	s_delay_alu instid0(SALU_CYCLE_1)
	s_xor_b32 s22, exec_lo, s22
	s_cbranch_execz .LBB30_821
; %bb.715:
	v_bfe_u32 v1, v0, 20, 1
	s_mov_b32 s21, exec_lo
	s_delay_alu instid0(VALU_DEP_1) | instskip(NEXT) | instid1(VALU_DEP_1)
	v_add3_u32 v1, v0, v1, 0x487ffff
	v_lshrrev_b32_e32 v1, 20, v1
	s_or_saveexec_b32 s22, s22
                                        ; implicit-def: $sgpr23
	s_delay_alu instid0(SALU_CYCLE_1)
	s_xor_b32 exec_lo, exec_lo, s22
	s_cbranch_execnz .LBB30_822
.LBB30_716:
	s_or_b32 exec_lo, exec_lo, s22
	v_mov_b32_e32 v7, s23
	s_and_saveexec_b32 s22, s21
.LBB30_717:
	v_lshrrev_b32_e32 v7, 24, v0
	s_delay_alu instid0(VALU_DEP_1)
	v_and_or_b32 v7, 0x80, v7, v1
.LBB30_718:
	s_or_b32 exec_lo, exec_lo, s22
.LBB30_719:
	s_delay_alu instid0(SALU_CYCLE_1)
	s_or_b32 exec_lo, exec_lo, s1
	global_store_b8 v[2:3], v7, off
.LBB30_720:
	s_mov_b32 s1, -1
.LBB30_721:
	s_mov_b32 s21, 0
.LBB30_722:
	s_delay_alu instid0(SALU_CYCLE_1)
	s_and_b32 vcc_lo, exec_lo, s21
	s_cbranch_vccz .LBB30_763
; %bb.723:
	v_cmp_lt_i16_e32 vcc_lo, 22, v5
	s_mov_b32 s21, -1
	s_cbranch_vccz .LBB30_755
; %bb.724:
	v_cmp_gt_i16_e32 vcc_lo, 24, v5
	s_mov_b32 s1, -1
	s_cbranch_vccnz .LBB30_744
; %bb.725:
	v_cmp_lt_i16_e32 vcc_lo, 24, v5
	s_cbranch_vccz .LBB30_733
; %bb.726:
	v_and_b32_e32 v1, 0x7fffffff, v0
	v_mov_b32_e32 v7, 0x80
	s_mov_b32 s1, exec_lo
	s_delay_alu instid0(VALU_DEP_2)
	v_cmpx_gt_u32_e32 0x47800000, v1
	s_cbranch_execz .LBB30_732
; %bb.727:
	v_cmp_lt_u32_e32 vcc_lo, 0x37ffffff, v1
	s_mov_b32 s21, 0
                                        ; implicit-def: $vgpr1
	s_and_saveexec_b32 s22, vcc_lo
	s_delay_alu instid0(SALU_CYCLE_1)
	s_xor_b32 s22, exec_lo, s22
	s_cbranch_execz .LBB30_824
; %bb.728:
	v_bfe_u32 v1, v0, 21, 1
	s_mov_b32 s21, exec_lo
	s_delay_alu instid0(VALU_DEP_1) | instskip(NEXT) | instid1(VALU_DEP_1)
	v_add3_u32 v1, v0, v1, 0x88fffff
	v_lshrrev_b32_e32 v1, 21, v1
	s_or_saveexec_b32 s22, s22
                                        ; implicit-def: $sgpr23
	s_delay_alu instid0(SALU_CYCLE_1)
	s_xor_b32 exec_lo, exec_lo, s22
	s_cbranch_execnz .LBB30_825
.LBB30_729:
	s_or_b32 exec_lo, exec_lo, s22
	v_mov_b32_e32 v7, s23
	s_and_saveexec_b32 s22, s21
.LBB30_730:
	v_lshrrev_b32_e32 v7, 24, v0
	s_delay_alu instid0(VALU_DEP_1)
	v_and_or_b32 v7, 0x80, v7, v1
.LBB30_731:
	s_or_b32 exec_lo, exec_lo, s22
.LBB30_732:
	s_delay_alu instid0(SALU_CYCLE_1)
	s_or_b32 exec_lo, exec_lo, s1
	s_mov_b32 s1, 0
	global_store_b8 v[2:3], v7, off
.LBB30_733:
	s_and_b32 vcc_lo, exec_lo, s1
	s_cbranch_vccz .LBB30_743
; %bb.734:
	v_and_b32_e32 v7, 0x7fffffff, v0
	s_mov_b32 s1, exec_lo
                                        ; implicit-def: $vgpr1
	s_delay_alu instid0(VALU_DEP_1)
	v_cmpx_gt_u32_e32 0x43f00000, v7
	s_xor_b32 s1, exec_lo, s1
	s_cbranch_execz .LBB30_740
; %bb.735:
	s_mov_b32 s21, exec_lo
                                        ; implicit-def: $vgpr1
	v_cmpx_lt_u32_e32 0x3c7fffff, v7
	s_xor_b32 s21, exec_lo, s21
; %bb.736:
	v_bfe_u32 v1, v0, 20, 1
	s_delay_alu instid0(VALU_DEP_1) | instskip(NEXT) | instid1(VALU_DEP_1)
	v_add3_u32 v1, v0, v1, 0x407ffff
	v_and_b32_e32 v7, 0xff00000, v1
	v_lshrrev_b32_e32 v1, 20, v1
	s_delay_alu instid0(VALU_DEP_2) | instskip(NEXT) | instid1(VALU_DEP_2)
	v_cmp_ne_u32_e32 vcc_lo, 0x7f00000, v7
	v_cndmask_b32_e32 v1, 0x7e, v1, vcc_lo
; %bb.737:
	s_and_not1_saveexec_b32 s21, s21
; %bb.738:
	v_add_f32_e64 v1, 0x46800000, |v0|
; %bb.739:
	s_or_b32 exec_lo, exec_lo, s21
                                        ; implicit-def: $vgpr7
.LBB30_740:
	s_and_not1_saveexec_b32 s1, s1
; %bb.741:
	v_mov_b32_e32 v1, 0x7f
	v_cmp_lt_u32_e32 vcc_lo, 0x7f800000, v7
	s_delay_alu instid0(VALU_DEP_2)
	v_cndmask_b32_e32 v1, 0x7e, v1, vcc_lo
; %bb.742:
	s_or_b32 exec_lo, exec_lo, s1
	v_lshrrev_b32_e32 v7, 24, v0
	s_delay_alu instid0(VALU_DEP_1)
	v_and_or_b32 v1, 0x80, v7, v1
	global_store_b8 v[2:3], v1, off
.LBB30_743:
	s_mov_b32 s1, 0
.LBB30_744:
	s_delay_alu instid0(SALU_CYCLE_1)
	s_and_not1_b32 vcc_lo, exec_lo, s1
	s_cbranch_vccnz .LBB30_754
; %bb.745:
	v_and_b32_e32 v7, 0x7fffffff, v0
	s_mov_b32 s1, exec_lo
                                        ; implicit-def: $vgpr1
	s_delay_alu instid0(VALU_DEP_1)
	v_cmpx_gt_u32_e32 0x47800000, v7
	s_xor_b32 s1, exec_lo, s1
	s_cbranch_execz .LBB30_751
; %bb.746:
	s_mov_b32 s21, exec_lo
                                        ; implicit-def: $vgpr1
	v_cmpx_lt_u32_e32 0x387fffff, v7
	s_xor_b32 s21, exec_lo, s21
; %bb.747:
	v_bfe_u32 v1, v0, 21, 1
	s_delay_alu instid0(VALU_DEP_1) | instskip(NEXT) | instid1(VALU_DEP_1)
	v_add3_u32 v1, v0, v1, 0x80fffff
	v_lshrrev_b32_e32 v1, 21, v1
; %bb.748:
	s_and_not1_saveexec_b32 s21, s21
; %bb.749:
	v_add_f32_e64 v1, 0x43000000, |v0|
; %bb.750:
	s_or_b32 exec_lo, exec_lo, s21
                                        ; implicit-def: $vgpr7
.LBB30_751:
	s_and_not1_saveexec_b32 s1, s1
; %bb.752:
	v_mov_b32_e32 v1, 0x7f
	v_cmp_lt_u32_e32 vcc_lo, 0x7f800000, v7
	s_delay_alu instid0(VALU_DEP_2)
	v_cndmask_b32_e32 v1, 0x7c, v1, vcc_lo
; %bb.753:
	s_or_b32 exec_lo, exec_lo, s1
	v_lshrrev_b32_e32 v7, 24, v0
	s_delay_alu instid0(VALU_DEP_1)
	v_and_or_b32 v1, 0x80, v7, v1
	global_store_b8 v[2:3], v1, off
.LBB30_754:
	s_mov_b32 s21, 0
	s_mov_b32 s1, -1
.LBB30_755:
	s_and_not1_b32 vcc_lo, exec_lo, s21
	s_cbranch_vccnz .LBB30_763
; %bb.756:
	v_cmp_lt_i16_e32 vcc_lo, 14, v5
	s_mov_b32 s21, -1
	s_cbranch_vccz .LBB30_760
; %bb.757:
	v_cmp_eq_u16_e32 vcc_lo, 15, v5
	s_mov_b32 s0, -1
	s_cbranch_vccz .LBB30_759
; %bb.758:
	v_bfe_u32 v1, v0, 16, 1
	v_cmp_o_f32_e32 vcc_lo, v0, v0
	s_mov_b32 s1, -1
	s_mov_b32 s0, 0
	s_delay_alu instid0(VALU_DEP_2) | instskip(NEXT) | instid1(VALU_DEP_1)
	v_add3_u32 v1, v0, v1, 0x7fff
	v_lshrrev_b32_e32 v1, 16, v1
	s_delay_alu instid0(VALU_DEP_1)
	v_cndmask_b32_e32 v1, 0x7fc0, v1, vcc_lo
	global_store_b16 v[2:3], v1, off
.LBB30_759:
	s_mov_b32 s21, 0
.LBB30_760:
	s_delay_alu instid0(SALU_CYCLE_1)
	s_and_b32 vcc_lo, exec_lo, s21
	s_cbranch_vccz .LBB30_763
; %bb.761:
	v_cmp_eq_u16_e32 vcc_lo, 11, v5
	s_mov_b32 s0, -1
	s_cbranch_vccz .LBB30_763
; %bb.762:
	v_cmp_neq_f32_e32 vcc_lo, 0, v0
	s_mov_b32 s0, 0
	s_mov_b32 s1, -1
	v_cndmask_b32_e64 v1, 0, 1, vcc_lo
	global_store_b8 v[2:3], v1, off
.LBB30_763:
	s_mov_b32 s21, 0
.LBB30_764:
	s_delay_alu instid0(SALU_CYCLE_1)
	s_and_b32 vcc_lo, exec_lo, s21
	s_cbranch_vccz .LBB30_803
; %bb.765:
	v_cmp_gt_i16_e32 vcc_lo, 5, v5
	s_mov_b32 s1, -1
	s_cbranch_vccnz .LBB30_786
; %bb.766:
	v_cmp_gt_i16_e32 vcc_lo, 8, v5
	s_cbranch_vccnz .LBB30_776
; %bb.767:
	v_cmp_gt_i16_e32 vcc_lo, 9, v5
	s_cbranch_vccnz .LBB30_773
; %bb.768:
	v_cmp_lt_i16_e32 vcc_lo, 9, v5
	s_cbranch_vccz .LBB30_770
; %bb.769:
	v_cvt_f64_f32_e32 v[9:10], v0
	v_mov_b32_e32 v11, 0
	s_mov_b32 s1, 0
	s_delay_alu instid0(VALU_DEP_1)
	v_mov_b32_e32 v12, v11
	global_store_b128 v[2:3], v[9:12], off
.LBB30_770:
	s_and_not1_b32 vcc_lo, exec_lo, s1
	s_cbranch_vccnz .LBB30_772
; %bb.771:
	v_mov_b32_e32 v1, 0
	global_store_b64 v[2:3], v[0:1], off
.LBB30_772:
	s_mov_b32 s1, 0
.LBB30_773:
	s_delay_alu instid0(SALU_CYCLE_1)
	s_and_not1_b32 vcc_lo, exec_lo, s1
	s_cbranch_vccnz .LBB30_775
; %bb.774:
	v_cvt_f16_f32_e32 v1, v0
	s_delay_alu instid0(VALU_DEP_1)
	v_and_b32_e32 v1, 0xffff, v1
	global_store_b32 v[2:3], v1, off
.LBB30_775:
	s_mov_b32 s1, 0
.LBB30_776:
	s_delay_alu instid0(SALU_CYCLE_1)
	s_and_not1_b32 vcc_lo, exec_lo, s1
	s_cbranch_vccnz .LBB30_785
; %bb.777:
	v_cmp_gt_i16_e32 vcc_lo, 6, v5
	s_mov_b32 s1, -1
	s_cbranch_vccnz .LBB30_783
; %bb.778:
	v_cmp_lt_i16_e32 vcc_lo, 6, v5
	s_cbranch_vccz .LBB30_780
; %bb.779:
	v_cvt_f64_f32_e32 v[9:10], v0
	s_mov_b32 s1, 0
	global_store_b64 v[2:3], v[9:10], off
.LBB30_780:
	s_and_not1_b32 vcc_lo, exec_lo, s1
	s_cbranch_vccnz .LBB30_782
; %bb.781:
	global_store_b32 v[2:3], v0, off
.LBB30_782:
	s_mov_b32 s1, 0
.LBB30_783:
	s_delay_alu instid0(SALU_CYCLE_1)
	s_and_not1_b32 vcc_lo, exec_lo, s1
	s_cbranch_vccnz .LBB30_785
; %bb.784:
	v_cvt_f16_f32_e32 v1, v0
	global_store_b16 v[2:3], v1, off
.LBB30_785:
	s_mov_b32 s1, 0
.LBB30_786:
	s_delay_alu instid0(SALU_CYCLE_1)
	s_and_not1_b32 vcc_lo, exec_lo, s1
	s_cbranch_vccnz .LBB30_802
; %bb.787:
	v_cmp_gt_i16_e32 vcc_lo, 2, v5
	s_mov_b32 s1, -1
	s_cbranch_vccnz .LBB30_797
; %bb.788:
	v_cmp_gt_i16_e32 vcc_lo, 3, v5
	s_cbranch_vccnz .LBB30_794
; %bb.789:
	v_cmp_lt_i16_e32 vcc_lo, 3, v5
	s_cbranch_vccz .LBB30_791
; %bb.790:
	v_trunc_f32_e32 v1, v0
	s_mov_b32 s1, 0
	s_delay_alu instid0(VALU_DEP_1) | instskip(NEXT) | instid1(VALU_DEP_1)
	v_mul_f32_e64 v7, 0x2f800000, |v1|
	v_floor_f32_e32 v7, v7
	s_delay_alu instid0(VALU_DEP_1) | instskip(SKIP_2) | instid1(VALU_DEP_3)
	v_fma_f32 v9, 0xcf800000, v7, |v1|
	v_ashrrev_i32_e32 v1, 31, v1
	v_cvt_u32_f32_e32 v7, v7
	v_cvt_u32_f32_e32 v9, v9
	s_delay_alu instid0(VALU_DEP_2) | instskip(NEXT) | instid1(VALU_DEP_2)
	v_xor_b32_e32 v7, v7, v1
	v_xor_b32_e32 v9, v9, v1
	s_delay_alu instid0(VALU_DEP_1) | instskip(NEXT) | instid1(VALU_DEP_3)
	v_sub_co_u32 v9, vcc_lo, v9, v1
	v_sub_co_ci_u32_e32 v10, vcc_lo, v7, v1, vcc_lo
	global_store_b64 v[2:3], v[9:10], off
.LBB30_791:
	s_and_not1_b32 vcc_lo, exec_lo, s1
	s_cbranch_vccnz .LBB30_793
; %bb.792:
	v_cvt_i32_f32_e32 v1, v0
	global_store_b32 v[2:3], v1, off
.LBB30_793:
	s_mov_b32 s1, 0
.LBB30_794:
	s_delay_alu instid0(SALU_CYCLE_1)
	s_and_not1_b32 vcc_lo, exec_lo, s1
	s_cbranch_vccnz .LBB30_796
; %bb.795:
	v_cvt_i32_f32_e32 v1, v0
	global_store_b16 v[2:3], v1, off
.LBB30_796:
	s_mov_b32 s1, 0
.LBB30_797:
	s_delay_alu instid0(SALU_CYCLE_1)
	s_and_not1_b32 vcc_lo, exec_lo, s1
	s_cbranch_vccnz .LBB30_802
; %bb.798:
	v_cmp_lt_i16_e32 vcc_lo, 0, v5
	s_mov_b32 s1, -1
	s_cbranch_vccz .LBB30_800
; %bb.799:
	v_cvt_i32_f32_e32 v1, v0
	s_mov_b32 s1, 0
	global_store_b8 v[2:3], v1, off
.LBB30_800:
	s_and_not1_b32 vcc_lo, exec_lo, s1
	s_cbranch_vccnz .LBB30_802
; %bb.801:
	v_trunc_f32_e32 v0, v0
	s_delay_alu instid0(VALU_DEP_1) | instskip(NEXT) | instid1(VALU_DEP_1)
	v_mul_f32_e64 v1, 0x2f800000, |v0|
	v_floor_f32_e32 v1, v1
	s_delay_alu instid0(VALU_DEP_1) | instskip(SKIP_1) | instid1(VALU_DEP_2)
	v_fma_f32 v1, 0xcf800000, v1, |v0|
	v_ashrrev_i32_e32 v0, 31, v0
	v_cvt_u32_f32_e32 v1, v1
	s_delay_alu instid0(VALU_DEP_1) | instskip(NEXT) | instid1(VALU_DEP_1)
	v_xor_b32_e32 v1, v1, v0
	v_sub_nc_u32_e32 v0, v1, v0
	global_store_b8 v[2:3], v0, off
.LBB30_802:
	s_mov_b32 s1, -1
.LBB30_803:
	s_delay_alu instid0(SALU_CYCLE_1)
	s_and_not1_b32 vcc_lo, exec_lo, s1
	s_cbranch_vccnz .LBB30_805
; %bb.804:
	v_add_nc_u32_e32 v8, 0x80, v8
	s_mov_b32 s21, -1
	s_branch .LBB30_807
.LBB30_805:
	s_mov_b32 s21, 0
.LBB30_806:
                                        ; implicit-def: $vgpr8
.LBB30_807:
	s_and_not1_b32 s1, s17, exec_lo
	s_and_b32 s0, s0, exec_lo
	s_and_not1_b32 s22, s16, exec_lo
	s_and_b32 s23, s20, exec_lo
	s_or_b32 s20, s1, s0
	s_or_b32 s1, s22, s23
	s_or_not1_b32 s0, s21, exec_lo
.LBB30_808:
	s_or_b32 exec_lo, exec_lo, s19
	s_mov_b32 s21, 0
	s_mov_b32 s22, 0
	;; [unrolled: 1-line block ×3, first 2 shown]
                                        ; implicit-def: $vgpr0_vgpr1
                                        ; implicit-def: $vgpr7
	s_and_saveexec_b32 s19, s0
	s_cbranch_execz .LBB30_893
; %bb.809:
	v_cmp_gt_i32_e32 vcc_lo, s13, v8
	s_mov_b32 s0, 0
	s_mov_b32 s21, s1
                                        ; implicit-def: $vgpr0_vgpr1
                                        ; implicit-def: $vgpr7
	s_and_saveexec_b32 s13, vcc_lo
	s_cbranch_execz .LBB30_892
; %bb.810:
	v_mul_lo_u32 v0, v8, s3
	v_cmp_gt_i16_e32 vcc_lo, 11, v6
	s_delay_alu instid0(VALU_DEP_2) | instskip(SKIP_1) | instid1(VALU_DEP_1)
	v_ashrrev_i32_e32 v1, 31, v0
	v_add_co_u32 v0, s0, s6, v0
	v_add_co_ci_u32_e64 v1, s0, s7, v1, s0
	s_cbranch_vccnz .LBB30_817
; %bb.811:
	v_cmp_lt_i16_e32 vcc_lo, 25, v6
	s_mov_b32 s21, 0
	s_cbranch_vccz .LBB30_818
; %bb.812:
	v_cmp_lt_i16_e32 vcc_lo, 28, v6
	s_cbranch_vccz .LBB30_819
; %bb.813:
	v_cmp_lt_i16_e32 vcc_lo, 43, v6
	;; [unrolled: 3-line block ×3, first 2 shown]
	s_cbranch_vccz .LBB30_823
; %bb.815:
	v_cmp_eq_u16_e32 vcc_lo, 46, v6
	s_cbranch_vccz .LBB30_826
; %bb.816:
	global_load_b32 v2, v[0:1], off
	s_mov_b32 s0, 0
	s_mov_b32 s22, -1
	s_waitcnt vmcnt(0)
	v_lshlrev_b32_e32 v7, 16, v2
	s_branch .LBB30_828
.LBB30_817:
	s_mov_b32 s24, -1
	s_mov_b32 s21, 0
	s_mov_b32 s0, s1
                                        ; implicit-def: $vgpr7
	s_branch .LBB30_891
.LBB30_818:
	s_mov_b32 s23, -1
	s_mov_b32 s0, s1
                                        ; implicit-def: $vgpr7
	s_branch .LBB30_857
.LBB30_819:
	s_mov_b32 s23, -1
	s_mov_b32 s0, s1
                                        ; implicit-def: $vgpr7
	s_branch .LBB30_838
.LBB30_820:
	s_mov_b32 s23, -1
	s_mov_b32 s0, s1
                                        ; implicit-def: $vgpr7
	s_branch .LBB30_833
.LBB30_821:
	s_or_saveexec_b32 s22, s22
                                        ; implicit-def: $sgpr23
	s_delay_alu instid0(SALU_CYCLE_1)
	s_xor_b32 exec_lo, exec_lo, s22
	s_cbranch_execz .LBB30_716
.LBB30_822:
	v_add_f32_e64 v1, 0x46000000, |v0|
	s_and_not1_b32 s21, s21, exec_lo
	s_mov_b32 s23, 0
	s_delay_alu instid0(VALU_DEP_1) | instskip(NEXT) | instid1(VALU_DEP_1)
	v_and_b32_e32 v1, 0xff, v1
	v_cmp_ne_u32_e32 vcc_lo, 0, v1
	s_and_b32 s24, vcc_lo, exec_lo
	s_delay_alu instid0(SALU_CYCLE_1)
	s_or_b32 s21, s21, s24
	s_or_b32 exec_lo, exec_lo, s22
	v_mov_b32_e32 v7, s23
	s_and_saveexec_b32 s22, s21
	s_cbranch_execnz .LBB30_717
	s_branch .LBB30_718
.LBB30_823:
	s_mov_b32 s23, -1
	s_mov_b32 s0, s1
	s_branch .LBB30_827
.LBB30_824:
	s_or_saveexec_b32 s22, s22
                                        ; implicit-def: $sgpr23
	s_delay_alu instid0(SALU_CYCLE_1)
	s_xor_b32 exec_lo, exec_lo, s22
	s_cbranch_execz .LBB30_729
.LBB30_825:
	v_add_f32_e64 v1, 0x42800000, |v0|
	s_and_not1_b32 s21, s21, exec_lo
	s_mov_b32 s23, 0
	s_delay_alu instid0(VALU_DEP_1) | instskip(NEXT) | instid1(VALU_DEP_1)
	v_and_b32_e32 v1, 0xff, v1
	v_cmp_ne_u32_e32 vcc_lo, 0, v1
	s_and_b32 s24, vcc_lo, exec_lo
	s_delay_alu instid0(SALU_CYCLE_1)
	s_or_b32 s21, s21, s24
	s_or_b32 exec_lo, exec_lo, s22
	v_mov_b32_e32 v7, s23
	s_and_saveexec_b32 s22, s21
	s_cbranch_execnz .LBB30_730
	s_branch .LBB30_731
.LBB30_826:
	s_mov_b32 s0, -1
.LBB30_827:
                                        ; implicit-def: $vgpr7
.LBB30_828:
	s_and_b32 vcc_lo, exec_lo, s23
	s_cbranch_vccz .LBB30_832
; %bb.829:
	v_cmp_eq_u16_e32 vcc_lo, 44, v6
	s_cbranch_vccz .LBB30_831
; %bb.830:
	global_load_u8 v2, v[0:1], off
	s_mov_b32 s0, 0
	s_mov_b32 s22, -1
	s_waitcnt vmcnt(0)
	v_lshlrev_b32_e32 v3, 23, v2
	v_cmp_ne_u32_e32 vcc_lo, 0xff, v2
	s_delay_alu instid0(VALU_DEP_2) | instskip(SKIP_1) | instid1(VALU_DEP_2)
	v_cndmask_b32_e32 v3, 0x7f800001, v3, vcc_lo
	v_cmp_ne_u32_e32 vcc_lo, 0, v2
	v_cndmask_b32_e32 v7, 0x400000, v3, vcc_lo
	s_branch .LBB30_832
.LBB30_831:
	s_mov_b32 s0, -1
                                        ; implicit-def: $vgpr7
.LBB30_832:
	s_mov_b32 s23, 0
.LBB30_833:
	s_delay_alu instid0(SALU_CYCLE_1)
	s_and_b32 vcc_lo, exec_lo, s23
	s_cbranch_vccz .LBB30_837
; %bb.834:
	v_cmp_eq_u16_e32 vcc_lo, 29, v6
	s_cbranch_vccz .LBB30_836
; %bb.835:
	global_load_b64 v[2:3], v[0:1], off
	s_mov_b32 s0, 0
	s_mov_b32 s22, -1
	s_mov_b32 s23, 0
	s_waitcnt vmcnt(0)
	v_clz_i32_u32_e32 v5, v3
	s_delay_alu instid0(VALU_DEP_1) | instskip(NEXT) | instid1(VALU_DEP_1)
	v_min_u32_e32 v5, 32, v5
	v_lshlrev_b64 v[2:3], v5, v[2:3]
	s_delay_alu instid0(VALU_DEP_1) | instskip(NEXT) | instid1(VALU_DEP_1)
	v_min_u32_e32 v2, 1, v2
	v_or_b32_e32 v2, v3, v2
	v_sub_nc_u32_e32 v3, 32, v5
	s_delay_alu instid0(VALU_DEP_2) | instskip(NEXT) | instid1(VALU_DEP_1)
	v_cvt_f32_u32_e32 v2, v2
	v_ldexp_f32 v7, v2, v3
	s_branch .LBB30_838
.LBB30_836:
	s_mov_b32 s0, -1
                                        ; implicit-def: $vgpr7
.LBB30_837:
	s_mov_b32 s23, 0
.LBB30_838:
	s_delay_alu instid0(SALU_CYCLE_1)
	s_and_b32 vcc_lo, exec_lo, s23
	s_cbranch_vccz .LBB30_856
; %bb.839:
	v_cmp_gt_i16_e32 vcc_lo, 27, v6
	s_cbranch_vccnz .LBB30_842
; %bb.840:
	v_cmp_lt_i16_e32 vcc_lo, 27, v6
	s_cbranch_vccz .LBB30_843
; %bb.841:
	global_load_b32 v2, v[0:1], off
	s_mov_b32 s22, 0
	s_waitcnt vmcnt(0)
	v_cvt_f32_u32_e32 v7, v2
	s_branch .LBB30_844
.LBB30_842:
	s_mov_b32 s22, -1
                                        ; implicit-def: $vgpr7
	s_branch .LBB30_847
.LBB30_843:
	s_mov_b32 s22, -1
                                        ; implicit-def: $vgpr7
.LBB30_844:
	s_delay_alu instid0(SALU_CYCLE_1)
	s_and_not1_b32 vcc_lo, exec_lo, s22
	s_cbranch_vccnz .LBB30_846
; %bb.845:
	global_load_u16 v2, v[0:1], off
	s_waitcnt vmcnt(0)
	v_cvt_f32_u32_e32 v7, v2
.LBB30_846:
	s_mov_b32 s22, 0
.LBB30_847:
	s_delay_alu instid0(SALU_CYCLE_1)
	s_and_not1_b32 vcc_lo, exec_lo, s22
	s_cbranch_vccnz .LBB30_855
; %bb.848:
	global_load_u8 v2, v[0:1], off
	s_mov_b32 s22, 0
	s_mov_b32 s24, exec_lo
                                        ; implicit-def: $sgpr23
	s_waitcnt vmcnt(0)
	v_cmpx_lt_i16_e32 0x7f, v2
	s_xor_b32 s24, exec_lo, s24
	s_cbranch_execz .LBB30_869
; %bb.849:
	s_mov_b32 s22, -1
	s_mov_b32 s25, exec_lo
                                        ; implicit-def: $sgpr23
	v_cmpx_eq_u16_e32 0x80, v2
; %bb.850:
	s_mov_b32 s23, 0x7f800001
	s_xor_b32 s22, exec_lo, -1
; %bb.851:
	s_or_b32 exec_lo, exec_lo, s25
	s_delay_alu instid0(SALU_CYCLE_1)
	s_and_b32 s22, s22, exec_lo
	s_or_saveexec_b32 s24, s24
	v_mov_b32_e32 v7, s23
	s_xor_b32 exec_lo, exec_lo, s24
	s_cbranch_execnz .LBB30_870
.LBB30_852:
	s_or_b32 exec_lo, exec_lo, s24
	s_and_saveexec_b32 s23, s22
	s_cbranch_execz .LBB30_854
.LBB30_853:
	v_and_b32_e32 v3, 0xffff, v2
	s_delay_alu instid0(VALU_DEP_1) | instskip(NEXT) | instid1(VALU_DEP_1)
	v_and_b32_e32 v5, 7, v3
	v_clz_i32_u32_e32 v7, v5
	s_delay_alu instid0(VALU_DEP_1) | instskip(NEXT) | instid1(VALU_DEP_1)
	v_min_u32_e32 v7, 32, v7
	v_subrev_nc_u32_e32 v9, 28, v7
	v_sub_nc_u32_e32 v7, 29, v7
	s_delay_alu instid0(VALU_DEP_2) | instskip(SKIP_1) | instid1(VALU_DEP_2)
	v_lshlrev_b32_e32 v9, v9, v3
	v_bfe_u32 v3, v3, 3, 4
	v_and_b32_e32 v9, 7, v9
	s_delay_alu instid0(VALU_DEP_2) | instskip(SKIP_1) | instid1(VALU_DEP_1)
	v_cmp_eq_u32_e32 vcc_lo, 0, v3
	v_dual_cndmask_b32 v3, v3, v7 :: v_dual_lshlrev_b32 v2, 24, v2
	v_dual_cndmask_b32 v5, v5, v9 :: v_dual_and_b32 v2, 0x80000000, v2
	s_delay_alu instid0(VALU_DEP_2) | instskip(NEXT) | instid1(VALU_DEP_2)
	v_lshl_add_u32 v3, v3, 23, 0x3b800000
	v_lshlrev_b32_e32 v5, 20, v5
	s_delay_alu instid0(VALU_DEP_1)
	v_or3_b32 v7, v2, v3, v5
.LBB30_854:
	s_or_b32 exec_lo, exec_lo, s23
.LBB30_855:
	s_mov_b32 s22, -1
.LBB30_856:
	s_mov_b32 s23, 0
.LBB30_857:
	s_delay_alu instid0(SALU_CYCLE_1)
	s_and_b32 vcc_lo, exec_lo, s23
	s_cbranch_vccz .LBB30_890
; %bb.858:
	v_cmp_lt_i16_e32 vcc_lo, 22, v6
	s_cbranch_vccz .LBB30_868
; %bb.859:
	v_cmp_gt_i16_e32 vcc_lo, 24, v6
	s_cbranch_vccnz .LBB30_871
; %bb.860:
	v_cmp_lt_i16_e32 vcc_lo, 24, v6
	s_cbranch_vccz .LBB30_872
; %bb.861:
	global_load_u8 v2, v[0:1], off
	s_mov_b32 s23, exec_lo
                                        ; implicit-def: $sgpr22
	s_waitcnt vmcnt(0)
	v_cmpx_lt_i16_e32 0x7f, v2
	s_xor_b32 s23, exec_lo, s23
	s_cbranch_execz .LBB30_884
; %bb.862:
	s_mov_b32 s21, -1
	s_mov_b32 s24, exec_lo
                                        ; implicit-def: $sgpr22
	v_cmpx_eq_u16_e32 0x80, v2
; %bb.863:
	s_mov_b32 s22, 0x7f800001
	s_xor_b32 s21, exec_lo, -1
; %bb.864:
	s_or_b32 exec_lo, exec_lo, s24
	s_delay_alu instid0(SALU_CYCLE_1)
	s_and_b32 s21, s21, exec_lo
	s_or_saveexec_b32 s23, s23
	v_mov_b32_e32 v7, s22
	s_xor_b32 exec_lo, exec_lo, s23
	s_cbranch_execnz .LBB30_885
.LBB30_865:
	s_or_b32 exec_lo, exec_lo, s23
	s_and_saveexec_b32 s22, s21
	s_cbranch_execz .LBB30_867
.LBB30_866:
	v_and_b32_e32 v3, 0xffff, v2
	s_delay_alu instid0(VALU_DEP_1) | instskip(NEXT) | instid1(VALU_DEP_1)
	v_and_b32_e32 v5, 3, v3
	v_clz_i32_u32_e32 v7, v5
	s_delay_alu instid0(VALU_DEP_1) | instskip(NEXT) | instid1(VALU_DEP_1)
	v_min_u32_e32 v7, 32, v7
	v_subrev_nc_u32_e32 v9, 29, v7
	v_sub_nc_u32_e32 v7, 30, v7
	s_delay_alu instid0(VALU_DEP_2) | instskip(SKIP_1) | instid1(VALU_DEP_2)
	v_lshlrev_b32_e32 v9, v9, v3
	v_bfe_u32 v3, v3, 2, 5
	v_and_b32_e32 v9, 3, v9
	s_delay_alu instid0(VALU_DEP_2) | instskip(SKIP_1) | instid1(VALU_DEP_1)
	v_cmp_eq_u32_e32 vcc_lo, 0, v3
	v_dual_cndmask_b32 v3, v3, v7 :: v_dual_lshlrev_b32 v2, 24, v2
	v_dual_cndmask_b32 v5, v5, v9 :: v_dual_and_b32 v2, 0x80000000, v2
	s_delay_alu instid0(VALU_DEP_2) | instskip(NEXT) | instid1(VALU_DEP_2)
	v_lshl_add_u32 v3, v3, 23, 0x37800000
	v_lshlrev_b32_e32 v5, 21, v5
	s_delay_alu instid0(VALU_DEP_1)
	v_or3_b32 v7, v2, v3, v5
.LBB30_867:
	s_or_b32 exec_lo, exec_lo, s22
	s_mov_b32 s21, 0
	s_branch .LBB30_873
.LBB30_868:
	s_mov_b32 s21, -1
                                        ; implicit-def: $vgpr7
	s_branch .LBB30_879
.LBB30_869:
	s_or_saveexec_b32 s24, s24
	v_mov_b32_e32 v7, s23
	s_xor_b32 exec_lo, exec_lo, s24
	s_cbranch_execz .LBB30_852
.LBB30_870:
	v_cmp_ne_u16_e32 vcc_lo, 0, v2
	v_mov_b32_e32 v7, 0
	s_and_not1_b32 s22, s22, exec_lo
	s_and_b32 s23, vcc_lo, exec_lo
	s_delay_alu instid0(SALU_CYCLE_1)
	s_or_b32 s22, s22, s23
	s_or_b32 exec_lo, exec_lo, s24
	s_and_saveexec_b32 s23, s22
	s_cbranch_execnz .LBB30_853
	s_branch .LBB30_854
.LBB30_871:
	s_mov_b32 s21, -1
                                        ; implicit-def: $vgpr7
	s_branch .LBB30_876
.LBB30_872:
	s_mov_b32 s21, -1
                                        ; implicit-def: $vgpr7
.LBB30_873:
	s_delay_alu instid0(SALU_CYCLE_1)
	s_and_b32 vcc_lo, exec_lo, s21
	s_cbranch_vccz .LBB30_875
; %bb.874:
	global_load_u8 v2, v[0:1], off
	s_waitcnt vmcnt(0)
	v_lshlrev_b32_e32 v2, 24, v2
	s_delay_alu instid0(VALU_DEP_1) | instskip(NEXT) | instid1(VALU_DEP_1)
	v_and_b32_e32 v3, 0x7f000000, v2
	v_clz_i32_u32_e32 v5, v3
	v_add_nc_u32_e32 v9, 0x1000000, v3
	v_cmp_ne_u32_e32 vcc_lo, 0, v3
	s_delay_alu instid0(VALU_DEP_3) | instskip(NEXT) | instid1(VALU_DEP_1)
	v_min_u32_e32 v5, 32, v5
	v_sub_nc_u32_e64 v5, v5, 4 clamp
	s_delay_alu instid0(VALU_DEP_1) | instskip(SKIP_1) | instid1(VALU_DEP_2)
	v_lshlrev_b32_e32 v7, v5, v3
	v_lshlrev_b32_e32 v5, 23, v5
	v_lshrrev_b32_e32 v7, 4, v7
	s_delay_alu instid0(VALU_DEP_1) | instskip(SKIP_1) | instid1(VALU_DEP_2)
	v_sub_nc_u32_e32 v5, v7, v5
	v_ashrrev_i32_e32 v7, 8, v9
	v_add_nc_u32_e32 v5, 0x3c000000, v5
	s_delay_alu instid0(VALU_DEP_1) | instskip(NEXT) | instid1(VALU_DEP_1)
	v_and_or_b32 v5, 0x7f800000, v7, v5
	v_cndmask_b32_e32 v3, 0, v5, vcc_lo
	s_delay_alu instid0(VALU_DEP_1)
	v_and_or_b32 v7, 0x80000000, v2, v3
.LBB30_875:
	s_mov_b32 s21, 0
.LBB30_876:
	s_delay_alu instid0(SALU_CYCLE_1)
	s_and_not1_b32 vcc_lo, exec_lo, s21
	s_cbranch_vccnz .LBB30_878
; %bb.877:
	global_load_u8 v2, v[0:1], off
	s_waitcnt vmcnt(0)
	v_lshlrev_b32_e32 v3, 25, v2
	v_lshlrev_b16 v2, 8, v2
	s_delay_alu instid0(VALU_DEP_2) | instskip(NEXT) | instid1(VALU_DEP_2)
	v_lshrrev_b32_e32 v5, 4, v3
	v_and_or_b32 v7, 0x7f00, v2, 0.5
	v_cmp_gt_u32_e32 vcc_lo, 0x8000000, v3
	v_bfe_i32 v2, v2, 0, 16
	s_delay_alu instid0(VALU_DEP_4) | instskip(NEXT) | instid1(VALU_DEP_4)
	v_or_b32_e32 v5, 0x70000000, v5
	v_add_f32_e32 v7, -0.5, v7
	s_delay_alu instid0(VALU_DEP_2) | instskip(NEXT) | instid1(VALU_DEP_1)
	v_mul_f32_e32 v5, 0x7800000, v5
	v_cndmask_b32_e32 v3, v5, v7, vcc_lo
	s_delay_alu instid0(VALU_DEP_1)
	v_and_or_b32 v7, 0x80000000, v2, v3
.LBB30_878:
	s_mov_b32 s21, 0
	s_mov_b32 s22, -1
.LBB30_879:
	s_and_not1_b32 vcc_lo, exec_lo, s21
	s_mov_b32 s21, 0
	s_cbranch_vccnz .LBB30_890
; %bb.880:
	v_cmp_lt_i16_e32 vcc_lo, 14, v6
	s_cbranch_vccz .LBB30_883
; %bb.881:
	v_cmp_eq_u16_e32 vcc_lo, 15, v6
	s_cbranch_vccz .LBB30_886
; %bb.882:
	global_load_u16 v2, v[0:1], off
	s_mov_b32 s0, 0
	s_mov_b32 s22, -1
	s_waitcnt vmcnt(0)
	v_lshlrev_b32_e32 v7, 16, v2
	s_branch .LBB30_888
.LBB30_883:
	s_mov_b32 s21, -1
	s_branch .LBB30_887
.LBB30_884:
	s_or_saveexec_b32 s23, s23
	v_mov_b32_e32 v7, s22
	s_xor_b32 exec_lo, exec_lo, s23
	s_cbranch_execz .LBB30_865
.LBB30_885:
	v_cmp_ne_u16_e32 vcc_lo, 0, v2
	v_mov_b32_e32 v7, 0
	s_and_not1_b32 s21, s21, exec_lo
	s_and_b32 s22, vcc_lo, exec_lo
	s_delay_alu instid0(SALU_CYCLE_1)
	s_or_b32 s21, s21, s22
	s_or_b32 exec_lo, exec_lo, s23
	s_and_saveexec_b32 s22, s21
	s_cbranch_execnz .LBB30_866
	s_branch .LBB30_867
.LBB30_886:
	s_mov_b32 s0, -1
.LBB30_887:
                                        ; implicit-def: $vgpr7
.LBB30_888:
	s_and_b32 vcc_lo, exec_lo, s21
	s_mov_b32 s21, 0
	s_cbranch_vccz .LBB30_890
; %bb.889:
	v_cmp_ne_u16_e32 vcc_lo, 11, v6
	s_and_not1_b32 s0, s0, exec_lo
	s_mov_b32 s21, -1
                                        ; implicit-def: $vgpr7
	s_and_b32 s23, vcc_lo, exec_lo
	s_delay_alu instid0(SALU_CYCLE_1)
	s_or_b32 s0, s0, s23
.LBB30_890:
	s_mov_b32 s24, 0
.LBB30_891:
	s_and_b32 s23, s22, exec_lo
	s_and_b32 s22, s24, exec_lo
	s_and_not1_b32 s24, s1, exec_lo
	s_and_b32 s25, s0, exec_lo
	s_and_b32 s0, s21, exec_lo
	s_or_b32 s21, s24, s25
.LBB30_892:
	s_or_b32 exec_lo, exec_lo, s13
	s_delay_alu instid0(SALU_CYCLE_1)
	s_and_not1_b32 s1, s1, exec_lo
	s_and_b32 s13, s21, exec_lo
	s_and_b32 s23, s23, exec_lo
	;; [unrolled: 1-line block ×4, first 2 shown]
	s_or_b32 s1, s1, s13
.LBB30_893:
	s_or_b32 exec_lo, exec_lo, s19
	s_delay_alu instid0(SALU_CYCLE_1)
	s_and_not1_b32 s0, s17, exec_lo
	s_and_b32 s13, s20, exec_lo
	s_and_b32 s19, s22, exec_lo
	s_or_b32 s17, s0, s13
	s_and_not1_b32 s13, s16, exec_lo
	s_and_b32 s16, s1, exec_lo
	s_and_b32 s0, s23, exec_lo
	s_and_b32 s1, s21, exec_lo
	s_or_b32 s16, s13, s16
.LBB30_894:
	s_or_b32 exec_lo, exec_lo, s18
	s_delay_alu instid0(SALU_CYCLE_1)
	s_and_not1_b32 s12, s12, exec_lo
	s_and_b32 s13, s17, exec_lo
	s_and_b32 s0, s0, exec_lo
	s_or_b32 s12, s12, s13
	s_and_not1_b32 s13, s14, exec_lo
	s_and_b32 s14, s16, exec_lo
	s_and_b32 s17, s19, exec_lo
	;; [unrolled: 1-line block ×3, first 2 shown]
	s_or_b32 s14, s13, s14
.LBB30_895:
	s_or_b32 exec_lo, exec_lo, s15
	s_mov_b32 s13, 0
	s_and_saveexec_b32 s1, s14
	s_cbranch_execnz .LBB30_907
; %bb.896:
	s_or_b32 exec_lo, exec_lo, s1
	s_and_saveexec_b32 s1, s16
	s_delay_alu instid0(SALU_CYCLE_1)
	s_xor_b32 s1, exec_lo, s1
	s_cbranch_execz .LBB30_898
.LBB30_897:
	global_load_u8 v2, v[0:1], off
	s_or_b32 s0, s0, exec_lo
	s_waitcnt vmcnt(0)
	v_cmp_ne_u16_e32 vcc_lo, 0, v2
	v_cndmask_b32_e64 v7, 0, 1.0, vcc_lo
.LBB30_898:
	s_or_b32 exec_lo, exec_lo, s1
	s_and_saveexec_b32 s1, s17
	s_cbranch_execz .LBB30_946
; %bb.899:
	v_cmp_gt_i16_e32 vcc_lo, 5, v6
	s_cbranch_vccnz .LBB30_904
; %bb.900:
	v_cmp_gt_i16_e32 vcc_lo, 8, v6
	s_cbranch_vccnz .LBB30_905
	;; [unrolled: 3-line block ×3, first 2 shown]
; %bb.902:
	v_cmp_lt_i16_e32 vcc_lo, 9, v6
	s_cbranch_vccz .LBB30_909
; %bb.903:
	global_load_b64 v[2:3], v[0:1], off
	s_mov_b32 s14, 0
	s_waitcnt vmcnt(0)
	v_cvt_f32_f64_e32 v7, v[2:3]
	s_branch .LBB30_910
.LBB30_904:
                                        ; implicit-def: $vgpr7
	s_branch .LBB30_927
.LBB30_905:
                                        ; implicit-def: $vgpr7
	s_branch .LBB30_916
.LBB30_906:
	s_mov_b32 s14, -1
                                        ; implicit-def: $vgpr7
	s_branch .LBB30_913
.LBB30_907:
	s_cbranch_execnz .LBB30_967
; %bb.908:
	s_mov_b32 s13, exec_lo
	s_and_not1_b32 s16, s16, exec_lo
                                        ; implicit-def: $vgpr7
	s_or_b32 exec_lo, exec_lo, s1
	s_and_saveexec_b32 s1, s16
	s_delay_alu instid0(SALU_CYCLE_1)
	s_xor_b32 s1, exec_lo, s1
	s_cbranch_execnz .LBB30_897
	s_branch .LBB30_898
.LBB30_909:
	s_mov_b32 s14, -1
                                        ; implicit-def: $vgpr7
.LBB30_910:
	s_delay_alu instid0(SALU_CYCLE_1)
	s_and_not1_b32 vcc_lo, exec_lo, s14
	s_cbranch_vccnz .LBB30_912
; %bb.911:
	global_load_b32 v7, v[0:1], off
.LBB30_912:
	s_mov_b32 s14, 0
.LBB30_913:
	s_delay_alu instid0(SALU_CYCLE_1)
	s_and_not1_b32 vcc_lo, exec_lo, s14
	s_cbranch_vccnz .LBB30_915
; %bb.914:
	global_load_b32 v2, v[0:1], off
	s_waitcnt vmcnt(0)
	v_cvt_f32_f16_e32 v7, v2
.LBB30_915:
	s_cbranch_execnz .LBB30_926
.LBB30_916:
	v_cmp_gt_i16_e32 vcc_lo, 6, v6
	s_cbranch_vccnz .LBB30_919
; %bb.917:
	v_cmp_lt_i16_e32 vcc_lo, 6, v6
	s_cbranch_vccz .LBB30_920
; %bb.918:
	global_load_b64 v[2:3], v[0:1], off
	s_mov_b32 s14, 0
	s_waitcnt vmcnt(0)
	v_cvt_f32_f64_e32 v7, v[2:3]
	s_branch .LBB30_921
.LBB30_919:
	s_mov_b32 s14, -1
                                        ; implicit-def: $vgpr7
	s_branch .LBB30_924
.LBB30_920:
	s_mov_b32 s14, -1
                                        ; implicit-def: $vgpr7
.LBB30_921:
	s_delay_alu instid0(SALU_CYCLE_1)
	s_and_not1_b32 vcc_lo, exec_lo, s14
	s_cbranch_vccnz .LBB30_923
; %bb.922:
	global_load_b32 v7, v[0:1], off
.LBB30_923:
	s_mov_b32 s14, 0
.LBB30_924:
	s_delay_alu instid0(SALU_CYCLE_1)
	s_and_not1_b32 vcc_lo, exec_lo, s14
	s_cbranch_vccnz .LBB30_926
; %bb.925:
	global_load_u16 v2, v[0:1], off
	s_waitcnt vmcnt(0)
	v_cvt_f32_f16_e32 v7, v2
.LBB30_926:
	s_cbranch_execnz .LBB30_945
.LBB30_927:
	v_cmp_gt_i16_e32 vcc_lo, 2, v6
	s_cbranch_vccnz .LBB30_931
; %bb.928:
	v_cmp_gt_i16_e32 vcc_lo, 3, v6
	s_cbranch_vccnz .LBB30_932
; %bb.929:
	v_cmp_lt_i16_e32 vcc_lo, 3, v6
	s_cbranch_vccz .LBB30_933
; %bb.930:
	global_load_b64 v[2:3], v[0:1], off
	s_mov_b32 s14, 0
	s_waitcnt vmcnt(0)
	v_xor_b32_e32 v5, v2, v3
	v_cls_i32_e32 v7, v3
	s_delay_alu instid0(VALU_DEP_2) | instskip(NEXT) | instid1(VALU_DEP_2)
	v_ashrrev_i32_e32 v5, 31, v5
	v_add_nc_u32_e32 v7, -1, v7
	s_delay_alu instid0(VALU_DEP_2) | instskip(NEXT) | instid1(VALU_DEP_1)
	v_add_nc_u32_e32 v5, 32, v5
	v_min_u32_e32 v5, v7, v5
	s_delay_alu instid0(VALU_DEP_1) | instskip(NEXT) | instid1(VALU_DEP_1)
	v_lshlrev_b64 v[2:3], v5, v[2:3]
	v_min_u32_e32 v2, 1, v2
	s_delay_alu instid0(VALU_DEP_1) | instskip(SKIP_1) | instid1(VALU_DEP_2)
	v_or_b32_e32 v2, v3, v2
	v_sub_nc_u32_e32 v3, 32, v5
	v_cvt_f32_i32_e32 v2, v2
	s_delay_alu instid0(VALU_DEP_1)
	v_ldexp_f32 v7, v2, v3
	s_branch .LBB30_934
.LBB30_931:
                                        ; implicit-def: $vgpr7
	s_branch .LBB30_940
.LBB30_932:
	s_mov_b32 s14, -1
                                        ; implicit-def: $vgpr7
	s_branch .LBB30_937
.LBB30_933:
	s_mov_b32 s14, -1
                                        ; implicit-def: $vgpr7
.LBB30_934:
	s_delay_alu instid0(SALU_CYCLE_1)
	s_and_not1_b32 vcc_lo, exec_lo, s14
	s_cbranch_vccnz .LBB30_936
; %bb.935:
	global_load_b32 v2, v[0:1], off
	s_waitcnt vmcnt(0)
	v_cvt_f32_i32_e32 v7, v2
.LBB30_936:
	s_mov_b32 s14, 0
.LBB30_937:
	s_delay_alu instid0(SALU_CYCLE_1)
	s_and_not1_b32 vcc_lo, exec_lo, s14
	s_cbranch_vccnz .LBB30_939
; %bb.938:
	global_load_i16 v2, v[0:1], off
	s_waitcnt vmcnt(0)
	v_cvt_f32_i32_e32 v7, v2
.LBB30_939:
	s_cbranch_execnz .LBB30_945
.LBB30_940:
	v_cmp_lt_i16_e32 vcc_lo, 0, v6
	s_mov_b32 s14, 0
	s_cbranch_vccz .LBB30_942
; %bb.941:
	global_load_i8 v2, v[0:1], off
	s_waitcnt vmcnt(0)
	v_cvt_f32_i32_e32 v7, v2
	s_branch .LBB30_943
.LBB30_942:
	s_mov_b32 s14, -1
                                        ; implicit-def: $vgpr7
.LBB30_943:
	s_delay_alu instid0(SALU_CYCLE_1)
	s_and_not1_b32 vcc_lo, exec_lo, s14
	s_cbranch_vccnz .LBB30_945
; %bb.944:
	global_load_u8 v0, v[0:1], off
	s_waitcnt vmcnt(0)
	v_cvt_f32_ubyte0_e32 v7, v0
.LBB30_945:
	s_or_b32 s0, s0, exec_lo
.LBB30_946:
	s_or_b32 exec_lo, exec_lo, s1
	s_mov_b32 s15, 0
	s_mov_b32 s1, 0
                                        ; implicit-def: $vgpr5
                                        ; implicit-def: $vgpr2_vgpr3
                                        ; implicit-def: $vgpr0
	s_and_saveexec_b32 s14, s0
	s_cbranch_execz .LBB30_1038
; %bb.947:
	s_waitcnt vmcnt(0)
	s_delay_alu instid0(VALU_DEP_1) | instskip(SKIP_1) | instid1(VALU_DEP_1)
	v_trunc_f32_e32 v0, v7
	s_mov_b32 s15, exec_lo
	v_mul_f32_e64 v1, 0x2f800000, |v0|
	s_delay_alu instid0(VALU_DEP_1) | instskip(NEXT) | instid1(VALU_DEP_1)
	v_floor_f32_e32 v1, v1
	v_fma_f32 v2, 0xcf800000, v1, |v0|
	v_ashrrev_i32_e32 v0, 31, v0
	v_cvt_u32_f32_e32 v1, v1
	s_delay_alu instid0(VALU_DEP_3) | instskip(NEXT) | instid1(VALU_DEP_2)
	v_cvt_u32_f32_e32 v2, v2
	v_xor_b32_e32 v1, v1, v0
	s_delay_alu instid0(VALU_DEP_2) | instskip(NEXT) | instid1(VALU_DEP_1)
	v_xor_b32_e32 v2, v2, v0
	v_sub_co_u32 v3, vcc_lo, v2, v0
	s_delay_alu instid0(VALU_DEP_3) | instskip(SKIP_1) | instid1(VALU_DEP_2)
	v_sub_co_ci_u32_e32 v0, vcc_lo, v1, v0, vcc_lo
	v_cmp_class_f32_e64 vcc_lo, v7, 0x1f8
	v_dual_cndmask_b32 v2, -1, v0 :: v_dual_cndmask_b32 v1, -1, v3
	v_mov_b32_e32 v0, 0
	s_delay_alu instid0(VALU_DEP_2)
	v_cmpx_lt_i64_e32 -1, v[1:2]
	s_cbranch_execz .LBB30_959
; %bb.948:
	v_mov_b32_e32 v0, 1.0
	s_mov_b32 s16, exec_lo
	v_cmpx_lt_i64_e32 0, v[1:2]
	s_cbranch_execz .LBB30_958
; %bb.949:
                                        ; implicit-def: $vgpr0
	s_mov_b32 s0, exec_lo
	v_cmpx_ne_u64_e32 1, v[1:2]
	s_xor_b32 s17, exec_lo, s0
	s_cbranch_execz .LBB30_955
; %bb.950:
	v_mov_b32_e32 v0, 0x7fc00000
	s_mov_b32 s18, exec_lo
	v_cmpx_gt_u64_e32 0x81, v[1:2]
	s_cbranch_execz .LBB30_954
; %bb.951:
	v_lshlrev_b64 v[1:2], 1, v[1:2]
	v_dual_mov_b32 v3, 1.0 :: v_dual_mov_b32 v0, v4
	s_mov_b64 s[0:1], 2
	s_mov_b32 s19, 0
	.p2align	6
.LBB30_952:                             ; =>This Inner Loop Header: Depth=1
	s_clz_i32_u32 s20, s1
	s_delay_alu instid0(SALU_CYCLE_1) | instskip(NEXT) | instid1(SALU_CYCLE_1)
	s_min_u32 s22, s20, 32
	s_lshl_b64 s[20:21], s[0:1], s22
	s_delay_alu instid0(SALU_CYCLE_1) | instskip(NEXT) | instid1(SALU_CYCLE_1)
	s_min_u32 s20, s20, 1
	s_or_b32 s20, s21, s20
	s_delay_alu instid0(SALU_CYCLE_1) | instskip(SKIP_3) | instid1(SALU_CYCLE_1)
	v_cvt_f32_u32_e32 v5, s20
	s_sub_i32 s20, 32, s22
	s_add_u32 s0, s0, 2
	s_addc_u32 s1, s1, 0
	v_cmp_ge_u64_e32 vcc_lo, s[0:1], v[1:2]
	v_ldexp_f32 v5, v5, s20
	s_delay_alu instid0(VALU_DEP_1) | instskip(SKIP_2) | instid1(VALU_DEP_2)
	v_mul_f32_e32 v5, v3, v5
	v_mov_b32_e32 v3, v0
	s_or_b32 s19, vcc_lo, s19
	v_fma_f32 v0, v4, v0, -v5
	s_and_not1_b32 exec_lo, exec_lo, s19
	s_cbranch_execnz .LBB30_952
; %bb.953:
	s_or_b32 exec_lo, exec_lo, s19
.LBB30_954:
	s_delay_alu instid0(SALU_CYCLE_1)
	s_or_b32 exec_lo, exec_lo, s18
                                        ; implicit-def: $vgpr4
.LBB30_955:
	s_and_not1_saveexec_b32 s0, s17
; %bb.956:
	v_mov_b32_e32 v0, v4
; %bb.957:
	s_or_b32 exec_lo, exec_lo, s0
.LBB30_958:
	s_delay_alu instid0(SALU_CYCLE_1)
	s_or_b32 exec_lo, exec_lo, s16
.LBB30_959:
	s_delay_alu instid0(SALU_CYCLE_1) | instskip(SKIP_2) | instid1(VALU_DEP_1)
	s_or_b32 exec_lo, exec_lo, s15
	v_mul_lo_u32 v1, v8, s2
	v_and_b32_e64 v5, 0xff, s9
	v_cmp_gt_i16_e32 vcc_lo, 11, v5
	s_delay_alu instid0(VALU_DEP_3) | instskip(SKIP_1) | instid1(VALU_DEP_1)
	v_ashrrev_i32_e32 v3, 31, v1
	v_add_co_u32 v2, s0, s4, v1
	v_add_co_ci_u32_e64 v3, s0, s5, v3, s0
	s_cbranch_vccnz .LBB30_966
; %bb.960:
	v_cmp_lt_i16_e32 vcc_lo, 25, v5
	s_mov_b32 s1, -1
	s_mov_b32 s0, s12
	s_cbranch_vccz .LBB30_996
; %bb.961:
	v_cmp_lt_i16_e32 vcc_lo, 28, v5
	s_mov_b32 s0, s12
	s_cbranch_vccz .LBB30_980
; %bb.962:
	v_cmp_lt_i16_e32 vcc_lo, 43, v5
	s_mov_b32 s0, s12
	s_cbranch_vccz .LBB30_976
; %bb.963:
	v_cmp_lt_i16_e32 vcc_lo, 45, v5
	s_mov_b32 s0, s12
	s_cbranch_vccz .LBB30_970
; %bb.964:
	v_cmp_eq_u16_e32 vcc_lo, 46, v5
	s_mov_b32 s0, -1
	s_cbranch_vccz .LBB30_969
; %bb.965:
	v_bfe_u32 v1, v0, 16, 1
	v_cmp_o_f32_e32 vcc_lo, v0, v0
	s_mov_b32 s0, 0
	s_mov_b32 s1, 0
	s_delay_alu instid0(VALU_DEP_2) | instskip(NEXT) | instid1(VALU_DEP_1)
	v_add3_u32 v1, v0, v1, 0x7fff
	v_lshrrev_b32_e32 v1, 16, v1
	s_delay_alu instid0(VALU_DEP_1)
	v_cndmask_b32_e32 v1, 0x7fc0, v1, vcc_lo
	global_store_b32 v[2:3], v1, off
	s_branch .LBB30_970
.LBB30_966:
	s_mov_b32 s15, 0
	s_mov_b32 s1, -1
	s_mov_b32 s0, s12
	s_branch .LBB30_1037
.LBB30_967:
	s_trap 2
	s_sendmsg_rtn_b32 s0, sendmsg(MSG_RTN_GET_DOORBELL)
	s_mov_b32 ttmp2, m0
	s_waitcnt lgkmcnt(0)
	s_and_b32 s0, s0, 0x3ff
	s_delay_alu instid0(SALU_CYCLE_1) | instskip(NEXT) | instid1(SALU_CYCLE_1)
	s_bitset1_b32 s0, 10
	s_mov_b32 m0, s0
	s_sendmsg sendmsg(MSG_INTERRUPT)
	s_mov_b32 m0, ttmp2
.LBB30_968:                             ; =>This Inner Loop Header: Depth=1
	s_sethalt 5
	s_branch .LBB30_968
.LBB30_969:
	s_mov_b32 s1, 0
.LBB30_970:
	s_delay_alu instid0(SALU_CYCLE_1)
	s_and_b32 vcc_lo, exec_lo, s1
	s_cbranch_vccz .LBB30_975
; %bb.971:
	v_cmp_eq_u16_e32 vcc_lo, 44, v5
	s_mov_b32 s0, -1
	s_cbranch_vccz .LBB30_975
; %bb.972:
	v_bfe_u32 v4, v0, 23, 8
	v_mov_b32_e32 v1, 0xff
	s_mov_b32 s1, exec_lo
	s_delay_alu instid0(VALU_DEP_2)
	v_cmpx_ne_u32_e32 0xff, v4
; %bb.973:
	v_and_b32_e32 v1, 0x400000, v0
	v_and_or_b32 v4, 0x3fffff, v0, v4
	s_delay_alu instid0(VALU_DEP_2) | instskip(NEXT) | instid1(VALU_DEP_2)
	v_cmp_ne_u32_e32 vcc_lo, 0, v1
	v_cmp_ne_u32_e64 s0, 0, v4
	v_lshrrev_b32_e32 v1, 23, v0
	s_delay_alu instid0(VALU_DEP_2) | instskip(NEXT) | instid1(SALU_CYCLE_1)
	s_and_b32 s0, vcc_lo, s0
	v_cndmask_b32_e64 v4, 0, 1, s0
	s_delay_alu instid0(VALU_DEP_1)
	v_add_nc_u32_e32 v1, v1, v4
; %bb.974:
	s_or_b32 exec_lo, exec_lo, s1
	s_mov_b32 s0, 0
	global_store_b8 v[2:3], v1, off
.LBB30_975:
	s_mov_b32 s1, 0
.LBB30_976:
	s_delay_alu instid0(SALU_CYCLE_1)
	s_and_b32 vcc_lo, exec_lo, s1
	s_cbranch_vccz .LBB30_979
; %bb.977:
	v_cmp_eq_u16_e32 vcc_lo, 29, v5
	s_mov_b32 s0, -1
	s_cbranch_vccz .LBB30_979
; %bb.978:
	v_trunc_f32_e32 v1, v0
	s_mov_b32 s0, 0
	s_mov_b32 s1, 0
	s_delay_alu instid0(VALU_DEP_1) | instskip(NEXT) | instid1(VALU_DEP_1)
	v_mul_f32_e32 v4, 0x2f800000, v1
	v_floor_f32_e32 v4, v4
	s_delay_alu instid0(VALU_DEP_1) | instskip(SKIP_1) | instid1(VALU_DEP_2)
	v_fmamk_f32 v1, v4, 0xcf800000, v1
	v_cvt_u32_f32_e32 v7, v4
	v_cvt_u32_f32_e32 v6, v1
	global_store_b64 v[2:3], v[6:7], off
	s_branch .LBB30_980
.LBB30_979:
	s_mov_b32 s1, 0
.LBB30_980:
	s_delay_alu instid0(SALU_CYCLE_1)
	s_and_b32 vcc_lo, exec_lo, s1
	s_cbranch_vccz .LBB30_995
; %bb.981:
	v_cmp_gt_i16_e32 vcc_lo, 27, v5
	s_mov_b32 s1, -1
	s_cbranch_vccnz .LBB30_987
; %bb.982:
	v_cmp_lt_i16_e32 vcc_lo, 27, v5
	v_cvt_u32_f32_e32 v1, v0
	s_cbranch_vccz .LBB30_984
; %bb.983:
	s_mov_b32 s1, 0
	global_store_b32 v[2:3], v1, off
.LBB30_984:
	s_and_not1_b32 vcc_lo, exec_lo, s1
	s_cbranch_vccnz .LBB30_986
; %bb.985:
	global_store_b16 v[2:3], v1, off
.LBB30_986:
	s_mov_b32 s1, 0
.LBB30_987:
	s_delay_alu instid0(SALU_CYCLE_1)
	s_and_not1_b32 vcc_lo, exec_lo, s1
	s_cbranch_vccnz .LBB30_995
; %bb.988:
	v_and_b32_e32 v1, 0x7fffffff, v0
	v_mov_b32_e32 v4, 0x80
	s_mov_b32 s1, exec_lo
	s_delay_alu instid0(VALU_DEP_2)
	v_cmpx_gt_u32_e32 0x43800000, v1
	s_cbranch_execz .LBB30_994
; %bb.989:
	v_cmp_lt_u32_e32 vcc_lo, 0x3bffffff, v1
	s_mov_b32 s15, 0
                                        ; implicit-def: $vgpr1
	s_and_saveexec_b32 s16, vcc_lo
	s_delay_alu instid0(SALU_CYCLE_1)
	s_xor_b32 s16, exec_lo, s16
	s_cbranch_execz .LBB30_1241
; %bb.990:
	v_bfe_u32 v1, v0, 20, 1
	s_mov_b32 s15, exec_lo
	s_delay_alu instid0(VALU_DEP_1) | instskip(NEXT) | instid1(VALU_DEP_1)
	v_add3_u32 v1, v0, v1, 0x487ffff
	v_lshrrev_b32_e32 v1, 20, v1
	s_or_saveexec_b32 s16, s16
                                        ; implicit-def: $sgpr17
	s_delay_alu instid0(SALU_CYCLE_1)
	s_xor_b32 exec_lo, exec_lo, s16
	s_cbranch_execnz .LBB30_1242
.LBB30_991:
	s_or_b32 exec_lo, exec_lo, s16
	v_mov_b32_e32 v4, s17
	s_and_saveexec_b32 s16, s15
.LBB30_992:
	v_lshrrev_b32_e32 v4, 24, v0
	s_delay_alu instid0(VALU_DEP_1)
	v_and_or_b32 v4, 0x80, v4, v1
.LBB30_993:
	s_or_b32 exec_lo, exec_lo, s16
.LBB30_994:
	s_delay_alu instid0(SALU_CYCLE_1)
	s_or_b32 exec_lo, exec_lo, s1
	global_store_b8 v[2:3], v4, off
.LBB30_995:
	s_mov_b32 s1, 0
.LBB30_996:
	s_delay_alu instid0(SALU_CYCLE_1)
	s_and_b32 vcc_lo, exec_lo, s1
	s_mov_b32 s1, 0
	s_cbranch_vccz .LBB30_1036
; %bb.997:
	v_cmp_lt_i16_e32 vcc_lo, 22, v5
	s_mov_b32 s15, -1
	s_cbranch_vccz .LBB30_1029
; %bb.998:
	v_cmp_gt_i16_e32 vcc_lo, 24, v5
	s_cbranch_vccnz .LBB30_1018
; %bb.999:
	v_cmp_lt_i16_e32 vcc_lo, 24, v5
	s_cbranch_vccz .LBB30_1007
; %bb.1000:
	v_and_b32_e32 v1, 0x7fffffff, v0
	v_mov_b32_e32 v4, 0x80
	s_mov_b32 s15, exec_lo
	s_delay_alu instid0(VALU_DEP_2)
	v_cmpx_gt_u32_e32 0x47800000, v1
	s_cbranch_execz .LBB30_1006
; %bb.1001:
	v_cmp_lt_u32_e32 vcc_lo, 0x37ffffff, v1
	s_mov_b32 s16, 0
                                        ; implicit-def: $vgpr1
	s_and_saveexec_b32 s17, vcc_lo
	s_delay_alu instid0(SALU_CYCLE_1)
	s_xor_b32 s17, exec_lo, s17
	s_cbranch_execz .LBB30_1285
; %bb.1002:
	v_bfe_u32 v1, v0, 21, 1
	s_mov_b32 s16, exec_lo
	s_delay_alu instid0(VALU_DEP_1) | instskip(NEXT) | instid1(VALU_DEP_1)
	v_add3_u32 v1, v0, v1, 0x88fffff
	v_lshrrev_b32_e32 v1, 21, v1
	s_or_saveexec_b32 s17, s17
                                        ; implicit-def: $sgpr18
	s_delay_alu instid0(SALU_CYCLE_1)
	s_xor_b32 exec_lo, exec_lo, s17
	s_cbranch_execnz .LBB30_1286
.LBB30_1003:
	s_or_b32 exec_lo, exec_lo, s17
	v_mov_b32_e32 v4, s18
	s_and_saveexec_b32 s17, s16
.LBB30_1004:
	v_lshrrev_b32_e32 v4, 24, v0
	s_delay_alu instid0(VALU_DEP_1)
	v_and_or_b32 v4, 0x80, v4, v1
.LBB30_1005:
	s_or_b32 exec_lo, exec_lo, s17
.LBB30_1006:
	s_delay_alu instid0(SALU_CYCLE_1)
	s_or_b32 exec_lo, exec_lo, s15
	s_mov_b32 s15, 0
	global_store_b8 v[2:3], v4, off
.LBB30_1007:
	s_and_b32 vcc_lo, exec_lo, s15
	s_cbranch_vccz .LBB30_1017
; %bb.1008:
	v_and_b32_e32 v4, 0x7fffffff, v0
	s_mov_b32 s15, exec_lo
                                        ; implicit-def: $vgpr1
	s_delay_alu instid0(VALU_DEP_1)
	v_cmpx_gt_u32_e32 0x43f00000, v4
	s_xor_b32 s15, exec_lo, s15
	s_cbranch_execz .LBB30_1014
; %bb.1009:
	s_mov_b32 s16, exec_lo
                                        ; implicit-def: $vgpr1
	v_cmpx_lt_u32_e32 0x3c7fffff, v4
	s_xor_b32 s16, exec_lo, s16
; %bb.1010:
	v_bfe_u32 v1, v0, 20, 1
	s_delay_alu instid0(VALU_DEP_1) | instskip(NEXT) | instid1(VALU_DEP_1)
	v_add3_u32 v1, v0, v1, 0x407ffff
	v_and_b32_e32 v4, 0xff00000, v1
	v_lshrrev_b32_e32 v1, 20, v1
	s_delay_alu instid0(VALU_DEP_2) | instskip(NEXT) | instid1(VALU_DEP_2)
	v_cmp_ne_u32_e32 vcc_lo, 0x7f00000, v4
	v_cndmask_b32_e32 v1, 0x7e, v1, vcc_lo
; %bb.1011:
	s_and_not1_saveexec_b32 s16, s16
; %bb.1012:
	v_add_f32_e64 v1, 0x46800000, |v0|
; %bb.1013:
	s_or_b32 exec_lo, exec_lo, s16
                                        ; implicit-def: $vgpr4
.LBB30_1014:
	s_and_not1_saveexec_b32 s15, s15
; %bb.1015:
	v_mov_b32_e32 v1, 0x7f
	v_cmp_lt_u32_e32 vcc_lo, 0x7f800000, v4
	s_delay_alu instid0(VALU_DEP_2)
	v_cndmask_b32_e32 v1, 0x7e, v1, vcc_lo
; %bb.1016:
	s_or_b32 exec_lo, exec_lo, s15
	v_lshrrev_b32_e32 v4, 24, v0
	s_delay_alu instid0(VALU_DEP_1)
	v_and_or_b32 v1, 0x80, v4, v1
	global_store_b8 v[2:3], v1, off
.LBB30_1017:
	s_mov_b32 s15, 0
.LBB30_1018:
	s_delay_alu instid0(SALU_CYCLE_1)
	s_and_not1_b32 vcc_lo, exec_lo, s15
	s_cbranch_vccnz .LBB30_1028
; %bb.1019:
	v_and_b32_e32 v4, 0x7fffffff, v0
	s_mov_b32 s15, exec_lo
                                        ; implicit-def: $vgpr1
	s_delay_alu instid0(VALU_DEP_1)
	v_cmpx_gt_u32_e32 0x47800000, v4
	s_xor_b32 s15, exec_lo, s15
	s_cbranch_execz .LBB30_1025
; %bb.1020:
	s_mov_b32 s16, exec_lo
                                        ; implicit-def: $vgpr1
	v_cmpx_lt_u32_e32 0x387fffff, v4
	s_xor_b32 s16, exec_lo, s16
; %bb.1021:
	v_bfe_u32 v1, v0, 21, 1
	s_delay_alu instid0(VALU_DEP_1) | instskip(NEXT) | instid1(VALU_DEP_1)
	v_add3_u32 v1, v0, v1, 0x80fffff
	v_lshrrev_b32_e32 v1, 21, v1
; %bb.1022:
	s_and_not1_saveexec_b32 s16, s16
; %bb.1023:
	v_add_f32_e64 v1, 0x43000000, |v0|
; %bb.1024:
	s_or_b32 exec_lo, exec_lo, s16
                                        ; implicit-def: $vgpr4
.LBB30_1025:
	s_and_not1_saveexec_b32 s15, s15
; %bb.1026:
	v_mov_b32_e32 v1, 0x7f
	v_cmp_lt_u32_e32 vcc_lo, 0x7f800000, v4
	s_delay_alu instid0(VALU_DEP_2)
	v_cndmask_b32_e32 v1, 0x7c, v1, vcc_lo
; %bb.1027:
	s_or_b32 exec_lo, exec_lo, s15
	v_lshrrev_b32_e32 v4, 24, v0
	s_delay_alu instid0(VALU_DEP_1)
	v_and_or_b32 v1, 0x80, v4, v1
	global_store_b8 v[2:3], v1, off
.LBB30_1028:
	s_mov_b32 s15, 0
.LBB30_1029:
	s_delay_alu instid0(SALU_CYCLE_1)
	s_and_not1_b32 vcc_lo, exec_lo, s15
	s_mov_b32 s15, 0
	s_cbranch_vccnz .LBB30_1037
; %bb.1030:
	v_cmp_lt_i16_e32 vcc_lo, 14, v5
	s_mov_b32 s15, -1
	s_cbranch_vccz .LBB30_1034
; %bb.1031:
	v_cmp_eq_u16_e32 vcc_lo, 15, v5
	s_mov_b32 s0, -1
	s_cbranch_vccz .LBB30_1033
; %bb.1032:
	v_bfe_u32 v1, v0, 16, 1
	v_cmp_o_f32_e32 vcc_lo, v0, v0
	s_mov_b32 s0, 0
	s_delay_alu instid0(VALU_DEP_2) | instskip(NEXT) | instid1(VALU_DEP_1)
	v_add3_u32 v1, v0, v1, 0x7fff
	v_lshrrev_b32_e32 v1, 16, v1
	s_delay_alu instid0(VALU_DEP_1)
	v_cndmask_b32_e32 v1, 0x7fc0, v1, vcc_lo
	global_store_b16 v[2:3], v1, off
.LBB30_1033:
	s_mov_b32 s15, 0
.LBB30_1034:
	s_delay_alu instid0(SALU_CYCLE_1)
	s_and_b32 vcc_lo, exec_lo, s15
	s_mov_b32 s15, 0
	s_cbranch_vccz .LBB30_1037
; %bb.1035:
	v_cmp_ne_u16_e32 vcc_lo, 11, v5
	s_and_not1_b32 s0, s0, exec_lo
	s_mov_b32 s15, -1
	s_and_b32 s16, vcc_lo, exec_lo
	s_delay_alu instid0(SALU_CYCLE_1)
	s_or_b32 s0, s0, s16
	s_branch .LBB30_1037
.LBB30_1036:
	s_mov_b32 s15, 0
.LBB30_1037:
	s_and_not1_b32 s12, s12, exec_lo
	s_and_b32 s0, s0, exec_lo
	s_and_b32 s1, s1, exec_lo
	;; [unrolled: 1-line block ×3, first 2 shown]
	s_or_b32 s12, s12, s0
.LBB30_1038:
	s_or_b32 exec_lo, exec_lo, s14
	s_and_saveexec_b32 s0, s12
	s_cbranch_execnz .LBB30_1100
; %bb.1039:
	s_or_b32 exec_lo, exec_lo, s0
	s_and_saveexec_b32 s0, s15
	s_delay_alu instid0(SALU_CYCLE_1)
	s_xor_b32 s0, exec_lo, s0
	s_cbranch_execz .LBB30_1041
.LBB30_1040:
	v_cmp_neq_f32_e32 vcc_lo, 0, v0
	v_cndmask_b32_e64 v1, 0, 1, vcc_lo
	s_waitcnt vmcnt(0)
	global_store_b8 v[2:3], v1, off
.LBB30_1041:
	s_or_b32 exec_lo, exec_lo, s0
	s_and_saveexec_b32 s0, s1
	s_delay_alu instid0(SALU_CYCLE_1)
	s_xor_b32 s0, exec_lo, s0
	s_cbranch_execz .LBB30_1079
; %bb.1042:
	v_cmp_gt_i16_e32 vcc_lo, 5, v5
	s_mov_b32 s1, -1
	s_cbranch_vccnz .LBB30_1063
; %bb.1043:
	v_cmp_gt_i16_e32 vcc_lo, 8, v5
	s_cbranch_vccnz .LBB30_1053
; %bb.1044:
	v_cmp_gt_i16_e32 vcc_lo, 9, v5
	s_cbranch_vccnz .LBB30_1050
; %bb.1045:
	v_cmp_lt_i16_e32 vcc_lo, 9, v5
	s_cbranch_vccz .LBB30_1047
; %bb.1046:
	s_waitcnt vmcnt(0)
	v_cvt_f64_f32_e32 v[6:7], v0
	v_mov_b32_e32 v8, 0
	s_mov_b32 s1, 0
	s_delay_alu instid0(VALU_DEP_1)
	v_mov_b32_e32 v9, v8
	global_store_b128 v[2:3], v[6:9], off
.LBB30_1047:
	s_and_not1_b32 vcc_lo, exec_lo, s1
	s_cbranch_vccnz .LBB30_1049
; %bb.1048:
	v_mov_b32_e32 v1, 0
	s_waitcnt vmcnt(0)
	global_store_b64 v[2:3], v[0:1], off
.LBB30_1049:
	s_mov_b32 s1, 0
.LBB30_1050:
	s_delay_alu instid0(SALU_CYCLE_1)
	s_and_not1_b32 vcc_lo, exec_lo, s1
	s_cbranch_vccnz .LBB30_1052
; %bb.1051:
	v_cvt_f16_f32_e32 v1, v0
	s_delay_alu instid0(VALU_DEP_1)
	v_and_b32_e32 v1, 0xffff, v1
	s_waitcnt vmcnt(0)
	global_store_b32 v[2:3], v1, off
.LBB30_1052:
	s_mov_b32 s1, 0
.LBB30_1053:
	s_delay_alu instid0(SALU_CYCLE_1)
	s_and_not1_b32 vcc_lo, exec_lo, s1
	s_cbranch_vccnz .LBB30_1062
; %bb.1054:
	v_cmp_gt_i16_e32 vcc_lo, 6, v5
	s_mov_b32 s1, -1
	s_cbranch_vccnz .LBB30_1060
; %bb.1055:
	v_cmp_lt_i16_e32 vcc_lo, 6, v5
	s_cbranch_vccz .LBB30_1057
; %bb.1056:
	s_waitcnt vmcnt(0)
	v_cvt_f64_f32_e32 v[6:7], v0
	s_mov_b32 s1, 0
	global_store_b64 v[2:3], v[6:7], off
.LBB30_1057:
	s_and_not1_b32 vcc_lo, exec_lo, s1
	s_cbranch_vccnz .LBB30_1059
; %bb.1058:
	s_waitcnt vmcnt(0)
	global_store_b32 v[2:3], v0, off
.LBB30_1059:
	s_mov_b32 s1, 0
.LBB30_1060:
	s_delay_alu instid0(SALU_CYCLE_1)
	s_and_not1_b32 vcc_lo, exec_lo, s1
	s_cbranch_vccnz .LBB30_1062
; %bb.1061:
	v_cvt_f16_f32_e32 v1, v0
	s_waitcnt vmcnt(0)
	global_store_b16 v[2:3], v1, off
.LBB30_1062:
	s_mov_b32 s1, 0
.LBB30_1063:
	s_delay_alu instid0(SALU_CYCLE_1)
	s_and_not1_b32 vcc_lo, exec_lo, s1
	s_cbranch_vccnz .LBB30_1079
; %bb.1064:
	v_cmp_gt_i16_e32 vcc_lo, 2, v5
	s_mov_b32 s1, -1
	s_cbranch_vccnz .LBB30_1074
; %bb.1065:
	v_cmp_gt_i16_e32 vcc_lo, 3, v5
	s_cbranch_vccnz .LBB30_1071
; %bb.1066:
	v_cmp_lt_i16_e32 vcc_lo, 3, v5
	s_cbranch_vccz .LBB30_1068
; %bb.1067:
	v_trunc_f32_e32 v1, v0
	s_mov_b32 s1, 0
	s_delay_alu instid0(VALU_DEP_1) | instskip(NEXT) | instid1(VALU_DEP_1)
	v_mul_f32_e64 v4, 0x2f800000, |v1|
	v_floor_f32_e32 v4, v4
	s_delay_alu instid0(VALU_DEP_1) | instskip(SKIP_2) | instid1(VALU_DEP_3)
	v_fma_f32 v6, 0xcf800000, v4, |v1|
	v_ashrrev_i32_e32 v1, 31, v1
	v_cvt_u32_f32_e32 v4, v4
	v_cvt_u32_f32_e32 v6, v6
	s_delay_alu instid0(VALU_DEP_2) | instskip(NEXT) | instid1(VALU_DEP_2)
	v_xor_b32_e32 v4, v4, v1
	v_xor_b32_e32 v6, v6, v1
	s_delay_alu instid0(VALU_DEP_1) | instskip(SKIP_1) | instid1(VALU_DEP_3)
	v_sub_co_u32 v6, vcc_lo, v6, v1
	s_waitcnt vmcnt(0)
	v_sub_co_ci_u32_e32 v7, vcc_lo, v4, v1, vcc_lo
	global_store_b64 v[2:3], v[6:7], off
.LBB30_1068:
	s_and_not1_b32 vcc_lo, exec_lo, s1
	s_cbranch_vccnz .LBB30_1070
; %bb.1069:
	v_cvt_i32_f32_e32 v1, v0
	s_waitcnt vmcnt(0)
	global_store_b32 v[2:3], v1, off
.LBB30_1070:
	s_mov_b32 s1, 0
.LBB30_1071:
	s_delay_alu instid0(SALU_CYCLE_1)
	s_and_not1_b32 vcc_lo, exec_lo, s1
	s_cbranch_vccnz .LBB30_1073
; %bb.1072:
	v_cvt_i32_f32_e32 v1, v0
	s_waitcnt vmcnt(0)
	global_store_b16 v[2:3], v1, off
.LBB30_1073:
	s_mov_b32 s1, 0
.LBB30_1074:
	s_delay_alu instid0(SALU_CYCLE_1)
	s_and_not1_b32 vcc_lo, exec_lo, s1
	s_cbranch_vccnz .LBB30_1079
; %bb.1075:
	v_cmp_lt_i16_e32 vcc_lo, 0, v5
	s_mov_b32 s1, -1
	s_cbranch_vccz .LBB30_1077
; %bb.1076:
	v_cvt_i32_f32_e32 v1, v0
	s_mov_b32 s1, 0
	s_waitcnt vmcnt(0)
	global_store_b8 v[2:3], v1, off
.LBB30_1077:
	s_and_not1_b32 vcc_lo, exec_lo, s1
	s_cbranch_vccnz .LBB30_1079
; %bb.1078:
	v_trunc_f32_e32 v0, v0
	s_delay_alu instid0(VALU_DEP_1) | instskip(NEXT) | instid1(VALU_DEP_1)
	v_mul_f32_e64 v1, 0x2f800000, |v0|
	v_floor_f32_e32 v1, v1
	s_delay_alu instid0(VALU_DEP_1) | instskip(SKIP_1) | instid1(VALU_DEP_2)
	v_fma_f32 v1, 0xcf800000, v1, |v0|
	v_ashrrev_i32_e32 v0, 31, v0
	v_cvt_u32_f32_e32 v1, v1
	s_delay_alu instid0(VALU_DEP_1) | instskip(NEXT) | instid1(VALU_DEP_1)
	v_xor_b32_e32 v1, v1, v0
	v_sub_nc_u32_e32 v0, v1, v0
	s_waitcnt vmcnt(0)
	global_store_b8 v[2:3], v0, off
.LBB30_1079:
	s_or_b32 exec_lo, exec_lo, s0
	s_delay_alu instid0(SALU_CYCLE_1)
	s_and_b32 s12, s13, exec_lo
                                        ; implicit-def: $vgpr8
                                        ; implicit-def: $vgpr6
.LBB30_1080:
	s_or_saveexec_b32 s11, s11
	s_mov_b32 s0, 0
                                        ; implicit-def: $vgpr9
                                        ; implicit-def: $vgpr0_vgpr1
                                        ; implicit-def: $vgpr4
	s_xor_b32 exec_lo, exec_lo, s11
	s_cbranch_execz .LBB30_1738
; %bb.1081:
	v_mul_lo_u32 v3, s3, v8
	v_cmp_gt_i16_e32 vcc_lo, 11, v6
	s_delay_alu instid0(VALU_DEP_2) | instskip(SKIP_1) | instid1(VALU_DEP_1)
	v_ashrrev_i32_e32 v1, 31, v3
	v_add_co_u32 v0, s0, s6, v3
	v_add_co_ci_u32_e64 v1, s0, s7, v1, s0
	s_cbranch_vccnz .LBB30_1088
; %bb.1082:
	v_cmp_lt_i16_e32 vcc_lo, 25, v6
	s_mov_b32 s1, 0
	s_cbranch_vccz .LBB30_1094
; %bb.1083:
	v_cmp_lt_i16_e32 vcc_lo, 28, v6
	s_cbranch_vccz .LBB30_1096
; %bb.1084:
	v_cmp_lt_i16_e32 vcc_lo, 43, v6
	;; [unrolled: 3-line block ×3, first 2 shown]
	s_cbranch_vccz .LBB30_1102
; %bb.1086:
	v_cmp_eq_u16_e32 vcc_lo, 46, v6
	s_mov_b32 s10, 0
	s_cbranch_vccz .LBB30_1142
; %bb.1087:
	global_load_b32 v2, v[0:1], off
	s_mov_b32 s0, 0
	s_mov_b32 s13, -1
	s_waitcnt vmcnt(0)
	v_lshlrev_b32_e32 v2, 16, v2
	s_branch .LBB30_1144
.LBB30_1088:
	s_mov_b32 s13, 0
	s_mov_b32 s10, s12
                                        ; implicit-def: $vgpr2
	s_cbranch_execz .LBB30_1207
; %bb.1089:
	v_cmp_gt_i16_e32 vcc_lo, 5, v6
	s_cbranch_vccnz .LBB30_1095
; %bb.1090:
	v_cmp_gt_i16_e32 vcc_lo, 8, v6
	s_cbranch_vccnz .LBB30_1097
	;; [unrolled: 3-line block ×3, first 2 shown]
; %bb.1092:
	v_cmp_lt_i16_e32 vcc_lo, 9, v6
	s_cbranch_vccz .LBB30_1103
; %bb.1093:
	global_load_b64 v[4:5], v[0:1], off
	s_mov_b32 s0, 0
	s_waitcnt vmcnt(0)
	v_cvt_f32_f64_e32 v2, v[4:5]
	s_branch .LBB30_1104
.LBB30_1094:
	s_mov_b32 s13, 0
	s_mov_b32 s0, 0
                                        ; implicit-def: $vgpr2
	s_cbranch_execnz .LBB30_1172
	s_branch .LBB30_1203
.LBB30_1095:
                                        ; implicit-def: $vgpr2
	s_branch .LBB30_1121
.LBB30_1096:
	s_mov_b32 s10, -1
	s_mov_b32 s13, 0
	s_mov_b32 s0, 0
                                        ; implicit-def: $vgpr2
	s_branch .LBB30_1153
.LBB30_1097:
                                        ; implicit-def: $vgpr2
	s_branch .LBB30_1110
.LBB30_1098:
	s_mov_b32 s13, 0
	s_mov_b32 s0, 0
                                        ; implicit-def: $vgpr2
	s_cbranch_execnz .LBB30_1149
	s_branch .LBB30_1152
.LBB30_1099:
	s_mov_b32 s0, -1
                                        ; implicit-def: $vgpr2
	s_branch .LBB30_1107
.LBB30_1100:
	s_cbranch_execnz .LBB30_1140
; %bb.1101:
	s_or_b32 s13, s13, exec_lo
	s_and_not1_b32 s15, s15, exec_lo
	s_or_b32 exec_lo, exec_lo, s0
	s_and_saveexec_b32 s0, s15
	s_delay_alu instid0(SALU_CYCLE_1)
	s_xor_b32 s0, exec_lo, s0
	s_cbranch_execnz .LBB30_1040
	s_branch .LBB30_1041
.LBB30_1102:
	s_mov_b32 s10, -1
	s_mov_b32 s13, 0
	s_mov_b32 s0, 0
	s_branch .LBB30_1143
.LBB30_1103:
	s_mov_b32 s0, -1
                                        ; implicit-def: $vgpr2
.LBB30_1104:
	s_delay_alu instid0(SALU_CYCLE_1)
	s_and_not1_b32 vcc_lo, exec_lo, s0
	s_cbranch_vccnz .LBB30_1106
; %bb.1105:
	global_load_b32 v2, v[0:1], off
.LBB30_1106:
	s_mov_b32 s0, 0
.LBB30_1107:
	s_delay_alu instid0(SALU_CYCLE_1)
	s_and_not1_b32 vcc_lo, exec_lo, s0
	s_cbranch_vccnz .LBB30_1109
; %bb.1108:
	global_load_b32 v2, v[0:1], off
	s_waitcnt vmcnt(0)
	v_cvt_f32_f16_e32 v2, v2
.LBB30_1109:
	s_cbranch_execnz .LBB30_1120
.LBB30_1110:
	v_cmp_gt_i16_e32 vcc_lo, 6, v6
	s_cbranch_vccnz .LBB30_1113
; %bb.1111:
	v_cmp_lt_i16_e32 vcc_lo, 6, v6
	s_cbranch_vccz .LBB30_1114
; %bb.1112:
	global_load_b64 v[4:5], v[0:1], off
	s_mov_b32 s0, 0
	s_waitcnt vmcnt(0)
	v_cvt_f32_f64_e32 v2, v[4:5]
	s_branch .LBB30_1115
.LBB30_1113:
	s_mov_b32 s0, -1
                                        ; implicit-def: $vgpr2
	s_branch .LBB30_1118
.LBB30_1114:
	s_mov_b32 s0, -1
                                        ; implicit-def: $vgpr2
.LBB30_1115:
	s_delay_alu instid0(SALU_CYCLE_1)
	s_and_not1_b32 vcc_lo, exec_lo, s0
	s_cbranch_vccnz .LBB30_1117
; %bb.1116:
	global_load_b32 v2, v[0:1], off
.LBB30_1117:
	s_mov_b32 s0, 0
.LBB30_1118:
	s_delay_alu instid0(SALU_CYCLE_1)
	s_and_not1_b32 vcc_lo, exec_lo, s0
	s_cbranch_vccnz .LBB30_1120
; %bb.1119:
	global_load_u16 v2, v[0:1], off
	s_waitcnt vmcnt(0)
	v_cvt_f32_f16_e32 v2, v2
.LBB30_1120:
	s_cbranch_execnz .LBB30_1139
.LBB30_1121:
	v_cmp_gt_i16_e32 vcc_lo, 2, v6
	s_cbranch_vccnz .LBB30_1125
; %bb.1122:
	v_cmp_gt_i16_e32 vcc_lo, 3, v6
	s_cbranch_vccnz .LBB30_1126
; %bb.1123:
	v_cmp_lt_i16_e32 vcc_lo, 3, v6
	s_cbranch_vccz .LBB30_1127
; %bb.1124:
	global_load_b64 v[4:5], v[0:1], off
	s_mov_b32 s0, 0
	s_waitcnt vmcnt(0)
	v_xor_b32_e32 v2, v4, v5
	v_cls_i32_e32 v7, v5
	s_delay_alu instid0(VALU_DEP_2) | instskip(NEXT) | instid1(VALU_DEP_2)
	v_ashrrev_i32_e32 v2, 31, v2
	v_add_nc_u32_e32 v7, -1, v7
	s_delay_alu instid0(VALU_DEP_2) | instskip(NEXT) | instid1(VALU_DEP_1)
	v_add_nc_u32_e32 v2, 32, v2
	v_min_u32_e32 v2, v7, v2
	s_delay_alu instid0(VALU_DEP_1) | instskip(SKIP_1) | instid1(VALU_DEP_2)
	v_lshlrev_b64 v[4:5], v2, v[4:5]
	v_sub_nc_u32_e32 v2, 32, v2
	v_min_u32_e32 v4, 1, v4
	s_delay_alu instid0(VALU_DEP_1) | instskip(NEXT) | instid1(VALU_DEP_1)
	v_or_b32_e32 v4, v5, v4
	v_cvt_f32_i32_e32 v4, v4
	s_delay_alu instid0(VALU_DEP_1)
	v_ldexp_f32 v2, v4, v2
	s_branch .LBB30_1128
.LBB30_1125:
                                        ; implicit-def: $vgpr2
	s_branch .LBB30_1134
.LBB30_1126:
	s_mov_b32 s0, -1
                                        ; implicit-def: $vgpr2
	s_branch .LBB30_1131
.LBB30_1127:
	s_mov_b32 s0, -1
                                        ; implicit-def: $vgpr2
.LBB30_1128:
	s_delay_alu instid0(SALU_CYCLE_1)
	s_and_not1_b32 vcc_lo, exec_lo, s0
	s_cbranch_vccnz .LBB30_1130
; %bb.1129:
	global_load_b32 v2, v[0:1], off
	s_waitcnt vmcnt(0)
	v_cvt_f32_i32_e32 v2, v2
.LBB30_1130:
	s_mov_b32 s0, 0
.LBB30_1131:
	s_delay_alu instid0(SALU_CYCLE_1)
	s_and_not1_b32 vcc_lo, exec_lo, s0
	s_cbranch_vccnz .LBB30_1133
; %bb.1132:
	global_load_i16 v2, v[0:1], off
	s_waitcnt vmcnt(0)
	v_cvt_f32_i32_e32 v2, v2
.LBB30_1133:
	s_cbranch_execnz .LBB30_1139
.LBB30_1134:
	v_cmp_lt_i16_e32 vcc_lo, 0, v6
	s_mov_b32 s0, 0
	s_cbranch_vccz .LBB30_1136
; %bb.1135:
	global_load_i8 v2, v[0:1], off
	s_waitcnt vmcnt(0)
	v_cvt_f32_i32_e32 v2, v2
	s_branch .LBB30_1137
.LBB30_1136:
	s_mov_b32 s0, -1
                                        ; implicit-def: $vgpr2
.LBB30_1137:
	s_delay_alu instid0(SALU_CYCLE_1)
	s_and_not1_b32 vcc_lo, exec_lo, s0
	s_cbranch_vccnz .LBB30_1139
; %bb.1138:
	global_load_u8 v0, v[0:1], off
	s_waitcnt vmcnt(0)
	v_cvt_f32_ubyte0_e32 v2, v0
.LBB30_1139:
	s_branch .LBB30_1208
.LBB30_1140:
	s_trap 2
	s_sendmsg_rtn_b32 s0, sendmsg(MSG_RTN_GET_DOORBELL)
	s_mov_b32 ttmp2, m0
	s_waitcnt lgkmcnt(0)
	s_and_b32 s0, s0, 0x3ff
	s_delay_alu instid0(SALU_CYCLE_1) | instskip(NEXT) | instid1(SALU_CYCLE_1)
	s_bitset1_b32 s0, 10
	s_mov_b32 m0, s0
	s_sendmsg sendmsg(MSG_INTERRUPT)
	s_mov_b32 m0, ttmp2
.LBB30_1141:                            ; =>This Inner Loop Header: Depth=1
	s_sethalt 5
	s_branch .LBB30_1141
.LBB30_1142:
	s_mov_b32 s0, -1
	s_mov_b32 s13, 0
.LBB30_1143:
                                        ; implicit-def: $vgpr2
.LBB30_1144:
	s_and_b32 vcc_lo, exec_lo, s10
	s_cbranch_vccz .LBB30_1147
; %bb.1145:
	v_cmp_eq_u16_e32 vcc_lo, 44, v6
	s_cbranch_vccz .LBB30_1148
; %bb.1146:
	global_load_u8 v2, v[0:1], off
	s_mov_b32 s0, 0
	s_mov_b32 s13, -1
	s_waitcnt vmcnt(0)
	v_lshlrev_b32_e32 v4, 23, v2
	v_cmp_ne_u32_e32 vcc_lo, 0xff, v2
	s_delay_alu instid0(VALU_DEP_2) | instskip(SKIP_1) | instid1(VALU_DEP_2)
	v_cndmask_b32_e32 v4, 0x7f800001, v4, vcc_lo
	v_cmp_ne_u32_e32 vcc_lo, 0, v2
	v_cndmask_b32_e32 v2, 0x400000, v4, vcc_lo
.LBB30_1147:
	s_branch .LBB30_1152
.LBB30_1148:
	s_mov_b32 s0, -1
                                        ; implicit-def: $vgpr2
	s_branch .LBB30_1152
.LBB30_1149:
	v_cmp_eq_u16_e32 vcc_lo, 29, v6
	s_cbranch_vccz .LBB30_1151
; %bb.1150:
	global_load_b64 v[4:5], v[0:1], off
	s_mov_b32 s0, 0
	s_mov_b32 s13, -1
	s_mov_b32 s10, 0
	s_waitcnt vmcnt(0)
	v_clz_i32_u32_e32 v2, v5
	s_delay_alu instid0(VALU_DEP_1) | instskip(NEXT) | instid1(VALU_DEP_1)
	v_min_u32_e32 v2, 32, v2
	v_lshlrev_b64 v[4:5], v2, v[4:5]
	v_sub_nc_u32_e32 v2, 32, v2
	s_delay_alu instid0(VALU_DEP_2) | instskip(NEXT) | instid1(VALU_DEP_1)
	v_min_u32_e32 v4, 1, v4
	v_or_b32_e32 v4, v5, v4
	s_delay_alu instid0(VALU_DEP_1) | instskip(NEXT) | instid1(VALU_DEP_1)
	v_cvt_f32_u32_e32 v4, v4
	v_ldexp_f32 v2, v4, v2
	s_branch .LBB30_1153
.LBB30_1151:
	s_mov_b32 s0, -1
                                        ; implicit-def: $vgpr2
.LBB30_1152:
	s_mov_b32 s10, 0
.LBB30_1153:
	s_delay_alu instid0(SALU_CYCLE_1)
	s_and_b32 vcc_lo, exec_lo, s10
	s_cbranch_vccz .LBB30_1171
; %bb.1154:
	v_cmp_gt_i16_e32 vcc_lo, 27, v6
	s_cbranch_vccnz .LBB30_1157
; %bb.1155:
	v_cmp_lt_i16_e32 vcc_lo, 27, v6
	s_cbranch_vccz .LBB30_1158
; %bb.1156:
	global_load_b32 v2, v[0:1], off
	s_mov_b32 s10, 0
	s_waitcnt vmcnt(0)
	v_cvt_f32_u32_e32 v2, v2
	s_branch .LBB30_1159
.LBB30_1157:
	s_mov_b32 s10, -1
                                        ; implicit-def: $vgpr2
	s_branch .LBB30_1162
.LBB30_1158:
	s_mov_b32 s10, -1
                                        ; implicit-def: $vgpr2
.LBB30_1159:
	s_delay_alu instid0(SALU_CYCLE_1)
	s_and_not1_b32 vcc_lo, exec_lo, s10
	s_cbranch_vccnz .LBB30_1161
; %bb.1160:
	global_load_u16 v2, v[0:1], off
	s_waitcnt vmcnt(0)
	v_cvt_f32_u32_e32 v2, v2
.LBB30_1161:
	s_mov_b32 s10, 0
.LBB30_1162:
	s_delay_alu instid0(SALU_CYCLE_1)
	s_and_not1_b32 vcc_lo, exec_lo, s10
	s_cbranch_vccnz .LBB30_1170
; %bb.1163:
	global_load_u8 v4, v[0:1], off
	s_mov_b32 s10, 0
	s_mov_b32 s14, exec_lo
                                        ; implicit-def: $sgpr13
	s_waitcnt vmcnt(0)
	v_cmpx_lt_i16_e32 0x7f, v4
	s_xor_b32 s14, exec_lo, s14
	s_cbranch_execz .LBB30_1183
; %bb.1164:
	s_mov_b32 s10, -1
	s_mov_b32 s15, exec_lo
                                        ; implicit-def: $sgpr13
	v_cmpx_eq_u16_e32 0x80, v4
; %bb.1165:
	s_mov_b32 s13, 0x7f800001
	s_xor_b32 s10, exec_lo, -1
; %bb.1166:
	s_or_b32 exec_lo, exec_lo, s15
	s_delay_alu instid0(SALU_CYCLE_1)
	s_and_b32 s10, s10, exec_lo
	s_or_saveexec_b32 s14, s14
	v_mov_b32_e32 v2, s13
	s_xor_b32 exec_lo, exec_lo, s14
	s_cbranch_execnz .LBB30_1184
.LBB30_1167:
	s_or_b32 exec_lo, exec_lo, s14
	s_and_saveexec_b32 s13, s10
	s_cbranch_execz .LBB30_1169
.LBB30_1168:
	v_and_b32_e32 v2, 0xffff, v4
	v_lshlrev_b32_e32 v4, 24, v4
	s_delay_alu instid0(VALU_DEP_2) | instskip(NEXT) | instid1(VALU_DEP_2)
	v_and_b32_e32 v5, 7, v2
	v_and_b32_e32 v4, 0x80000000, v4
	s_delay_alu instid0(VALU_DEP_2) | instskip(NEXT) | instid1(VALU_DEP_1)
	v_clz_i32_u32_e32 v7, v5
	v_min_u32_e32 v7, 32, v7
	s_delay_alu instid0(VALU_DEP_1) | instskip(SKIP_1) | instid1(VALU_DEP_2)
	v_subrev_nc_u32_e32 v9, 28, v7
	v_sub_nc_u32_e32 v7, 29, v7
	v_lshlrev_b32_e32 v9, v9, v2
	v_bfe_u32 v2, v2, 3, 4
	s_delay_alu instid0(VALU_DEP_2) | instskip(NEXT) | instid1(VALU_DEP_2)
	v_and_b32_e32 v9, 7, v9
	v_cmp_eq_u32_e32 vcc_lo, 0, v2
	s_delay_alu instid0(VALU_DEP_2) | instskip(NEXT) | instid1(VALU_DEP_1)
	v_dual_cndmask_b32 v2, v2, v7 :: v_dual_cndmask_b32 v5, v5, v9
	v_lshl_add_u32 v2, v2, 23, 0x3b800000
	s_delay_alu instid0(VALU_DEP_2) | instskip(NEXT) | instid1(VALU_DEP_1)
	v_lshlrev_b32_e32 v5, 20, v5
	v_or3_b32 v2, v4, v2, v5
.LBB30_1169:
	s_or_b32 exec_lo, exec_lo, s13
.LBB30_1170:
	s_mov_b32 s13, -1
.LBB30_1171:
	s_branch .LBB30_1203
.LBB30_1172:
	v_cmp_lt_i16_e32 vcc_lo, 22, v6
	s_cbranch_vccz .LBB30_1182
; %bb.1173:
	v_cmp_gt_i16_e32 vcc_lo, 24, v6
	s_cbranch_vccnz .LBB30_1185
; %bb.1174:
	v_cmp_lt_i16_e32 vcc_lo, 24, v6
	s_cbranch_vccz .LBB30_1186
; %bb.1175:
	global_load_u8 v4, v[0:1], off
	s_mov_b32 s13, exec_lo
                                        ; implicit-def: $sgpr10
	s_waitcnt vmcnt(0)
	v_cmpx_lt_i16_e32 0x7f, v4
	s_xor_b32 s13, exec_lo, s13
	s_cbranch_execz .LBB30_1197
; %bb.1176:
	s_mov_b32 s1, -1
	s_mov_b32 s14, exec_lo
                                        ; implicit-def: $sgpr10
	v_cmpx_eq_u16_e32 0x80, v4
; %bb.1177:
	s_mov_b32 s10, 0x7f800001
	s_xor_b32 s1, exec_lo, -1
; %bb.1178:
	s_or_b32 exec_lo, exec_lo, s14
	s_delay_alu instid0(SALU_CYCLE_1)
	s_and_b32 s1, s1, exec_lo
	s_or_saveexec_b32 s13, s13
	v_mov_b32_e32 v2, s10
	s_xor_b32 exec_lo, exec_lo, s13
	s_cbranch_execnz .LBB30_1198
.LBB30_1179:
	s_or_b32 exec_lo, exec_lo, s13
	s_and_saveexec_b32 s10, s1
	s_cbranch_execz .LBB30_1181
.LBB30_1180:
	v_and_b32_e32 v2, 0xffff, v4
	v_lshlrev_b32_e32 v4, 24, v4
	s_delay_alu instid0(VALU_DEP_2) | instskip(NEXT) | instid1(VALU_DEP_2)
	v_and_b32_e32 v5, 3, v2
	v_and_b32_e32 v4, 0x80000000, v4
	s_delay_alu instid0(VALU_DEP_2) | instskip(NEXT) | instid1(VALU_DEP_1)
	v_clz_i32_u32_e32 v7, v5
	v_min_u32_e32 v7, 32, v7
	s_delay_alu instid0(VALU_DEP_1) | instskip(SKIP_1) | instid1(VALU_DEP_2)
	v_subrev_nc_u32_e32 v9, 29, v7
	v_sub_nc_u32_e32 v7, 30, v7
	v_lshlrev_b32_e32 v9, v9, v2
	v_bfe_u32 v2, v2, 2, 5
	s_delay_alu instid0(VALU_DEP_2) | instskip(NEXT) | instid1(VALU_DEP_2)
	v_and_b32_e32 v9, 3, v9
	v_cmp_eq_u32_e32 vcc_lo, 0, v2
	s_delay_alu instid0(VALU_DEP_2) | instskip(NEXT) | instid1(VALU_DEP_1)
	v_dual_cndmask_b32 v2, v2, v7 :: v_dual_cndmask_b32 v5, v5, v9
	v_lshl_add_u32 v2, v2, 23, 0x37800000
	s_delay_alu instid0(VALU_DEP_2) | instskip(NEXT) | instid1(VALU_DEP_1)
	v_lshlrev_b32_e32 v5, 21, v5
	v_or3_b32 v2, v4, v2, v5
.LBB30_1181:
	s_or_b32 exec_lo, exec_lo, s10
	s_mov_b32 s1, 0
	s_branch .LBB30_1187
.LBB30_1182:
                                        ; implicit-def: $vgpr2
	s_mov_b32 s1, 0
	s_branch .LBB30_1193
.LBB30_1183:
	s_or_saveexec_b32 s14, s14
	v_mov_b32_e32 v2, s13
	s_xor_b32 exec_lo, exec_lo, s14
	s_cbranch_execz .LBB30_1167
.LBB30_1184:
	v_cmp_ne_u16_e32 vcc_lo, 0, v4
	v_mov_b32_e32 v2, 0
	s_and_not1_b32 s10, s10, exec_lo
	s_and_b32 s13, vcc_lo, exec_lo
	s_delay_alu instid0(SALU_CYCLE_1)
	s_or_b32 s10, s10, s13
	s_or_b32 exec_lo, exec_lo, s14
	s_and_saveexec_b32 s13, s10
	s_cbranch_execnz .LBB30_1168
	s_branch .LBB30_1169
.LBB30_1185:
	s_mov_b32 s1, -1
                                        ; implicit-def: $vgpr2
	s_branch .LBB30_1190
.LBB30_1186:
	s_mov_b32 s1, -1
                                        ; implicit-def: $vgpr2
.LBB30_1187:
	s_delay_alu instid0(SALU_CYCLE_1)
	s_and_b32 vcc_lo, exec_lo, s1
	s_cbranch_vccz .LBB30_1189
; %bb.1188:
	global_load_u8 v2, v[0:1], off
	s_waitcnt vmcnt(0)
	v_lshlrev_b32_e32 v2, 24, v2
	s_delay_alu instid0(VALU_DEP_1) | instskip(NEXT) | instid1(VALU_DEP_1)
	v_and_b32_e32 v4, 0x7f000000, v2
	v_clz_i32_u32_e32 v5, v4
	v_cmp_ne_u32_e32 vcc_lo, 0, v4
	v_add_nc_u32_e32 v9, 0x1000000, v4
	s_delay_alu instid0(VALU_DEP_3) | instskip(NEXT) | instid1(VALU_DEP_1)
	v_min_u32_e32 v5, 32, v5
	v_sub_nc_u32_e64 v5, v5, 4 clamp
	s_delay_alu instid0(VALU_DEP_1) | instskip(SKIP_1) | instid1(VALU_DEP_2)
	v_lshlrev_b32_e32 v7, v5, v4
	v_lshlrev_b32_e32 v5, 23, v5
	v_lshrrev_b32_e32 v7, 4, v7
	s_delay_alu instid0(VALU_DEP_1) | instskip(SKIP_1) | instid1(VALU_DEP_2)
	v_sub_nc_u32_e32 v5, v7, v5
	v_ashrrev_i32_e32 v7, 8, v9
	v_add_nc_u32_e32 v5, 0x3c000000, v5
	s_delay_alu instid0(VALU_DEP_1) | instskip(NEXT) | instid1(VALU_DEP_1)
	v_and_or_b32 v5, 0x7f800000, v7, v5
	v_cndmask_b32_e32 v4, 0, v5, vcc_lo
	s_delay_alu instid0(VALU_DEP_1)
	v_and_or_b32 v2, 0x80000000, v2, v4
.LBB30_1189:
	s_mov_b32 s1, 0
.LBB30_1190:
	s_delay_alu instid0(SALU_CYCLE_1)
	s_and_not1_b32 vcc_lo, exec_lo, s1
	s_cbranch_vccnz .LBB30_1192
; %bb.1191:
	global_load_u8 v2, v[0:1], off
	s_waitcnt vmcnt(0)
	v_lshlrev_b32_e32 v4, 25, v2
	v_lshlrev_b16 v2, 8, v2
	s_delay_alu instid0(VALU_DEP_1) | instskip(SKIP_1) | instid1(VALU_DEP_2)
	v_and_or_b32 v7, 0x7f00, v2, 0.5
	v_bfe_i32 v2, v2, 0, 16
	v_add_f32_e32 v7, -0.5, v7
	v_lshrrev_b32_e32 v5, 4, v4
	v_cmp_gt_u32_e32 vcc_lo, 0x8000000, v4
	s_delay_alu instid0(VALU_DEP_2) | instskip(NEXT) | instid1(VALU_DEP_1)
	v_or_b32_e32 v5, 0x70000000, v5
	v_mul_f32_e32 v5, 0x7800000, v5
	s_delay_alu instid0(VALU_DEP_1) | instskip(NEXT) | instid1(VALU_DEP_1)
	v_cndmask_b32_e32 v4, v5, v7, vcc_lo
	v_and_or_b32 v2, 0x80000000, v2, v4
.LBB30_1192:
	s_mov_b32 s13, -1
	s_mov_b32 s1, 0
	s_cbranch_execnz .LBB30_1203
.LBB30_1193:
	v_cmp_lt_i16_e32 vcc_lo, 14, v6
	s_cbranch_vccz .LBB30_1196
; %bb.1194:
	v_cmp_eq_u16_e32 vcc_lo, 15, v6
	s_cbranch_vccz .LBB30_1199
; %bb.1195:
	global_load_u16 v2, v[0:1], off
	s_mov_b32 s0, 0
	s_mov_b32 s13, -1
	s_waitcnt vmcnt(0)
	v_lshlrev_b32_e32 v2, 16, v2
	s_branch .LBB30_1201
.LBB30_1196:
	s_mov_b32 s1, -1
	s_branch .LBB30_1200
.LBB30_1197:
	s_or_saveexec_b32 s13, s13
	v_mov_b32_e32 v2, s10
	s_xor_b32 exec_lo, exec_lo, s13
	s_cbranch_execz .LBB30_1179
.LBB30_1198:
	v_cmp_ne_u16_e32 vcc_lo, 0, v4
	v_mov_b32_e32 v2, 0
	s_and_not1_b32 s1, s1, exec_lo
	s_and_b32 s10, vcc_lo, exec_lo
	s_delay_alu instid0(SALU_CYCLE_1)
	s_or_b32 s1, s1, s10
	s_or_b32 exec_lo, exec_lo, s13
	s_and_saveexec_b32 s10, s1
	s_cbranch_execnz .LBB30_1180
	s_branch .LBB30_1181
.LBB30_1199:
	s_mov_b32 s0, -1
.LBB30_1200:
                                        ; implicit-def: $vgpr2
.LBB30_1201:
	s_and_b32 vcc_lo, exec_lo, s1
	s_mov_b32 s1, 0
	s_cbranch_vccz .LBB30_1203
; %bb.1202:
	v_cmp_ne_u16_e64 s0, 11, v6
	s_mov_b32 s1, -1
                                        ; implicit-def: $vgpr2
.LBB30_1203:
	s_delay_alu instid0(VALU_DEP_1)
	s_and_b32 vcc_lo, exec_lo, s0
	s_mov_b32 s10, s12
	s_cbranch_vccnz .LBB30_1239
; %bb.1204:
	s_and_not1_b32 vcc_lo, exec_lo, s1
	s_cbranch_vccnz .LBB30_1206
.LBB30_1205:
	global_load_u8 v2, v[0:1], off
	s_mov_b32 s13, -1
	s_waitcnt vmcnt(0)
	v_cmp_ne_u16_e32 vcc_lo, 0, v2
	v_cndmask_b32_e64 v2, 0, 1.0, vcc_lo
.LBB30_1206:
.LBB30_1207:
	s_and_not1_b32 vcc_lo, exec_lo, s13
	s_cbranch_vccnz .LBB30_1736
.LBB30_1208:
	s_waitcnt vmcnt(0)
	s_delay_alu instid0(VALU_DEP_1) | instskip(SKIP_1) | instid1(VALU_DEP_1)
	v_trunc_f32_e32 v0, v2
	s_mov_b32 s13, exec_lo
	v_mul_f32_e64 v1, 0x2f800000, |v0|
	s_delay_alu instid0(VALU_DEP_1) | instskip(NEXT) | instid1(VALU_DEP_1)
	v_floor_f32_e32 v1, v1
	v_fma_f32 v4, 0xcf800000, v1, |v0|
	v_ashrrev_i32_e32 v0, 31, v0
	v_cvt_u32_f32_e32 v1, v1
	s_delay_alu instid0(VALU_DEP_3) | instskip(NEXT) | instid1(VALU_DEP_2)
	v_cvt_u32_f32_e32 v4, v4
	v_xor_b32_e32 v1, v1, v0
	s_delay_alu instid0(VALU_DEP_2) | instskip(NEXT) | instid1(VALU_DEP_1)
	v_xor_b32_e32 v4, v4, v0
	v_sub_co_u32 v4, vcc_lo, v4, v0
	s_delay_alu instid0(VALU_DEP_3) | instskip(SKIP_1) | instid1(VALU_DEP_2)
	v_sub_co_ci_u32_e32 v0, vcc_lo, v1, v0, vcc_lo
	v_cmp_class_f32_e64 vcc_lo, v2, 0x1f8
	v_cndmask_b32_e32 v2, -1, v0, vcc_lo
	s_delay_alu instid0(VALU_DEP_4) | instskip(NEXT) | instid1(VALU_DEP_1)
	v_dual_cndmask_b32 v1, -1, v4 :: v_dual_mov_b32 v0, 0
	v_cmpx_lt_i64_e32 -1, v[1:2]
	s_cbranch_execz .LBB30_1220
; %bb.1209:
	v_mov_b32_e32 v0, 1.0
	s_mov_b32 s14, exec_lo
	v_cmpx_lt_i64_e32 0, v[1:2]
	s_cbranch_execz .LBB30_1219
; %bb.1210:
                                        ; implicit-def: $vgpr0
	s_mov_b32 s0, exec_lo
	v_cmpx_ne_u64_e32 1, v[1:2]
	s_xor_b32 s15, exec_lo, s0
	s_cbranch_execz .LBB30_1216
; %bb.1211:
	v_mov_b32_e32 v0, 0x7fc00000
	s_mov_b32 s16, exec_lo
	v_cmpx_gt_u64_e32 0x81, v[1:2]
	s_cbranch_execz .LBB30_1215
; %bb.1212:
	v_add_f32_e64 v4, s8, s8
	v_lshlrev_b64 v[1:2], 1, v[1:2]
	v_mov_b32_e32 v5, 1.0
	s_mov_b64 s[0:1], 2
	s_mov_b32 s17, 0
	v_mov_b32_e32 v0, v4
	.p2align	6
.LBB30_1213:                            ; =>This Inner Loop Header: Depth=1
	s_clz_i32_u32 s18, s1
	s_delay_alu instid0(SALU_CYCLE_1) | instskip(NEXT) | instid1(SALU_CYCLE_1)
	s_min_u32 s20, s18, 32
	s_lshl_b64 s[18:19], s[0:1], s20
	s_delay_alu instid0(SALU_CYCLE_1) | instskip(NEXT) | instid1(SALU_CYCLE_1)
	s_min_u32 s18, s18, 1
	s_or_b32 s18, s19, s18
	s_delay_alu instid0(SALU_CYCLE_1) | instskip(SKIP_3) | instid1(SALU_CYCLE_1)
	v_cvt_f32_u32_e32 v7, s18
	s_sub_i32 s18, 32, s20
	s_add_u32 s0, s0, 2
	s_addc_u32 s1, s1, 0
	v_cmp_ge_u64_e32 vcc_lo, s[0:1], v[1:2]
	v_ldexp_f32 v7, v7, s18
	s_delay_alu instid0(VALU_DEP_1) | instskip(SKIP_2) | instid1(VALU_DEP_2)
	v_mul_f32_e32 v7, v5, v7
	v_mov_b32_e32 v5, v0
	s_or_b32 s17, vcc_lo, s17
	v_fma_f32 v0, v4, v0, -v7
	s_and_not1_b32 exec_lo, exec_lo, s17
	s_cbranch_execnz .LBB30_1213
; %bb.1214:
	s_or_b32 exec_lo, exec_lo, s17
.LBB30_1215:
	s_delay_alu instid0(SALU_CYCLE_1)
	s_or_b32 exec_lo, exec_lo, s16
.LBB30_1216:
	s_and_not1_saveexec_b32 s0, s15
; %bb.1217:
	v_add_f32_e64 v0, s8, s8
; %bb.1218:
	s_or_b32 exec_lo, exec_lo, s0
.LBB30_1219:
	s_delay_alu instid0(SALU_CYCLE_1)
	s_or_b32 exec_lo, exec_lo, s14
.LBB30_1220:
	s_delay_alu instid0(SALU_CYCLE_1) | instskip(SKIP_3) | instid1(VALU_DEP_1)
	s_or_b32 exec_lo, exec_lo, s13
	s_lshl_b32 s3, s3, 7
	v_cmp_gt_i16_e32 vcc_lo, 11, v6
	v_add_nc_u32_e32 v5, s3, v3
	v_ashrrev_i32_e32 v2, 31, v5
	v_add_co_u32 v1, s0, s6, v5
	s_delay_alu instid0(VALU_DEP_1)
	v_add_co_ci_u32_e64 v2, s0, s7, v2, s0
	s_cbranch_vccnz .LBB30_1227
; %bb.1221:
	v_cmp_lt_i16_e32 vcc_lo, 25, v6
	s_mov_b32 s1, 0
	s_cbranch_vccz .LBB30_1233
; %bb.1222:
	v_cmp_lt_i16_e32 vcc_lo, 28, v6
	s_cbranch_vccz .LBB30_1235
; %bb.1223:
	v_cmp_lt_i16_e32 vcc_lo, 43, v6
	;; [unrolled: 3-line block ×3, first 2 shown]
	s_cbranch_vccz .LBB30_1243
; %bb.1225:
	v_cmp_eq_u16_e32 vcc_lo, 46, v6
	s_mov_b32 s14, 0
	s_cbranch_vccz .LBB30_1287
; %bb.1226:
	global_load_b32 v3, v[1:2], off
	s_mov_b32 s0, 0
	s_mov_b32 s13, -1
	s_waitcnt vmcnt(0)
	v_lshlrev_b32_e32 v3, 16, v3
	s_branch .LBB30_1289
.LBB30_1227:
	s_mov_b32 s13, 0
                                        ; implicit-def: $vgpr3
	s_cbranch_execz .LBB30_1354
; %bb.1228:
	v_cmp_gt_i16_e32 vcc_lo, 5, v6
	s_cbranch_vccnz .LBB30_1234
; %bb.1229:
	v_cmp_gt_i16_e32 vcc_lo, 8, v6
	s_cbranch_vccnz .LBB30_1236
	;; [unrolled: 3-line block ×3, first 2 shown]
; %bb.1231:
	v_cmp_lt_i16_e32 vcc_lo, 9, v6
	s_cbranch_vccz .LBB30_1244
; %bb.1232:
	global_load_b64 v[3:4], v[1:2], off
	s_mov_b32 s0, 0
	s_waitcnt vmcnt(0)
	v_cvt_f32_f64_e32 v3, v[3:4]
	s_branch .LBB30_1245
.LBB30_1233:
	s_mov_b32 s13, 0
	s_mov_b32 s0, 0
                                        ; implicit-def: $vgpr3
	s_cbranch_execnz .LBB30_1318
	s_branch .LBB30_1350
.LBB30_1234:
                                        ; implicit-def: $vgpr3
	s_branch .LBB30_1263
.LBB30_1235:
	s_mov_b32 s14, -1
	s_mov_b32 s13, 0
	s_mov_b32 s0, 0
                                        ; implicit-def: $vgpr3
	s_branch .LBB30_1299
.LBB30_1236:
	s_mov_b32 s0, -1
                                        ; implicit-def: $vgpr3
	s_branch .LBB30_1251
.LBB30_1237:
	s_mov_b32 s14, -1
	s_mov_b32 s13, 0
	s_mov_b32 s0, 0
                                        ; implicit-def: $vgpr3
	s_branch .LBB30_1294
.LBB30_1238:
	s_mov_b32 s0, -1
                                        ; implicit-def: $vgpr3
	s_branch .LBB30_1248
.LBB30_1239:
	s_cbranch_execnz .LBB30_1283
; %bb.1240:
	s_or_b32 s10, s12, exec_lo
                                        ; implicit-def: $vgpr2
	s_cbranch_execz .LBB30_1205
	s_branch .LBB30_1206
.LBB30_1241:
	s_or_saveexec_b32 s16, s16
                                        ; implicit-def: $sgpr17
	s_delay_alu instid0(SALU_CYCLE_1)
	s_xor_b32 exec_lo, exec_lo, s16
	s_cbranch_execz .LBB30_991
.LBB30_1242:
	v_add_f32_e64 v1, 0x46000000, |v0|
	s_and_not1_b32 s15, s15, exec_lo
	s_mov_b32 s17, 0
	s_delay_alu instid0(VALU_DEP_1) | instskip(NEXT) | instid1(VALU_DEP_1)
	v_and_b32_e32 v1, 0xff, v1
	v_cmp_ne_u32_e32 vcc_lo, 0, v1
	s_and_b32 s18, vcc_lo, exec_lo
	s_delay_alu instid0(SALU_CYCLE_1)
	s_or_b32 s15, s15, s18
	s_or_b32 exec_lo, exec_lo, s16
	v_mov_b32_e32 v4, s17
	s_and_saveexec_b32 s16, s15
	s_cbranch_execnz .LBB30_992
	s_branch .LBB30_993
.LBB30_1243:
	s_mov_b32 s14, -1
	s_mov_b32 s13, 0
	s_mov_b32 s0, 0
	s_branch .LBB30_1288
.LBB30_1244:
	s_mov_b32 s0, -1
                                        ; implicit-def: $vgpr3
.LBB30_1245:
	s_delay_alu instid0(SALU_CYCLE_1)
	s_and_not1_b32 vcc_lo, exec_lo, s0
	s_cbranch_vccnz .LBB30_1247
; %bb.1246:
	global_load_b32 v3, v[1:2], off
.LBB30_1247:
	s_mov_b32 s0, 0
.LBB30_1248:
	s_delay_alu instid0(SALU_CYCLE_1)
	s_and_not1_b32 vcc_lo, exec_lo, s0
	s_cbranch_vccnz .LBB30_1250
; %bb.1249:
	global_load_b32 v3, v[1:2], off
	s_waitcnt vmcnt(0)
	v_cvt_f32_f16_e32 v3, v3
.LBB30_1250:
	s_mov_b32 s0, 0
.LBB30_1251:
	s_delay_alu instid0(SALU_CYCLE_1)
	s_and_not1_b32 vcc_lo, exec_lo, s0
	s_cbranch_vccnz .LBB30_1262
; %bb.1252:
	v_cmp_gt_i16_e32 vcc_lo, 6, v6
	s_cbranch_vccnz .LBB30_1255
; %bb.1253:
	v_cmp_lt_i16_e32 vcc_lo, 6, v6
	s_cbranch_vccz .LBB30_1256
; %bb.1254:
	global_load_b64 v[3:4], v[1:2], off
	s_mov_b32 s0, 0
	s_waitcnt vmcnt(0)
	v_cvt_f32_f64_e32 v3, v[3:4]
	s_branch .LBB30_1257
.LBB30_1255:
	s_mov_b32 s0, -1
                                        ; implicit-def: $vgpr3
	s_branch .LBB30_1260
.LBB30_1256:
	s_mov_b32 s0, -1
                                        ; implicit-def: $vgpr3
.LBB30_1257:
	s_delay_alu instid0(SALU_CYCLE_1)
	s_and_not1_b32 vcc_lo, exec_lo, s0
	s_cbranch_vccnz .LBB30_1259
; %bb.1258:
	global_load_b32 v3, v[1:2], off
.LBB30_1259:
	s_mov_b32 s0, 0
.LBB30_1260:
	s_delay_alu instid0(SALU_CYCLE_1)
	s_and_not1_b32 vcc_lo, exec_lo, s0
	s_cbranch_vccnz .LBB30_1262
; %bb.1261:
	global_load_u16 v3, v[1:2], off
	s_waitcnt vmcnt(0)
	v_cvt_f32_f16_e32 v3, v3
.LBB30_1262:
	s_cbranch_execnz .LBB30_1282
.LBB30_1263:
	v_cmp_gt_i16_e32 vcc_lo, 2, v6
	s_cbranch_vccnz .LBB30_1267
; %bb.1264:
	v_cmp_gt_i16_e32 vcc_lo, 3, v6
	s_cbranch_vccnz .LBB30_1268
; %bb.1265:
	v_cmp_lt_i16_e32 vcc_lo, 3, v6
	s_cbranch_vccz .LBB30_1269
; %bb.1266:
	global_load_b64 v[3:4], v[1:2], off
	s_mov_b32 s0, 0
	s_waitcnt vmcnt(0)
	v_xor_b32_e32 v7, v3, v4
	v_cls_i32_e32 v9, v4
	s_delay_alu instid0(VALU_DEP_2) | instskip(NEXT) | instid1(VALU_DEP_2)
	v_ashrrev_i32_e32 v7, 31, v7
	v_add_nc_u32_e32 v9, -1, v9
	s_delay_alu instid0(VALU_DEP_2) | instskip(NEXT) | instid1(VALU_DEP_1)
	v_add_nc_u32_e32 v7, 32, v7
	v_min_u32_e32 v7, v9, v7
	s_delay_alu instid0(VALU_DEP_1) | instskip(NEXT) | instid1(VALU_DEP_1)
	v_lshlrev_b64 v[3:4], v7, v[3:4]
	v_min_u32_e32 v3, 1, v3
	s_delay_alu instid0(VALU_DEP_1) | instskip(SKIP_1) | instid1(VALU_DEP_2)
	v_or_b32_e32 v3, v4, v3
	v_sub_nc_u32_e32 v4, 32, v7
	v_cvt_f32_i32_e32 v3, v3
	s_delay_alu instid0(VALU_DEP_1)
	v_ldexp_f32 v3, v3, v4
	s_branch .LBB30_1270
.LBB30_1267:
	s_mov_b32 s0, -1
                                        ; implicit-def: $vgpr3
	s_branch .LBB30_1276
.LBB30_1268:
	s_mov_b32 s0, -1
                                        ; implicit-def: $vgpr3
	s_branch .LBB30_1273
.LBB30_1269:
	s_mov_b32 s0, -1
                                        ; implicit-def: $vgpr3
.LBB30_1270:
	s_delay_alu instid0(SALU_CYCLE_1)
	s_and_not1_b32 vcc_lo, exec_lo, s0
	s_cbranch_vccnz .LBB30_1272
; %bb.1271:
	global_load_b32 v3, v[1:2], off
	s_waitcnt vmcnt(0)
	v_cvt_f32_i32_e32 v3, v3
.LBB30_1272:
	s_mov_b32 s0, 0
.LBB30_1273:
	s_delay_alu instid0(SALU_CYCLE_1)
	s_and_not1_b32 vcc_lo, exec_lo, s0
	s_cbranch_vccnz .LBB30_1275
; %bb.1274:
	global_load_i16 v3, v[1:2], off
	s_waitcnt vmcnt(0)
	v_cvt_f32_i32_e32 v3, v3
.LBB30_1275:
	s_mov_b32 s0, 0
.LBB30_1276:
	s_delay_alu instid0(SALU_CYCLE_1)
	s_and_not1_b32 vcc_lo, exec_lo, s0
	s_cbranch_vccnz .LBB30_1282
; %bb.1277:
	v_cmp_lt_i16_e32 vcc_lo, 0, v6
	s_mov_b32 s0, 0
	s_cbranch_vccz .LBB30_1279
; %bb.1278:
	global_load_i8 v3, v[1:2], off
	s_waitcnt vmcnt(0)
	v_cvt_f32_i32_e32 v3, v3
	s_branch .LBB30_1280
.LBB30_1279:
	s_mov_b32 s0, -1
                                        ; implicit-def: $vgpr3
.LBB30_1280:
	s_delay_alu instid0(SALU_CYCLE_1)
	s_and_not1_b32 vcc_lo, exec_lo, s0
	s_cbranch_vccnz .LBB30_1282
; %bb.1281:
	global_load_u8 v1, v[1:2], off
	s_waitcnt vmcnt(0)
	v_cvt_f32_ubyte0_e32 v3, v1
.LBB30_1282:
	s_branch .LBB30_1355
.LBB30_1283:
	s_trap 2
	s_sendmsg_rtn_b32 s0, sendmsg(MSG_RTN_GET_DOORBELL)
	s_mov_b32 ttmp2, m0
	s_waitcnt lgkmcnt(0)
	s_and_b32 s0, s0, 0x3ff
	s_delay_alu instid0(SALU_CYCLE_1) | instskip(NEXT) | instid1(SALU_CYCLE_1)
	s_bitset1_b32 s0, 10
	s_mov_b32 m0, s0
	s_sendmsg sendmsg(MSG_INTERRUPT)
	s_mov_b32 m0, ttmp2
.LBB30_1284:                            ; =>This Inner Loop Header: Depth=1
	s_sethalt 5
	s_branch .LBB30_1284
.LBB30_1285:
	s_or_saveexec_b32 s17, s17
                                        ; implicit-def: $sgpr18
	s_delay_alu instid0(SALU_CYCLE_1)
	s_xor_b32 exec_lo, exec_lo, s17
	s_cbranch_execz .LBB30_1003
.LBB30_1286:
	v_add_f32_e64 v1, 0x42800000, |v0|
	s_and_not1_b32 s16, s16, exec_lo
	s_mov_b32 s18, 0
	s_delay_alu instid0(VALU_DEP_1) | instskip(NEXT) | instid1(VALU_DEP_1)
	v_and_b32_e32 v1, 0xff, v1
	v_cmp_ne_u32_e32 vcc_lo, 0, v1
	s_and_b32 s19, vcc_lo, exec_lo
	s_delay_alu instid0(SALU_CYCLE_1)
	s_or_b32 s16, s16, s19
	s_or_b32 exec_lo, exec_lo, s17
	v_mov_b32_e32 v4, s18
	s_and_saveexec_b32 s17, s16
	s_cbranch_execnz .LBB30_1004
	s_branch .LBB30_1005
.LBB30_1287:
	s_mov_b32 s0, -1
	s_mov_b32 s13, 0
.LBB30_1288:
                                        ; implicit-def: $vgpr3
.LBB30_1289:
	s_and_b32 vcc_lo, exec_lo, s14
	s_cbranch_vccz .LBB30_1293
; %bb.1290:
	v_cmp_eq_u16_e32 vcc_lo, 44, v6
	s_cbranch_vccz .LBB30_1292
; %bb.1291:
	global_load_u8 v3, v[1:2], off
	s_mov_b32 s0, 0
	s_mov_b32 s13, -1
	s_waitcnt vmcnt(0)
	v_lshlrev_b32_e32 v4, 23, v3
	v_cmp_ne_u32_e32 vcc_lo, 0xff, v3
	s_delay_alu instid0(VALU_DEP_2) | instskip(SKIP_1) | instid1(VALU_DEP_2)
	v_cndmask_b32_e32 v4, 0x7f800001, v4, vcc_lo
	v_cmp_ne_u32_e32 vcc_lo, 0, v3
	v_cndmask_b32_e32 v3, 0x400000, v4, vcc_lo
	s_branch .LBB30_1293
.LBB30_1292:
	s_mov_b32 s0, -1
                                        ; implicit-def: $vgpr3
.LBB30_1293:
	s_mov_b32 s14, 0
.LBB30_1294:
	s_delay_alu instid0(SALU_CYCLE_1)
	s_and_b32 vcc_lo, exec_lo, s14
	s_cbranch_vccz .LBB30_1298
; %bb.1295:
	v_cmp_eq_u16_e32 vcc_lo, 29, v6
	s_cbranch_vccz .LBB30_1297
; %bb.1296:
	global_load_b64 v[3:4], v[1:2], off
	s_mov_b32 s0, 0
	s_mov_b32 s13, -1
	s_mov_b32 s14, 0
	s_waitcnt vmcnt(0)
	v_clz_i32_u32_e32 v7, v4
	s_delay_alu instid0(VALU_DEP_1) | instskip(NEXT) | instid1(VALU_DEP_1)
	v_min_u32_e32 v7, 32, v7
	v_lshlrev_b64 v[3:4], v7, v[3:4]
	s_delay_alu instid0(VALU_DEP_1) | instskip(NEXT) | instid1(VALU_DEP_1)
	v_min_u32_e32 v3, 1, v3
	v_or_b32_e32 v3, v4, v3
	v_sub_nc_u32_e32 v4, 32, v7
	s_delay_alu instid0(VALU_DEP_2) | instskip(NEXT) | instid1(VALU_DEP_1)
	v_cvt_f32_u32_e32 v3, v3
	v_ldexp_f32 v3, v3, v4
	s_branch .LBB30_1299
.LBB30_1297:
	s_mov_b32 s0, -1
                                        ; implicit-def: $vgpr3
.LBB30_1298:
	s_mov_b32 s14, 0
.LBB30_1299:
	s_delay_alu instid0(SALU_CYCLE_1)
	s_and_b32 vcc_lo, exec_lo, s14
	s_cbranch_vccz .LBB30_1317
; %bb.1300:
	v_cmp_gt_i16_e32 vcc_lo, 27, v6
	s_cbranch_vccnz .LBB30_1303
; %bb.1301:
	v_cmp_lt_i16_e32 vcc_lo, 27, v6
	s_cbranch_vccz .LBB30_1304
; %bb.1302:
	global_load_b32 v3, v[1:2], off
	s_mov_b32 s13, 0
	s_waitcnt vmcnt(0)
	v_cvt_f32_u32_e32 v3, v3
	s_branch .LBB30_1305
.LBB30_1303:
	s_mov_b32 s13, -1
                                        ; implicit-def: $vgpr3
	s_branch .LBB30_1308
.LBB30_1304:
	s_mov_b32 s13, -1
                                        ; implicit-def: $vgpr3
.LBB30_1305:
	s_delay_alu instid0(SALU_CYCLE_1)
	s_and_not1_b32 vcc_lo, exec_lo, s13
	s_cbranch_vccnz .LBB30_1307
; %bb.1306:
	global_load_u16 v3, v[1:2], off
	s_waitcnt vmcnt(0)
	v_cvt_f32_u32_e32 v3, v3
.LBB30_1307:
	s_mov_b32 s13, 0
.LBB30_1308:
	s_delay_alu instid0(SALU_CYCLE_1)
	s_and_not1_b32 vcc_lo, exec_lo, s13
	s_cbranch_vccnz .LBB30_1316
; %bb.1309:
	global_load_u8 v4, v[1:2], off
	s_mov_b32 s13, 0
	s_mov_b32 s15, exec_lo
                                        ; implicit-def: $sgpr14
	s_waitcnt vmcnt(0)
	v_cmpx_lt_i16_e32 0x7f, v4
	s_xor_b32 s15, exec_lo, s15
	s_cbranch_execz .LBB30_1329
; %bb.1310:
	s_mov_b32 s13, -1
	s_mov_b32 s16, exec_lo
                                        ; implicit-def: $sgpr14
	v_cmpx_eq_u16_e32 0x80, v4
; %bb.1311:
	s_mov_b32 s14, 0x7f800001
	s_xor_b32 s13, exec_lo, -1
; %bb.1312:
	s_or_b32 exec_lo, exec_lo, s16
	s_delay_alu instid0(SALU_CYCLE_1)
	s_and_b32 s13, s13, exec_lo
	s_or_saveexec_b32 s15, s15
	v_mov_b32_e32 v3, s14
	s_xor_b32 exec_lo, exec_lo, s15
	s_cbranch_execnz .LBB30_1330
.LBB30_1313:
	s_or_b32 exec_lo, exec_lo, s15
	s_and_saveexec_b32 s14, s13
	s_cbranch_execz .LBB30_1315
.LBB30_1314:
	v_and_b32_e32 v3, 0xffff, v4
	s_delay_alu instid0(VALU_DEP_1) | instskip(NEXT) | instid1(VALU_DEP_1)
	v_and_b32_e32 v7, 7, v3
	v_clz_i32_u32_e32 v9, v7
	s_delay_alu instid0(VALU_DEP_1) | instskip(NEXT) | instid1(VALU_DEP_1)
	v_min_u32_e32 v9, 32, v9
	v_subrev_nc_u32_e32 v10, 28, v9
	v_sub_nc_u32_e32 v9, 29, v9
	s_delay_alu instid0(VALU_DEP_2) | instskip(SKIP_1) | instid1(VALU_DEP_1)
	v_lshlrev_b32_e32 v10, v10, v3
	v_bfe_u32 v3, v3, 3, 4
	v_cmp_eq_u32_e32 vcc_lo, 0, v3
	s_delay_alu instid0(VALU_DEP_3) | instskip(SKIP_1) | instid1(VALU_DEP_2)
	v_dual_cndmask_b32 v3, v3, v9 :: v_dual_and_b32 v10, 7, v10
	v_lshlrev_b32_e32 v4, 24, v4
	v_lshl_add_u32 v3, v3, 23, 0x3b800000
	s_delay_alu instid0(VALU_DEP_2) | instskip(NEXT) | instid1(VALU_DEP_1)
	v_dual_cndmask_b32 v7, v7, v10 :: v_dual_and_b32 v4, 0x80000000, v4
	v_lshlrev_b32_e32 v7, 20, v7
	s_delay_alu instid0(VALU_DEP_1)
	v_or3_b32 v3, v4, v3, v7
.LBB30_1315:
	s_or_b32 exec_lo, exec_lo, s14
.LBB30_1316:
	s_mov_b32 s13, -1
.LBB30_1317:
	s_branch .LBB30_1350
.LBB30_1318:
	v_cmp_lt_i16_e32 vcc_lo, 22, v6
	s_cbranch_vccz .LBB30_1328
; %bb.1319:
	v_cmp_gt_i16_e32 vcc_lo, 24, v6
	s_cbranch_vccnz .LBB30_1331
; %bb.1320:
	v_cmp_lt_i16_e32 vcc_lo, 24, v6
	s_cbranch_vccz .LBB30_1332
; %bb.1321:
	global_load_u8 v4, v[1:2], off
	s_mov_b32 s14, exec_lo
                                        ; implicit-def: $sgpr13
	s_waitcnt vmcnt(0)
	v_cmpx_lt_i16_e32 0x7f, v4
	s_xor_b32 s14, exec_lo, s14
	s_cbranch_execz .LBB30_1344
; %bb.1322:
	s_mov_b32 s1, -1
	s_mov_b32 s15, exec_lo
                                        ; implicit-def: $sgpr13
	v_cmpx_eq_u16_e32 0x80, v4
; %bb.1323:
	s_mov_b32 s13, 0x7f800001
	s_xor_b32 s1, exec_lo, -1
; %bb.1324:
	s_or_b32 exec_lo, exec_lo, s15
	s_delay_alu instid0(SALU_CYCLE_1)
	s_and_b32 s1, s1, exec_lo
	s_or_saveexec_b32 s14, s14
	v_mov_b32_e32 v3, s13
	s_xor_b32 exec_lo, exec_lo, s14
	s_cbranch_execnz .LBB30_1345
.LBB30_1325:
	s_or_b32 exec_lo, exec_lo, s14
	s_and_saveexec_b32 s13, s1
	s_cbranch_execz .LBB30_1327
.LBB30_1326:
	v_and_b32_e32 v3, 0xffff, v4
	s_delay_alu instid0(VALU_DEP_1) | instskip(NEXT) | instid1(VALU_DEP_1)
	v_and_b32_e32 v7, 3, v3
	v_clz_i32_u32_e32 v9, v7
	s_delay_alu instid0(VALU_DEP_1) | instskip(NEXT) | instid1(VALU_DEP_1)
	v_min_u32_e32 v9, 32, v9
	v_subrev_nc_u32_e32 v10, 29, v9
	v_sub_nc_u32_e32 v9, 30, v9
	s_delay_alu instid0(VALU_DEP_2) | instskip(SKIP_1) | instid1(VALU_DEP_1)
	v_lshlrev_b32_e32 v10, v10, v3
	v_bfe_u32 v3, v3, 2, 5
	v_cmp_eq_u32_e32 vcc_lo, 0, v3
	s_delay_alu instid0(VALU_DEP_3) | instskip(SKIP_1) | instid1(VALU_DEP_2)
	v_dual_cndmask_b32 v3, v3, v9 :: v_dual_and_b32 v10, 3, v10
	v_lshlrev_b32_e32 v4, 24, v4
	v_lshl_add_u32 v3, v3, 23, 0x37800000
	s_delay_alu instid0(VALU_DEP_2) | instskip(NEXT) | instid1(VALU_DEP_1)
	v_dual_cndmask_b32 v7, v7, v10 :: v_dual_and_b32 v4, 0x80000000, v4
	v_lshlrev_b32_e32 v7, 21, v7
	s_delay_alu instid0(VALU_DEP_1)
	v_or3_b32 v3, v4, v3, v7
.LBB30_1327:
	s_or_b32 exec_lo, exec_lo, s13
	s_mov_b32 s1, 0
	s_branch .LBB30_1333
.LBB30_1328:
	s_mov_b32 s1, -1
                                        ; implicit-def: $vgpr3
	s_branch .LBB30_1339
.LBB30_1329:
	s_or_saveexec_b32 s15, s15
	v_mov_b32_e32 v3, s14
	s_xor_b32 exec_lo, exec_lo, s15
	s_cbranch_execz .LBB30_1313
.LBB30_1330:
	v_cmp_ne_u16_e32 vcc_lo, 0, v4
	v_mov_b32_e32 v3, 0
	s_and_not1_b32 s13, s13, exec_lo
	s_and_b32 s14, vcc_lo, exec_lo
	s_delay_alu instid0(SALU_CYCLE_1)
	s_or_b32 s13, s13, s14
	s_or_b32 exec_lo, exec_lo, s15
	s_and_saveexec_b32 s14, s13
	s_cbranch_execnz .LBB30_1314
	s_branch .LBB30_1315
.LBB30_1331:
	s_mov_b32 s1, -1
                                        ; implicit-def: $vgpr3
	s_branch .LBB30_1336
.LBB30_1332:
	s_mov_b32 s1, -1
                                        ; implicit-def: $vgpr3
.LBB30_1333:
	s_delay_alu instid0(SALU_CYCLE_1)
	s_and_b32 vcc_lo, exec_lo, s1
	s_cbranch_vccz .LBB30_1335
; %bb.1334:
	global_load_u8 v3, v[1:2], off
	s_waitcnt vmcnt(0)
	v_lshlrev_b32_e32 v3, 24, v3
	s_delay_alu instid0(VALU_DEP_1) | instskip(NEXT) | instid1(VALU_DEP_1)
	v_and_b32_e32 v4, 0x7f000000, v3
	v_clz_i32_u32_e32 v7, v4
	v_cmp_ne_u32_e32 vcc_lo, 0, v4
	v_add_nc_u32_e32 v10, 0x1000000, v4
	s_delay_alu instid0(VALU_DEP_3) | instskip(NEXT) | instid1(VALU_DEP_1)
	v_min_u32_e32 v7, 32, v7
	v_sub_nc_u32_e64 v7, v7, 4 clamp
	s_delay_alu instid0(VALU_DEP_1) | instskip(SKIP_1) | instid1(VALU_DEP_2)
	v_lshlrev_b32_e32 v9, v7, v4
	v_lshlrev_b32_e32 v7, 23, v7
	v_lshrrev_b32_e32 v9, 4, v9
	s_delay_alu instid0(VALU_DEP_1) | instskip(SKIP_1) | instid1(VALU_DEP_2)
	v_sub_nc_u32_e32 v7, v9, v7
	v_ashrrev_i32_e32 v9, 8, v10
	v_add_nc_u32_e32 v7, 0x3c000000, v7
	s_delay_alu instid0(VALU_DEP_1) | instskip(NEXT) | instid1(VALU_DEP_1)
	v_and_or_b32 v7, 0x7f800000, v9, v7
	v_cndmask_b32_e32 v4, 0, v7, vcc_lo
	s_delay_alu instid0(VALU_DEP_1)
	v_and_or_b32 v3, 0x80000000, v3, v4
.LBB30_1335:
	s_mov_b32 s1, 0
.LBB30_1336:
	s_delay_alu instid0(SALU_CYCLE_1)
	s_and_not1_b32 vcc_lo, exec_lo, s1
	s_cbranch_vccnz .LBB30_1338
; %bb.1337:
	global_load_u8 v3, v[1:2], off
	s_waitcnt vmcnt(0)
	v_lshlrev_b32_e32 v4, 25, v3
	v_lshlrev_b16 v3, 8, v3
	s_delay_alu instid0(VALU_DEP_1) | instskip(SKIP_1) | instid1(VALU_DEP_2)
	v_and_or_b32 v9, 0x7f00, v3, 0.5
	v_bfe_i32 v3, v3, 0, 16
	v_add_f32_e32 v9, -0.5, v9
	v_lshrrev_b32_e32 v7, 4, v4
	v_cmp_gt_u32_e32 vcc_lo, 0x8000000, v4
	s_delay_alu instid0(VALU_DEP_2) | instskip(NEXT) | instid1(VALU_DEP_1)
	v_or_b32_e32 v7, 0x70000000, v7
	v_mul_f32_e32 v7, 0x7800000, v7
	s_delay_alu instid0(VALU_DEP_1) | instskip(NEXT) | instid1(VALU_DEP_1)
	v_cndmask_b32_e32 v4, v7, v9, vcc_lo
	v_and_or_b32 v3, 0x80000000, v3, v4
.LBB30_1338:
	s_mov_b32 s1, 0
	s_mov_b32 s13, -1
.LBB30_1339:
	s_and_not1_b32 vcc_lo, exec_lo, s1
	s_mov_b32 s1, 0
	s_cbranch_vccnz .LBB30_1350
; %bb.1340:
	v_cmp_lt_i16_e32 vcc_lo, 14, v6
	s_cbranch_vccz .LBB30_1343
; %bb.1341:
	v_cmp_eq_u16_e32 vcc_lo, 15, v6
	s_cbranch_vccz .LBB30_1346
; %bb.1342:
	global_load_u16 v3, v[1:2], off
	s_mov_b32 s0, 0
	s_mov_b32 s13, -1
	s_waitcnt vmcnt(0)
	v_lshlrev_b32_e32 v3, 16, v3
	s_branch .LBB30_1348
.LBB30_1343:
	s_mov_b32 s1, -1
	s_branch .LBB30_1347
.LBB30_1344:
	s_or_saveexec_b32 s14, s14
	v_mov_b32_e32 v3, s13
	s_xor_b32 exec_lo, exec_lo, s14
	s_cbranch_execz .LBB30_1325
.LBB30_1345:
	v_cmp_ne_u16_e32 vcc_lo, 0, v4
	v_mov_b32_e32 v3, 0
	s_and_not1_b32 s1, s1, exec_lo
	s_and_b32 s13, vcc_lo, exec_lo
	s_delay_alu instid0(SALU_CYCLE_1)
	s_or_b32 s1, s1, s13
	s_or_b32 exec_lo, exec_lo, s14
	s_and_saveexec_b32 s13, s1
	s_cbranch_execnz .LBB30_1326
	s_branch .LBB30_1327
.LBB30_1346:
	s_mov_b32 s0, -1
.LBB30_1347:
                                        ; implicit-def: $vgpr3
.LBB30_1348:
	s_and_b32 vcc_lo, exec_lo, s1
	s_mov_b32 s1, 0
	s_cbranch_vccz .LBB30_1350
; %bb.1349:
	v_cmp_ne_u16_e64 s0, 11, v6
	s_mov_b32 s1, -1
                                        ; implicit-def: $vgpr3
.LBB30_1350:
	s_delay_alu instid0(VALU_DEP_1)
	s_and_b32 vcc_lo, exec_lo, s0
	s_cbranch_vccnz .LBB30_1386
; %bb.1351:
	s_and_not1_b32 vcc_lo, exec_lo, s1
	s_cbranch_vccnz .LBB30_1353
.LBB30_1352:
	global_load_u8 v3, v[1:2], off
	s_mov_b32 s13, -1
	s_waitcnt vmcnt(0)
	v_cmp_ne_u16_e32 vcc_lo, 0, v3
	v_cndmask_b32_e64 v3, 0, 1.0, vcc_lo
.LBB30_1353:
.LBB30_1354:
	s_and_not1_b32 vcc_lo, exec_lo, s13
	s_cbranch_vccnz .LBB30_1736
.LBB30_1355:
	s_waitcnt vmcnt(0)
	s_delay_alu instid0(VALU_DEP_1) | instskip(SKIP_1) | instid1(VALU_DEP_1)
	v_trunc_f32_e32 v1, v3
	s_mov_b32 s13, exec_lo
	v_mul_f32_e64 v2, 0x2f800000, |v1|
	s_delay_alu instid0(VALU_DEP_1) | instskip(NEXT) | instid1(VALU_DEP_1)
	v_floor_f32_e32 v2, v2
	v_fma_f32 v4, 0xcf800000, v2, |v1|
	v_ashrrev_i32_e32 v1, 31, v1
	v_cvt_u32_f32_e32 v2, v2
	s_delay_alu instid0(VALU_DEP_3) | instskip(NEXT) | instid1(VALU_DEP_2)
	v_cvt_u32_f32_e32 v4, v4
	v_xor_b32_e32 v2, v2, v1
	s_delay_alu instid0(VALU_DEP_2) | instskip(NEXT) | instid1(VALU_DEP_1)
	v_xor_b32_e32 v4, v4, v1
	v_sub_co_u32 v7, vcc_lo, v4, v1
	s_delay_alu instid0(VALU_DEP_3) | instskip(SKIP_2) | instid1(VALU_DEP_3)
	v_sub_co_ci_u32_e32 v1, vcc_lo, v2, v1, vcc_lo
	v_cmp_class_f32_e64 vcc_lo, v3, 0x1f8
	v_mov_b32_e32 v2, 0
	v_dual_cndmask_b32 v4, -1, v1 :: v_dual_cndmask_b32 v3, -1, v7
	s_delay_alu instid0(VALU_DEP_1)
	v_cmpx_lt_i64_e32 -1, v[3:4]
	s_cbranch_execz .LBB30_1367
; %bb.1356:
	v_mov_b32_e32 v2, 1.0
	s_mov_b32 s14, exec_lo
	v_cmpx_lt_i64_e32 0, v[3:4]
	s_cbranch_execz .LBB30_1366
; %bb.1357:
                                        ; implicit-def: $vgpr2
	s_mov_b32 s0, exec_lo
	v_cmpx_ne_u64_e32 1, v[3:4]
	s_xor_b32 s15, exec_lo, s0
	s_cbranch_execz .LBB30_1363
; %bb.1358:
	v_mov_b32_e32 v2, 0x7fc00000
	s_mov_b32 s16, exec_lo
	v_cmpx_gt_u64_e32 0x81, v[3:4]
	s_cbranch_execz .LBB30_1362
; %bb.1359:
	v_add_f32_e64 v1, s8, s8
	v_lshlrev_b64 v[3:4], 1, v[3:4]
	v_mov_b32_e32 v7, 1.0
	s_mov_b64 s[0:1], 2
	s_mov_b32 s17, 0
	v_mov_b32_e32 v2, v1
	.p2align	6
.LBB30_1360:                            ; =>This Inner Loop Header: Depth=1
	s_clz_i32_u32 s18, s1
	s_delay_alu instid0(SALU_CYCLE_1) | instskip(NEXT) | instid1(SALU_CYCLE_1)
	s_min_u32 s20, s18, 32
	s_lshl_b64 s[18:19], s[0:1], s20
	s_delay_alu instid0(SALU_CYCLE_1) | instskip(NEXT) | instid1(SALU_CYCLE_1)
	s_min_u32 s18, s18, 1
	s_or_b32 s18, s19, s18
	s_delay_alu instid0(SALU_CYCLE_1) | instskip(SKIP_3) | instid1(SALU_CYCLE_1)
	v_cvt_f32_u32_e32 v9, s18
	s_sub_i32 s18, 32, s20
	s_add_u32 s0, s0, 2
	s_addc_u32 s1, s1, 0
	v_cmp_ge_u64_e32 vcc_lo, s[0:1], v[3:4]
	v_ldexp_f32 v9, v9, s18
	s_delay_alu instid0(VALU_DEP_1) | instskip(SKIP_2) | instid1(VALU_DEP_2)
	v_mul_f32_e32 v9, v7, v9
	v_mov_b32_e32 v7, v2
	s_or_b32 s17, vcc_lo, s17
	v_fma_f32 v2, v1, v2, -v9
	s_and_not1_b32 exec_lo, exec_lo, s17
	s_cbranch_execnz .LBB30_1360
; %bb.1361:
	s_or_b32 exec_lo, exec_lo, s17
.LBB30_1362:
	s_delay_alu instid0(SALU_CYCLE_1)
	s_or_b32 exec_lo, exec_lo, s16
.LBB30_1363:
	s_and_not1_saveexec_b32 s0, s15
; %bb.1364:
	v_add_f32_e64 v2, s8, s8
; %bb.1365:
	s_or_b32 exec_lo, exec_lo, s0
.LBB30_1366:
	s_delay_alu instid0(SALU_CYCLE_1)
	s_or_b32 exec_lo, exec_lo, s14
.LBB30_1367:
	s_delay_alu instid0(SALU_CYCLE_1) | instskip(SKIP_2) | instid1(VALU_DEP_2)
	s_or_b32 exec_lo, exec_lo, s13
	v_add_nc_u32_e32 v1, s3, v5
	v_cmp_gt_i16_e32 vcc_lo, 11, v6
	v_ashrrev_i32_e32 v4, 31, v1
	v_add_co_u32 v3, s0, s6, v1
	s_delay_alu instid0(VALU_DEP_1)
	v_add_co_ci_u32_e64 v4, s0, s7, v4, s0
	s_cbranch_vccnz .LBB30_1374
; %bb.1368:
	v_cmp_lt_i16_e32 vcc_lo, 25, v6
	s_mov_b32 s1, 0
	s_cbranch_vccz .LBB30_1380
; %bb.1369:
	v_cmp_lt_i16_e32 vcc_lo, 28, v6
	s_cbranch_vccz .LBB30_1382
; %bb.1370:
	v_cmp_lt_i16_e32 vcc_lo, 43, v6
	;; [unrolled: 3-line block ×3, first 2 shown]
	s_cbranch_vccz .LBB30_1388
; %bb.1372:
	v_cmp_eq_u16_e32 vcc_lo, 46, v6
	s_mov_b32 s14, 0
	s_cbranch_vccz .LBB30_1431
; %bb.1373:
	global_load_b32 v5, v[3:4], off
	s_mov_b32 s0, 0
	s_mov_b32 s13, -1
	s_waitcnt vmcnt(0)
	v_lshlrev_b32_e32 v5, 16, v5
	s_branch .LBB30_1433
.LBB30_1374:
	s_mov_b32 s13, 0
                                        ; implicit-def: $vgpr5
	s_cbranch_execz .LBB30_1499
; %bb.1375:
	v_cmp_gt_i16_e32 vcc_lo, 5, v6
	s_cbranch_vccnz .LBB30_1381
; %bb.1376:
	v_cmp_gt_i16_e32 vcc_lo, 8, v6
	s_cbranch_vccnz .LBB30_1383
	;; [unrolled: 3-line block ×3, first 2 shown]
; %bb.1378:
	v_cmp_lt_i16_e32 vcc_lo, 9, v6
	s_cbranch_vccz .LBB30_1389
; %bb.1379:
	global_load_b64 v[9:10], v[3:4], off
	s_mov_b32 s0, 0
	s_waitcnt vmcnt(0)
	v_cvt_f32_f64_e32 v5, v[9:10]
	s_branch .LBB30_1390
.LBB30_1380:
	s_mov_b32 s14, -1
	s_mov_b32 s13, 0
	s_mov_b32 s0, 0
                                        ; implicit-def: $vgpr5
	s_branch .LBB30_1462
.LBB30_1381:
	s_mov_b32 s0, -1
                                        ; implicit-def: $vgpr5
	s_branch .LBB30_1408
.LBB30_1382:
	s_mov_b32 s14, -1
	s_mov_b32 s13, 0
	s_mov_b32 s0, 0
                                        ; implicit-def: $vgpr5
	s_branch .LBB30_1443
.LBB30_1383:
	s_mov_b32 s0, -1
                                        ; implicit-def: $vgpr5
	s_branch .LBB30_1396
.LBB30_1384:
	s_mov_b32 s14, -1
	s_mov_b32 s13, 0
	s_mov_b32 s0, 0
                                        ; implicit-def: $vgpr5
	s_branch .LBB30_1438
.LBB30_1385:
	s_mov_b32 s0, -1
                                        ; implicit-def: $vgpr5
	s_branch .LBB30_1393
.LBB30_1386:
	s_cbranch_execnz .LBB30_1429
; %bb.1387:
	s_or_b32 s10, s10, exec_lo
                                        ; implicit-def: $vgpr3
	s_cbranch_execz .LBB30_1352
	s_branch .LBB30_1353
.LBB30_1388:
	s_mov_b32 s14, -1
	s_mov_b32 s13, 0
	s_mov_b32 s0, 0
	s_branch .LBB30_1432
.LBB30_1389:
	s_mov_b32 s0, -1
                                        ; implicit-def: $vgpr5
.LBB30_1390:
	s_delay_alu instid0(SALU_CYCLE_1)
	s_and_not1_b32 vcc_lo, exec_lo, s0
	s_cbranch_vccnz .LBB30_1392
; %bb.1391:
	global_load_b32 v5, v[3:4], off
.LBB30_1392:
	s_mov_b32 s0, 0
.LBB30_1393:
	s_delay_alu instid0(SALU_CYCLE_1)
	s_and_not1_b32 vcc_lo, exec_lo, s0
	s_cbranch_vccnz .LBB30_1395
; %bb.1394:
	global_load_b32 v5, v[3:4], off
	s_waitcnt vmcnt(0)
	v_cvt_f32_f16_e32 v5, v5
.LBB30_1395:
	s_mov_b32 s0, 0
.LBB30_1396:
	s_delay_alu instid0(SALU_CYCLE_1)
	s_and_not1_b32 vcc_lo, exec_lo, s0
	s_cbranch_vccnz .LBB30_1407
; %bb.1397:
	v_cmp_gt_i16_e32 vcc_lo, 6, v6
	s_cbranch_vccnz .LBB30_1400
; %bb.1398:
	v_cmp_lt_i16_e32 vcc_lo, 6, v6
	s_cbranch_vccz .LBB30_1401
; %bb.1399:
	global_load_b64 v[9:10], v[3:4], off
	s_mov_b32 s0, 0
	s_waitcnt vmcnt(0)
	v_cvt_f32_f64_e32 v5, v[9:10]
	s_branch .LBB30_1402
.LBB30_1400:
	s_mov_b32 s0, -1
                                        ; implicit-def: $vgpr5
	s_branch .LBB30_1405
.LBB30_1401:
	s_mov_b32 s0, -1
                                        ; implicit-def: $vgpr5
.LBB30_1402:
	s_delay_alu instid0(SALU_CYCLE_1)
	s_and_not1_b32 vcc_lo, exec_lo, s0
	s_cbranch_vccnz .LBB30_1404
; %bb.1403:
	global_load_b32 v5, v[3:4], off
.LBB30_1404:
	s_mov_b32 s0, 0
.LBB30_1405:
	s_delay_alu instid0(SALU_CYCLE_1)
	s_and_not1_b32 vcc_lo, exec_lo, s0
	s_cbranch_vccnz .LBB30_1407
; %bb.1406:
	global_load_u16 v5, v[3:4], off
	s_waitcnt vmcnt(0)
	v_cvt_f32_f16_e32 v5, v5
.LBB30_1407:
	s_mov_b32 s0, 0
.LBB30_1408:
	s_delay_alu instid0(SALU_CYCLE_1)
	s_and_not1_b32 vcc_lo, exec_lo, s0
	s_cbranch_vccnz .LBB30_1428
; %bb.1409:
	v_cmp_gt_i16_e32 vcc_lo, 2, v6
	s_cbranch_vccnz .LBB30_1413
; %bb.1410:
	v_cmp_gt_i16_e32 vcc_lo, 3, v6
	s_cbranch_vccnz .LBB30_1414
; %bb.1411:
	v_cmp_lt_i16_e32 vcc_lo, 3, v6
	s_cbranch_vccz .LBB30_1415
; %bb.1412:
	global_load_b64 v[9:10], v[3:4], off
	s_mov_b32 s0, 0
	s_waitcnt vmcnt(0)
	v_xor_b32_e32 v5, v9, v10
	v_cls_i32_e32 v7, v10
	s_delay_alu instid0(VALU_DEP_2) | instskip(NEXT) | instid1(VALU_DEP_2)
	v_ashrrev_i32_e32 v5, 31, v5
	v_add_nc_u32_e32 v7, -1, v7
	s_delay_alu instid0(VALU_DEP_2) | instskip(NEXT) | instid1(VALU_DEP_1)
	v_add_nc_u32_e32 v5, 32, v5
	v_min_u32_e32 v5, v7, v5
	s_delay_alu instid0(VALU_DEP_1) | instskip(SKIP_1) | instid1(VALU_DEP_2)
	v_lshlrev_b64 v[9:10], v5, v[9:10]
	v_sub_nc_u32_e32 v5, 32, v5
	v_min_u32_e32 v7, 1, v9
	s_delay_alu instid0(VALU_DEP_1) | instskip(NEXT) | instid1(VALU_DEP_1)
	v_or_b32_e32 v7, v10, v7
	v_cvt_f32_i32_e32 v7, v7
	s_delay_alu instid0(VALU_DEP_1)
	v_ldexp_f32 v5, v7, v5
	s_branch .LBB30_1416
.LBB30_1413:
	s_mov_b32 s0, -1
                                        ; implicit-def: $vgpr5
	s_branch .LBB30_1422
.LBB30_1414:
	s_mov_b32 s0, -1
                                        ; implicit-def: $vgpr5
	s_branch .LBB30_1419
.LBB30_1415:
	s_mov_b32 s0, -1
                                        ; implicit-def: $vgpr5
.LBB30_1416:
	s_delay_alu instid0(SALU_CYCLE_1)
	s_and_not1_b32 vcc_lo, exec_lo, s0
	s_cbranch_vccnz .LBB30_1418
; %bb.1417:
	global_load_b32 v5, v[3:4], off
	s_waitcnt vmcnt(0)
	v_cvt_f32_i32_e32 v5, v5
.LBB30_1418:
	s_mov_b32 s0, 0
.LBB30_1419:
	s_delay_alu instid0(SALU_CYCLE_1)
	s_and_not1_b32 vcc_lo, exec_lo, s0
	s_cbranch_vccnz .LBB30_1421
; %bb.1420:
	global_load_i16 v5, v[3:4], off
	s_waitcnt vmcnt(0)
	v_cvt_f32_i32_e32 v5, v5
.LBB30_1421:
	s_mov_b32 s0, 0
.LBB30_1422:
	s_delay_alu instid0(SALU_CYCLE_1)
	s_and_not1_b32 vcc_lo, exec_lo, s0
	s_cbranch_vccnz .LBB30_1428
; %bb.1423:
	v_cmp_lt_i16_e32 vcc_lo, 0, v6
	s_mov_b32 s0, 0
	s_cbranch_vccz .LBB30_1425
; %bb.1424:
	global_load_i8 v5, v[3:4], off
	s_waitcnt vmcnt(0)
	v_cvt_f32_i32_e32 v5, v5
	s_branch .LBB30_1426
.LBB30_1425:
	s_mov_b32 s0, -1
                                        ; implicit-def: $vgpr5
.LBB30_1426:
	s_delay_alu instid0(SALU_CYCLE_1)
	s_and_not1_b32 vcc_lo, exec_lo, s0
	s_cbranch_vccnz .LBB30_1428
; %bb.1427:
	global_load_u8 v3, v[3:4], off
	s_waitcnt vmcnt(0)
	v_cvt_f32_ubyte0_e32 v5, v3
.LBB30_1428:
	s_branch .LBB30_1500
.LBB30_1429:
	s_trap 2
	s_sendmsg_rtn_b32 s0, sendmsg(MSG_RTN_GET_DOORBELL)
	s_mov_b32 ttmp2, m0
	s_waitcnt lgkmcnt(0)
	s_and_b32 s0, s0, 0x3ff
	s_delay_alu instid0(SALU_CYCLE_1) | instskip(NEXT) | instid1(SALU_CYCLE_1)
	s_bitset1_b32 s0, 10
	s_mov_b32 m0, s0
	s_sendmsg sendmsg(MSG_INTERRUPT)
	s_mov_b32 m0, ttmp2
.LBB30_1430:                            ; =>This Inner Loop Header: Depth=1
	s_sethalt 5
	s_branch .LBB30_1430
.LBB30_1431:
	s_mov_b32 s0, -1
	s_mov_b32 s13, 0
.LBB30_1432:
                                        ; implicit-def: $vgpr5
.LBB30_1433:
	s_and_b32 vcc_lo, exec_lo, s14
	s_cbranch_vccz .LBB30_1437
; %bb.1434:
	v_cmp_eq_u16_e32 vcc_lo, 44, v6
	s_cbranch_vccz .LBB30_1436
; %bb.1435:
	global_load_u8 v5, v[3:4], off
	s_mov_b32 s0, 0
	s_mov_b32 s13, -1
	s_waitcnt vmcnt(0)
	v_lshlrev_b32_e32 v7, 23, v5
	v_cmp_ne_u32_e32 vcc_lo, 0xff, v5
	s_delay_alu instid0(VALU_DEP_2) | instskip(SKIP_1) | instid1(VALU_DEP_2)
	v_cndmask_b32_e32 v7, 0x7f800001, v7, vcc_lo
	v_cmp_ne_u32_e32 vcc_lo, 0, v5
	v_cndmask_b32_e32 v5, 0x400000, v7, vcc_lo
	s_branch .LBB30_1437
.LBB30_1436:
	s_mov_b32 s0, -1
                                        ; implicit-def: $vgpr5
.LBB30_1437:
	s_mov_b32 s14, 0
.LBB30_1438:
	s_delay_alu instid0(SALU_CYCLE_1)
	s_and_b32 vcc_lo, exec_lo, s14
	s_cbranch_vccz .LBB30_1442
; %bb.1439:
	v_cmp_eq_u16_e32 vcc_lo, 29, v6
	s_cbranch_vccz .LBB30_1441
; %bb.1440:
	global_load_b64 v[9:10], v[3:4], off
	s_mov_b32 s0, 0
	s_mov_b32 s13, -1
	s_mov_b32 s14, 0
	s_waitcnt vmcnt(0)
	v_clz_i32_u32_e32 v5, v10
	s_delay_alu instid0(VALU_DEP_1) | instskip(NEXT) | instid1(VALU_DEP_1)
	v_min_u32_e32 v5, 32, v5
	v_lshlrev_b64 v[9:10], v5, v[9:10]
	v_sub_nc_u32_e32 v5, 32, v5
	s_delay_alu instid0(VALU_DEP_2) | instskip(NEXT) | instid1(VALU_DEP_1)
	v_min_u32_e32 v7, 1, v9
	v_or_b32_e32 v7, v10, v7
	s_delay_alu instid0(VALU_DEP_1) | instskip(NEXT) | instid1(VALU_DEP_1)
	v_cvt_f32_u32_e32 v7, v7
	v_ldexp_f32 v5, v7, v5
	s_branch .LBB30_1443
.LBB30_1441:
	s_mov_b32 s0, -1
                                        ; implicit-def: $vgpr5
.LBB30_1442:
	s_mov_b32 s14, 0
.LBB30_1443:
	s_delay_alu instid0(SALU_CYCLE_1)
	s_and_b32 vcc_lo, exec_lo, s14
	s_cbranch_vccz .LBB30_1461
; %bb.1444:
	v_cmp_gt_i16_e32 vcc_lo, 27, v6
	s_cbranch_vccnz .LBB30_1447
; %bb.1445:
	v_cmp_lt_i16_e32 vcc_lo, 27, v6
	s_cbranch_vccz .LBB30_1448
; %bb.1446:
	global_load_b32 v5, v[3:4], off
	s_mov_b32 s13, 0
	s_waitcnt vmcnt(0)
	v_cvt_f32_u32_e32 v5, v5
	s_branch .LBB30_1449
.LBB30_1447:
	s_mov_b32 s13, -1
                                        ; implicit-def: $vgpr5
	s_branch .LBB30_1452
.LBB30_1448:
	s_mov_b32 s13, -1
                                        ; implicit-def: $vgpr5
.LBB30_1449:
	s_delay_alu instid0(SALU_CYCLE_1)
	s_and_not1_b32 vcc_lo, exec_lo, s13
	s_cbranch_vccnz .LBB30_1451
; %bb.1450:
	global_load_u16 v5, v[3:4], off
	s_waitcnt vmcnt(0)
	v_cvt_f32_u32_e32 v5, v5
.LBB30_1451:
	s_mov_b32 s13, 0
.LBB30_1452:
	s_delay_alu instid0(SALU_CYCLE_1)
	s_and_not1_b32 vcc_lo, exec_lo, s13
	s_cbranch_vccnz .LBB30_1460
; %bb.1453:
	global_load_u8 v7, v[3:4], off
	s_mov_b32 s13, 0
	s_mov_b32 s15, exec_lo
                                        ; implicit-def: $sgpr14
	s_waitcnt vmcnt(0)
	v_cmpx_lt_i16_e32 0x7f, v7
	s_xor_b32 s15, exec_lo, s15
	s_cbranch_execz .LBB30_1474
; %bb.1454:
	s_mov_b32 s13, -1
	s_mov_b32 s16, exec_lo
                                        ; implicit-def: $sgpr14
	v_cmpx_eq_u16_e32 0x80, v7
; %bb.1455:
	s_mov_b32 s14, 0x7f800001
	s_xor_b32 s13, exec_lo, -1
; %bb.1456:
	s_or_b32 exec_lo, exec_lo, s16
	s_delay_alu instid0(SALU_CYCLE_1)
	s_and_b32 s13, s13, exec_lo
	s_or_saveexec_b32 s15, s15
	v_mov_b32_e32 v5, s14
	s_xor_b32 exec_lo, exec_lo, s15
	s_cbranch_execnz .LBB30_1475
.LBB30_1457:
	s_or_b32 exec_lo, exec_lo, s15
	s_and_saveexec_b32 s14, s13
	s_cbranch_execz .LBB30_1459
.LBB30_1458:
	v_and_b32_e32 v5, 0xffff, v7
	v_lshlrev_b32_e32 v7, 24, v7
	s_delay_alu instid0(VALU_DEP_2) | instskip(NEXT) | instid1(VALU_DEP_2)
	v_and_b32_e32 v9, 7, v5
	v_and_b32_e32 v7, 0x80000000, v7
	s_delay_alu instid0(VALU_DEP_2) | instskip(NEXT) | instid1(VALU_DEP_1)
	v_clz_i32_u32_e32 v10, v9
	v_min_u32_e32 v10, 32, v10
	s_delay_alu instid0(VALU_DEP_1) | instskip(SKIP_1) | instid1(VALU_DEP_2)
	v_subrev_nc_u32_e32 v11, 28, v10
	v_sub_nc_u32_e32 v10, 29, v10
	v_lshlrev_b32_e32 v11, v11, v5
	v_bfe_u32 v5, v5, 3, 4
	s_delay_alu instid0(VALU_DEP_2) | instskip(NEXT) | instid1(VALU_DEP_2)
	v_and_b32_e32 v11, 7, v11
	v_cmp_eq_u32_e32 vcc_lo, 0, v5
	v_cndmask_b32_e32 v5, v5, v10, vcc_lo
	s_delay_alu instid0(VALU_DEP_3) | instskip(NEXT) | instid1(VALU_DEP_2)
	v_cndmask_b32_e32 v9, v9, v11, vcc_lo
	v_lshl_add_u32 v5, v5, 23, 0x3b800000
	s_delay_alu instid0(VALU_DEP_2) | instskip(NEXT) | instid1(VALU_DEP_1)
	v_lshlrev_b32_e32 v9, 20, v9
	v_or3_b32 v5, v7, v5, v9
.LBB30_1459:
	s_or_b32 exec_lo, exec_lo, s14
.LBB30_1460:
	s_mov_b32 s13, -1
.LBB30_1461:
	s_mov_b32 s14, 0
.LBB30_1462:
	s_delay_alu instid0(SALU_CYCLE_1)
	s_and_b32 vcc_lo, exec_lo, s14
	s_cbranch_vccz .LBB30_1495
; %bb.1463:
	v_cmp_lt_i16_e32 vcc_lo, 22, v6
	s_cbranch_vccz .LBB30_1473
; %bb.1464:
	v_cmp_gt_i16_e32 vcc_lo, 24, v6
	s_cbranch_vccnz .LBB30_1476
; %bb.1465:
	v_cmp_lt_i16_e32 vcc_lo, 24, v6
	s_cbranch_vccz .LBB30_1477
; %bb.1466:
	global_load_u8 v7, v[3:4], off
	s_mov_b32 s14, exec_lo
                                        ; implicit-def: $sgpr13
	s_waitcnt vmcnt(0)
	v_cmpx_lt_i16_e32 0x7f, v7
	s_xor_b32 s14, exec_lo, s14
	s_cbranch_execz .LBB30_1489
; %bb.1467:
	s_mov_b32 s1, -1
	s_mov_b32 s15, exec_lo
                                        ; implicit-def: $sgpr13
	v_cmpx_eq_u16_e32 0x80, v7
; %bb.1468:
	s_mov_b32 s13, 0x7f800001
	s_xor_b32 s1, exec_lo, -1
; %bb.1469:
	s_or_b32 exec_lo, exec_lo, s15
	s_delay_alu instid0(SALU_CYCLE_1)
	s_and_b32 s1, s1, exec_lo
	s_or_saveexec_b32 s14, s14
	v_mov_b32_e32 v5, s13
	s_xor_b32 exec_lo, exec_lo, s14
	s_cbranch_execnz .LBB30_1490
.LBB30_1470:
	s_or_b32 exec_lo, exec_lo, s14
	s_and_saveexec_b32 s13, s1
	s_cbranch_execz .LBB30_1472
.LBB30_1471:
	v_and_b32_e32 v5, 0xffff, v7
	v_lshlrev_b32_e32 v7, 24, v7
	s_delay_alu instid0(VALU_DEP_2) | instskip(NEXT) | instid1(VALU_DEP_2)
	v_and_b32_e32 v9, 3, v5
	v_and_b32_e32 v7, 0x80000000, v7
	s_delay_alu instid0(VALU_DEP_2) | instskip(NEXT) | instid1(VALU_DEP_1)
	v_clz_i32_u32_e32 v10, v9
	v_min_u32_e32 v10, 32, v10
	s_delay_alu instid0(VALU_DEP_1) | instskip(SKIP_1) | instid1(VALU_DEP_2)
	v_subrev_nc_u32_e32 v11, 29, v10
	v_sub_nc_u32_e32 v10, 30, v10
	v_lshlrev_b32_e32 v11, v11, v5
	v_bfe_u32 v5, v5, 2, 5
	s_delay_alu instid0(VALU_DEP_2) | instskip(NEXT) | instid1(VALU_DEP_2)
	v_and_b32_e32 v11, 3, v11
	v_cmp_eq_u32_e32 vcc_lo, 0, v5
	v_cndmask_b32_e32 v5, v5, v10, vcc_lo
	s_delay_alu instid0(VALU_DEP_3) | instskip(NEXT) | instid1(VALU_DEP_2)
	v_cndmask_b32_e32 v9, v9, v11, vcc_lo
	v_lshl_add_u32 v5, v5, 23, 0x37800000
	s_delay_alu instid0(VALU_DEP_2) | instskip(NEXT) | instid1(VALU_DEP_1)
	v_lshlrev_b32_e32 v9, 21, v9
	v_or3_b32 v5, v7, v5, v9
.LBB30_1472:
	s_or_b32 exec_lo, exec_lo, s13
	s_mov_b32 s1, 0
	s_branch .LBB30_1478
.LBB30_1473:
	s_mov_b32 s1, -1
                                        ; implicit-def: $vgpr5
	s_branch .LBB30_1484
.LBB30_1474:
	s_or_saveexec_b32 s15, s15
	v_mov_b32_e32 v5, s14
	s_xor_b32 exec_lo, exec_lo, s15
	s_cbranch_execz .LBB30_1457
.LBB30_1475:
	v_cmp_ne_u16_e32 vcc_lo, 0, v7
	v_mov_b32_e32 v5, 0
	s_and_not1_b32 s13, s13, exec_lo
	s_and_b32 s14, vcc_lo, exec_lo
	s_delay_alu instid0(SALU_CYCLE_1)
	s_or_b32 s13, s13, s14
	s_or_b32 exec_lo, exec_lo, s15
	s_and_saveexec_b32 s14, s13
	s_cbranch_execnz .LBB30_1458
	s_branch .LBB30_1459
.LBB30_1476:
	s_mov_b32 s1, -1
                                        ; implicit-def: $vgpr5
	s_branch .LBB30_1481
.LBB30_1477:
	s_mov_b32 s1, -1
                                        ; implicit-def: $vgpr5
.LBB30_1478:
	s_delay_alu instid0(SALU_CYCLE_1)
	s_and_b32 vcc_lo, exec_lo, s1
	s_cbranch_vccz .LBB30_1480
; %bb.1479:
	global_load_u8 v5, v[3:4], off
	s_waitcnt vmcnt(0)
	v_lshlrev_b32_e32 v5, 24, v5
	s_delay_alu instid0(VALU_DEP_1) | instskip(NEXT) | instid1(VALU_DEP_1)
	v_and_b32_e32 v7, 0x7f000000, v5
	v_clz_i32_u32_e32 v9, v7
	v_cmp_ne_u32_e32 vcc_lo, 0, v7
	v_add_nc_u32_e32 v11, 0x1000000, v7
	s_delay_alu instid0(VALU_DEP_3) | instskip(NEXT) | instid1(VALU_DEP_1)
	v_min_u32_e32 v9, 32, v9
	v_sub_nc_u32_e64 v9, v9, 4 clamp
	s_delay_alu instid0(VALU_DEP_1) | instskip(SKIP_1) | instid1(VALU_DEP_2)
	v_lshlrev_b32_e32 v10, v9, v7
	v_lshlrev_b32_e32 v9, 23, v9
	v_lshrrev_b32_e32 v10, 4, v10
	s_delay_alu instid0(VALU_DEP_1) | instskip(SKIP_1) | instid1(VALU_DEP_2)
	v_sub_nc_u32_e32 v9, v10, v9
	v_ashrrev_i32_e32 v10, 8, v11
	v_add_nc_u32_e32 v9, 0x3c000000, v9
	s_delay_alu instid0(VALU_DEP_1) | instskip(NEXT) | instid1(VALU_DEP_1)
	v_and_or_b32 v9, 0x7f800000, v10, v9
	v_cndmask_b32_e32 v7, 0, v9, vcc_lo
	s_delay_alu instid0(VALU_DEP_1)
	v_and_or_b32 v5, 0x80000000, v5, v7
.LBB30_1480:
	s_mov_b32 s1, 0
.LBB30_1481:
	s_delay_alu instid0(SALU_CYCLE_1)
	s_and_not1_b32 vcc_lo, exec_lo, s1
	s_cbranch_vccnz .LBB30_1483
; %bb.1482:
	global_load_u8 v5, v[3:4], off
	s_waitcnt vmcnt(0)
	v_lshlrev_b32_e32 v7, 25, v5
	v_lshlrev_b16 v5, 8, v5
	s_delay_alu instid0(VALU_DEP_1) | instskip(SKIP_1) | instid1(VALU_DEP_2)
	v_and_or_b32 v10, 0x7f00, v5, 0.5
	v_bfe_i32 v5, v5, 0, 16
	v_add_f32_e32 v10, -0.5, v10
	v_lshrrev_b32_e32 v9, 4, v7
	v_cmp_gt_u32_e32 vcc_lo, 0x8000000, v7
	s_delay_alu instid0(VALU_DEP_2) | instskip(NEXT) | instid1(VALU_DEP_1)
	v_or_b32_e32 v9, 0x70000000, v9
	v_mul_f32_e32 v9, 0x7800000, v9
	s_delay_alu instid0(VALU_DEP_1) | instskip(NEXT) | instid1(VALU_DEP_1)
	v_cndmask_b32_e32 v7, v9, v10, vcc_lo
	v_and_or_b32 v5, 0x80000000, v5, v7
.LBB30_1483:
	s_mov_b32 s1, 0
	s_mov_b32 s13, -1
.LBB30_1484:
	s_and_not1_b32 vcc_lo, exec_lo, s1
	s_mov_b32 s1, 0
	s_cbranch_vccnz .LBB30_1495
; %bb.1485:
	v_cmp_lt_i16_e32 vcc_lo, 14, v6
	s_cbranch_vccz .LBB30_1488
; %bb.1486:
	v_cmp_eq_u16_e32 vcc_lo, 15, v6
	s_cbranch_vccz .LBB30_1491
; %bb.1487:
	global_load_u16 v5, v[3:4], off
	s_mov_b32 s0, 0
	s_mov_b32 s13, -1
	s_waitcnt vmcnt(0)
	v_lshlrev_b32_e32 v5, 16, v5
	s_branch .LBB30_1493
.LBB30_1488:
	s_mov_b32 s1, -1
	s_branch .LBB30_1492
.LBB30_1489:
	s_or_saveexec_b32 s14, s14
	v_mov_b32_e32 v5, s13
	s_xor_b32 exec_lo, exec_lo, s14
	s_cbranch_execz .LBB30_1470
.LBB30_1490:
	v_cmp_ne_u16_e32 vcc_lo, 0, v7
	v_mov_b32_e32 v5, 0
	s_and_not1_b32 s1, s1, exec_lo
	s_and_b32 s13, vcc_lo, exec_lo
	s_delay_alu instid0(SALU_CYCLE_1)
	s_or_b32 s1, s1, s13
	s_or_b32 exec_lo, exec_lo, s14
	s_and_saveexec_b32 s13, s1
	s_cbranch_execnz .LBB30_1471
	s_branch .LBB30_1472
.LBB30_1491:
	s_mov_b32 s0, -1
.LBB30_1492:
                                        ; implicit-def: $vgpr5
.LBB30_1493:
	s_and_b32 vcc_lo, exec_lo, s1
	s_mov_b32 s1, 0
	s_cbranch_vccz .LBB30_1495
; %bb.1494:
	v_cmp_ne_u16_e64 s0, 11, v6
	s_mov_b32 s1, -1
                                        ; implicit-def: $vgpr5
.LBB30_1495:
	s_delay_alu instid0(VALU_DEP_1)
	s_and_b32 vcc_lo, exec_lo, s0
	s_cbranch_vccnz .LBB30_1523
; %bb.1496:
	s_and_not1_b32 vcc_lo, exec_lo, s1
	s_cbranch_vccnz .LBB30_1498
.LBB30_1497:
	global_load_u8 v5, v[3:4], off
	s_mov_b32 s13, -1
	s_waitcnt vmcnt(0)
	v_cmp_ne_u16_e32 vcc_lo, 0, v5
	v_cndmask_b32_e64 v5, 0, 1.0, vcc_lo
.LBB30_1498:
.LBB30_1499:
	s_and_not1_b32 vcc_lo, exec_lo, s13
	s_cbranch_vccnz .LBB30_1736
.LBB30_1500:
	s_waitcnt vmcnt(0)
	s_delay_alu instid0(VALU_DEP_1) | instskip(SKIP_1) | instid1(VALU_DEP_1)
	v_trunc_f32_e32 v3, v5
	s_mov_b32 s13, exec_lo
	v_mul_f32_e64 v4, 0x2f800000, |v3|
	s_delay_alu instid0(VALU_DEP_1) | instskip(NEXT) | instid1(VALU_DEP_1)
	v_floor_f32_e32 v4, v4
	v_fma_f32 v7, 0xcf800000, v4, |v3|
	v_ashrrev_i32_e32 v3, 31, v3
	v_cvt_u32_f32_e32 v4, v4
	s_delay_alu instid0(VALU_DEP_3) | instskip(NEXT) | instid1(VALU_DEP_2)
	v_cvt_u32_f32_e32 v7, v7
	v_xor_b32_e32 v4, v4, v3
	s_delay_alu instid0(VALU_DEP_2) | instskip(NEXT) | instid1(VALU_DEP_1)
	v_xor_b32_e32 v7, v7, v3
	v_sub_co_u32 v7, vcc_lo, v7, v3
	s_delay_alu instid0(VALU_DEP_3) | instskip(SKIP_1) | instid1(VALU_DEP_2)
	v_sub_co_ci_u32_e32 v3, vcc_lo, v4, v3, vcc_lo
	v_cmp_class_f32_e64 vcc_lo, v5, 0x1f8
	v_dual_mov_b32 v5, 0 :: v_dual_cndmask_b32 v4, -1, v3
	s_delay_alu instid0(VALU_DEP_4) | instskip(NEXT) | instid1(VALU_DEP_1)
	v_cndmask_b32_e32 v3, -1, v7, vcc_lo
	v_cmpx_lt_i64_e32 -1, v[3:4]
	s_cbranch_execz .LBB30_1512
; %bb.1501:
	v_mov_b32_e32 v5, 1.0
	s_mov_b32 s14, exec_lo
	v_cmpx_lt_i64_e32 0, v[3:4]
	s_cbranch_execz .LBB30_1511
; %bb.1502:
                                        ; implicit-def: $vgpr5
	s_mov_b32 s0, exec_lo
	v_cmpx_ne_u64_e32 1, v[3:4]
	s_xor_b32 s15, exec_lo, s0
	s_cbranch_execz .LBB30_1508
; %bb.1503:
	v_mov_b32_e32 v5, 0x7fc00000
	s_mov_b32 s16, exec_lo
	v_cmpx_gt_u64_e32 0x81, v[3:4]
	s_cbranch_execz .LBB30_1507
; %bb.1504:
	v_add_f32_e64 v7, s8, s8
	v_lshlrev_b64 v[3:4], 1, v[3:4]
	v_mov_b32_e32 v9, 1.0
	s_mov_b64 s[0:1], 2
	s_mov_b32 s17, 0
	v_mov_b32_e32 v5, v7
.LBB30_1505:                            ; =>This Inner Loop Header: Depth=1
	s_clz_i32_u32 s18, s1
	s_delay_alu instid0(SALU_CYCLE_1) | instskip(NEXT) | instid1(SALU_CYCLE_1)
	s_min_u32 s20, s18, 32
	s_lshl_b64 s[18:19], s[0:1], s20
	s_delay_alu instid0(SALU_CYCLE_1) | instskip(NEXT) | instid1(SALU_CYCLE_1)
	s_min_u32 s18, s18, 1
	s_or_b32 s18, s19, s18
	s_delay_alu instid0(SALU_CYCLE_1) | instskip(SKIP_3) | instid1(SALU_CYCLE_1)
	v_cvt_f32_u32_e32 v10, s18
	s_sub_i32 s18, 32, s20
	s_add_u32 s0, s0, 2
	s_addc_u32 s1, s1, 0
	v_cmp_ge_u64_e32 vcc_lo, s[0:1], v[3:4]
	v_ldexp_f32 v10, v10, s18
	s_delay_alu instid0(VALU_DEP_1) | instskip(SKIP_2) | instid1(VALU_DEP_2)
	v_mul_f32_e32 v10, v9, v10
	v_mov_b32_e32 v9, v5
	s_or_b32 s17, vcc_lo, s17
	v_fma_f32 v5, v7, v5, -v10
	s_and_not1_b32 exec_lo, exec_lo, s17
	s_cbranch_execnz .LBB30_1505
; %bb.1506:
	s_or_b32 exec_lo, exec_lo, s17
.LBB30_1507:
	s_delay_alu instid0(SALU_CYCLE_1)
	s_or_b32 exec_lo, exec_lo, s16
.LBB30_1508:
	s_and_not1_saveexec_b32 s0, s15
; %bb.1509:
	v_add_f32_e64 v5, s8, s8
; %bb.1510:
	s_or_b32 exec_lo, exec_lo, s0
.LBB30_1511:
	s_delay_alu instid0(SALU_CYCLE_1)
	s_or_b32 exec_lo, exec_lo, s14
.LBB30_1512:
	s_delay_alu instid0(SALU_CYCLE_1) | instskip(SKIP_2) | instid1(VALU_DEP_2)
	s_or_b32 exec_lo, exec_lo, s13
	v_add_nc_u32_e32 v1, s3, v1
	v_cmp_gt_i16_e32 vcc_lo, 11, v6
	v_ashrrev_i32_e32 v4, 31, v1
	v_add_co_u32 v3, s0, s6, v1
	s_delay_alu instid0(VALU_DEP_1)
	v_add_co_ci_u32_e64 v4, s0, s7, v4, s0
	s_cbranch_vccnz .LBB30_1519
; %bb.1513:
	v_cmp_lt_i16_e32 vcc_lo, 25, v6
	s_mov_b32 s1, 0
	s_cbranch_vccz .LBB30_1520
; %bb.1514:
	v_cmp_lt_i16_e32 vcc_lo, 28, v6
	s_cbranch_vccz .LBB30_1521
; %bb.1515:
	v_cmp_lt_i16_e32 vcc_lo, 43, v6
	;; [unrolled: 3-line block ×3, first 2 shown]
	s_cbranch_vccz .LBB30_1525
; %bb.1517:
	v_cmp_eq_u16_e32 vcc_lo, 46, v6
	s_mov_b32 s6, 0
	s_cbranch_vccz .LBB30_1528
; %bb.1518:
	global_load_b32 v1, v[3:4], off
	s_mov_b32 s0, 0
	s_mov_b32 s3, -1
	s_waitcnt vmcnt(0)
	v_lshlrev_b32_e32 v1, 16, v1
	s_branch .LBB30_1530
.LBB30_1519:
	s_mov_b32 s0, -1
	s_mov_b32 s3, 0
                                        ; implicit-def: $vgpr1
	s_branch .LBB30_1596
.LBB30_1520:
	s_mov_b32 s6, -1
	s_mov_b32 s3, 0
	s_mov_b32 s0, 0
                                        ; implicit-def: $vgpr1
	s_branch .LBB30_1559
.LBB30_1521:
	s_mov_b32 s6, -1
	s_mov_b32 s3, 0
	s_mov_b32 s0, 0
                                        ; implicit-def: $vgpr1
	s_branch .LBB30_1540
.LBB30_1522:
	s_mov_b32 s6, -1
	s_mov_b32 s3, 0
	s_mov_b32 s0, 0
                                        ; implicit-def: $vgpr1
	s_branch .LBB30_1535
.LBB30_1523:
	s_cbranch_execnz .LBB30_1526
; %bb.1524:
	s_or_b32 s10, s10, exec_lo
                                        ; implicit-def: $vgpr5
	s_cbranch_execz .LBB30_1497
	s_branch .LBB30_1498
.LBB30_1525:
	s_mov_b32 s6, -1
	s_mov_b32 s3, 0
	s_mov_b32 s0, 0
	s_branch .LBB30_1529
.LBB30_1526:
	s_trap 2
	s_sendmsg_rtn_b32 s0, sendmsg(MSG_RTN_GET_DOORBELL)
	s_mov_b32 ttmp2, m0
	s_waitcnt lgkmcnt(0)
	s_and_b32 s0, s0, 0x3ff
	s_delay_alu instid0(SALU_CYCLE_1) | instskip(NEXT) | instid1(SALU_CYCLE_1)
	s_bitset1_b32 s0, 10
	s_mov_b32 m0, s0
	s_sendmsg sendmsg(MSG_INTERRUPT)
	s_mov_b32 m0, ttmp2
.LBB30_1527:                            ; =>This Inner Loop Header: Depth=1
	s_sethalt 5
	s_branch .LBB30_1527
.LBB30_1528:
	s_mov_b32 s0, -1
	s_mov_b32 s3, 0
.LBB30_1529:
                                        ; implicit-def: $vgpr1
.LBB30_1530:
	s_and_b32 vcc_lo, exec_lo, s6
	s_cbranch_vccz .LBB30_1534
; %bb.1531:
	v_cmp_eq_u16_e32 vcc_lo, 44, v6
	s_cbranch_vccz .LBB30_1533
; %bb.1532:
	global_load_u8 v1, v[3:4], off
	s_mov_b32 s0, 0
	s_mov_b32 s3, -1
	s_waitcnt vmcnt(0)
	v_lshlrev_b32_e32 v7, 23, v1
	v_cmp_ne_u32_e32 vcc_lo, 0xff, v1
	s_delay_alu instid0(VALU_DEP_2) | instskip(SKIP_1) | instid1(VALU_DEP_2)
	v_cndmask_b32_e32 v7, 0x7f800001, v7, vcc_lo
	v_cmp_ne_u32_e32 vcc_lo, 0, v1
	v_cndmask_b32_e32 v1, 0x400000, v7, vcc_lo
	s_branch .LBB30_1534
.LBB30_1533:
	s_mov_b32 s0, -1
                                        ; implicit-def: $vgpr1
.LBB30_1534:
	s_mov_b32 s6, 0
.LBB30_1535:
	s_delay_alu instid0(SALU_CYCLE_1)
	s_and_b32 vcc_lo, exec_lo, s6
	s_cbranch_vccz .LBB30_1539
; %bb.1536:
	v_cmp_eq_u16_e32 vcc_lo, 29, v6
	s_cbranch_vccz .LBB30_1538
; %bb.1537:
	global_load_b64 v[9:10], v[3:4], off
	s_mov_b32 s0, 0
	s_mov_b32 s3, -1
	s_mov_b32 s6, 0
	s_waitcnt vmcnt(0)
	v_clz_i32_u32_e32 v1, v10
	s_delay_alu instid0(VALU_DEP_1) | instskip(NEXT) | instid1(VALU_DEP_1)
	v_min_u32_e32 v1, 32, v1
	v_lshlrev_b64 v[9:10], v1, v[9:10]
	v_sub_nc_u32_e32 v1, 32, v1
	s_delay_alu instid0(VALU_DEP_2) | instskip(NEXT) | instid1(VALU_DEP_1)
	v_min_u32_e32 v7, 1, v9
	v_or_b32_e32 v7, v10, v7
	s_delay_alu instid0(VALU_DEP_1) | instskip(NEXT) | instid1(VALU_DEP_1)
	v_cvt_f32_u32_e32 v7, v7
	v_ldexp_f32 v1, v7, v1
	s_branch .LBB30_1540
.LBB30_1538:
	s_mov_b32 s0, -1
                                        ; implicit-def: $vgpr1
.LBB30_1539:
	s_mov_b32 s6, 0
.LBB30_1540:
	s_delay_alu instid0(SALU_CYCLE_1)
	s_and_b32 vcc_lo, exec_lo, s6
	s_cbranch_vccz .LBB30_1558
; %bb.1541:
	v_cmp_gt_i16_e32 vcc_lo, 27, v6
	s_cbranch_vccnz .LBB30_1544
; %bb.1542:
	v_cmp_lt_i16_e32 vcc_lo, 27, v6
	s_cbranch_vccz .LBB30_1545
; %bb.1543:
	global_load_b32 v1, v[3:4], off
	s_mov_b32 s3, 0
	s_waitcnt vmcnt(0)
	v_cvt_f32_u32_e32 v1, v1
	s_branch .LBB30_1546
.LBB30_1544:
	s_mov_b32 s3, -1
                                        ; implicit-def: $vgpr1
	s_branch .LBB30_1549
.LBB30_1545:
	s_mov_b32 s3, -1
                                        ; implicit-def: $vgpr1
.LBB30_1546:
	s_delay_alu instid0(SALU_CYCLE_1)
	s_and_not1_b32 vcc_lo, exec_lo, s3
	s_cbranch_vccnz .LBB30_1548
; %bb.1547:
	global_load_u16 v1, v[3:4], off
	s_waitcnt vmcnt(0)
	v_cvt_f32_u32_e32 v1, v1
.LBB30_1548:
	s_mov_b32 s3, 0
.LBB30_1549:
	s_delay_alu instid0(SALU_CYCLE_1)
	s_and_not1_b32 vcc_lo, exec_lo, s3
	s_cbranch_vccnz .LBB30_1557
; %bb.1550:
	global_load_u8 v7, v[3:4], off
	s_mov_b32 s3, 0
	s_mov_b32 s7, exec_lo
                                        ; implicit-def: $sgpr6
	s_waitcnt vmcnt(0)
	v_cmpx_lt_i16_e32 0x7f, v7
	s_xor_b32 s7, exec_lo, s7
	s_cbranch_execz .LBB30_1571
; %bb.1551:
	s_mov_b32 s3, -1
	s_mov_b32 s13, exec_lo
                                        ; implicit-def: $sgpr6
	v_cmpx_eq_u16_e32 0x80, v7
; %bb.1552:
	s_mov_b32 s6, 0x7f800001
	s_xor_b32 s3, exec_lo, -1
; %bb.1553:
	s_or_b32 exec_lo, exec_lo, s13
	s_delay_alu instid0(SALU_CYCLE_1)
	s_and_b32 s3, s3, exec_lo
	s_or_saveexec_b32 s7, s7
	v_mov_b32_e32 v1, s6
	s_xor_b32 exec_lo, exec_lo, s7
	s_cbranch_execnz .LBB30_1572
.LBB30_1554:
	s_or_b32 exec_lo, exec_lo, s7
	s_and_saveexec_b32 s6, s3
	s_cbranch_execz .LBB30_1556
.LBB30_1555:
	v_and_b32_e32 v1, 0xffff, v7
	v_lshlrev_b32_e32 v7, 24, v7
	s_delay_alu instid0(VALU_DEP_2) | instskip(NEXT) | instid1(VALU_DEP_2)
	v_and_b32_e32 v9, 7, v1
	v_and_b32_e32 v7, 0x80000000, v7
	s_delay_alu instid0(VALU_DEP_2) | instskip(NEXT) | instid1(VALU_DEP_1)
	v_clz_i32_u32_e32 v10, v9
	v_min_u32_e32 v10, 32, v10
	s_delay_alu instid0(VALU_DEP_1) | instskip(SKIP_1) | instid1(VALU_DEP_2)
	v_subrev_nc_u32_e32 v11, 28, v10
	v_sub_nc_u32_e32 v10, 29, v10
	v_lshlrev_b32_e32 v11, v11, v1
	v_bfe_u32 v1, v1, 3, 4
	s_delay_alu instid0(VALU_DEP_2) | instskip(NEXT) | instid1(VALU_DEP_2)
	v_and_b32_e32 v11, 7, v11
	v_cmp_eq_u32_e32 vcc_lo, 0, v1
	v_cndmask_b32_e32 v1, v1, v10, vcc_lo
	s_delay_alu instid0(VALU_DEP_3) | instskip(NEXT) | instid1(VALU_DEP_2)
	v_cndmask_b32_e32 v9, v9, v11, vcc_lo
	v_lshl_add_u32 v1, v1, 23, 0x3b800000
	s_delay_alu instid0(VALU_DEP_2) | instskip(NEXT) | instid1(VALU_DEP_1)
	v_lshlrev_b32_e32 v9, 20, v9
	v_or3_b32 v1, v7, v1, v9
.LBB30_1556:
	s_or_b32 exec_lo, exec_lo, s6
.LBB30_1557:
	s_mov_b32 s3, -1
.LBB30_1558:
	s_mov_b32 s6, 0
.LBB30_1559:
	s_delay_alu instid0(SALU_CYCLE_1)
	s_and_b32 vcc_lo, exec_lo, s6
	s_cbranch_vccz .LBB30_1592
; %bb.1560:
	v_cmp_lt_i16_e32 vcc_lo, 22, v6
	s_cbranch_vccz .LBB30_1570
; %bb.1561:
	v_cmp_gt_i16_e32 vcc_lo, 24, v6
	s_cbranch_vccnz .LBB30_1573
; %bb.1562:
	v_cmp_lt_i16_e32 vcc_lo, 24, v6
	s_cbranch_vccz .LBB30_1574
; %bb.1563:
	global_load_u8 v7, v[3:4], off
	s_mov_b32 s6, exec_lo
                                        ; implicit-def: $sgpr3
	s_waitcnt vmcnt(0)
	v_cmpx_lt_i16_e32 0x7f, v7
	s_xor_b32 s6, exec_lo, s6
	s_cbranch_execz .LBB30_1586
; %bb.1564:
	s_mov_b32 s1, -1
	s_mov_b32 s7, exec_lo
                                        ; implicit-def: $sgpr3
	v_cmpx_eq_u16_e32 0x80, v7
; %bb.1565:
	s_mov_b32 s3, 0x7f800001
	s_xor_b32 s1, exec_lo, -1
; %bb.1566:
	s_or_b32 exec_lo, exec_lo, s7
	s_delay_alu instid0(SALU_CYCLE_1)
	s_and_b32 s1, s1, exec_lo
	s_or_saveexec_b32 s6, s6
	v_mov_b32_e32 v1, s3
	s_xor_b32 exec_lo, exec_lo, s6
	s_cbranch_execnz .LBB30_1587
.LBB30_1567:
	s_or_b32 exec_lo, exec_lo, s6
	s_and_saveexec_b32 s3, s1
	s_cbranch_execz .LBB30_1569
.LBB30_1568:
	v_and_b32_e32 v1, 0xffff, v7
	v_lshlrev_b32_e32 v7, 24, v7
	s_delay_alu instid0(VALU_DEP_2) | instskip(NEXT) | instid1(VALU_DEP_2)
	v_and_b32_e32 v9, 3, v1
	v_and_b32_e32 v7, 0x80000000, v7
	s_delay_alu instid0(VALU_DEP_2) | instskip(NEXT) | instid1(VALU_DEP_1)
	v_clz_i32_u32_e32 v10, v9
	v_min_u32_e32 v10, 32, v10
	s_delay_alu instid0(VALU_DEP_1) | instskip(SKIP_1) | instid1(VALU_DEP_2)
	v_subrev_nc_u32_e32 v11, 29, v10
	v_sub_nc_u32_e32 v10, 30, v10
	v_lshlrev_b32_e32 v11, v11, v1
	v_bfe_u32 v1, v1, 2, 5
	s_delay_alu instid0(VALU_DEP_2) | instskip(NEXT) | instid1(VALU_DEP_2)
	v_and_b32_e32 v11, 3, v11
	v_cmp_eq_u32_e32 vcc_lo, 0, v1
	v_cndmask_b32_e32 v1, v1, v10, vcc_lo
	s_delay_alu instid0(VALU_DEP_3) | instskip(NEXT) | instid1(VALU_DEP_2)
	v_cndmask_b32_e32 v9, v9, v11, vcc_lo
	v_lshl_add_u32 v1, v1, 23, 0x37800000
	s_delay_alu instid0(VALU_DEP_2) | instskip(NEXT) | instid1(VALU_DEP_1)
	v_lshlrev_b32_e32 v9, 21, v9
	v_or3_b32 v1, v7, v1, v9
.LBB30_1569:
	s_or_b32 exec_lo, exec_lo, s3
	s_mov_b32 s1, 0
	s_branch .LBB30_1575
.LBB30_1570:
	s_mov_b32 s1, -1
                                        ; implicit-def: $vgpr1
	s_branch .LBB30_1581
.LBB30_1571:
	s_or_saveexec_b32 s7, s7
	v_mov_b32_e32 v1, s6
	s_xor_b32 exec_lo, exec_lo, s7
	s_cbranch_execz .LBB30_1554
.LBB30_1572:
	v_cmp_ne_u16_e32 vcc_lo, 0, v7
	v_mov_b32_e32 v1, 0
	s_and_not1_b32 s3, s3, exec_lo
	s_and_b32 s6, vcc_lo, exec_lo
	s_delay_alu instid0(SALU_CYCLE_1)
	s_or_b32 s3, s3, s6
	s_or_b32 exec_lo, exec_lo, s7
	s_and_saveexec_b32 s6, s3
	s_cbranch_execnz .LBB30_1555
	s_branch .LBB30_1556
.LBB30_1573:
	s_mov_b32 s1, -1
                                        ; implicit-def: $vgpr1
	s_branch .LBB30_1578
.LBB30_1574:
	s_mov_b32 s1, -1
                                        ; implicit-def: $vgpr1
.LBB30_1575:
	s_delay_alu instid0(SALU_CYCLE_1)
	s_and_b32 vcc_lo, exec_lo, s1
	s_cbranch_vccz .LBB30_1577
; %bb.1576:
	global_load_u8 v1, v[3:4], off
	s_waitcnt vmcnt(0)
	v_lshlrev_b32_e32 v1, 24, v1
	s_delay_alu instid0(VALU_DEP_1) | instskip(NEXT) | instid1(VALU_DEP_1)
	v_and_b32_e32 v7, 0x7f000000, v1
	v_clz_i32_u32_e32 v9, v7
	v_cmp_ne_u32_e32 vcc_lo, 0, v7
	v_add_nc_u32_e32 v11, 0x1000000, v7
	s_delay_alu instid0(VALU_DEP_3) | instskip(NEXT) | instid1(VALU_DEP_1)
	v_min_u32_e32 v9, 32, v9
	v_sub_nc_u32_e64 v9, v9, 4 clamp
	s_delay_alu instid0(VALU_DEP_1) | instskip(SKIP_1) | instid1(VALU_DEP_2)
	v_lshlrev_b32_e32 v10, v9, v7
	v_lshlrev_b32_e32 v9, 23, v9
	v_lshrrev_b32_e32 v10, 4, v10
	s_delay_alu instid0(VALU_DEP_1) | instskip(SKIP_1) | instid1(VALU_DEP_2)
	v_sub_nc_u32_e32 v9, v10, v9
	v_ashrrev_i32_e32 v10, 8, v11
	v_add_nc_u32_e32 v9, 0x3c000000, v9
	s_delay_alu instid0(VALU_DEP_1) | instskip(NEXT) | instid1(VALU_DEP_1)
	v_and_or_b32 v9, 0x7f800000, v10, v9
	v_cndmask_b32_e32 v7, 0, v9, vcc_lo
	s_delay_alu instid0(VALU_DEP_1)
	v_and_or_b32 v1, 0x80000000, v1, v7
.LBB30_1577:
	s_mov_b32 s1, 0
.LBB30_1578:
	s_delay_alu instid0(SALU_CYCLE_1)
	s_and_not1_b32 vcc_lo, exec_lo, s1
	s_cbranch_vccnz .LBB30_1580
; %bb.1579:
	global_load_u8 v1, v[3:4], off
	s_waitcnt vmcnt(0)
	v_lshlrev_b32_e32 v7, 25, v1
	v_lshlrev_b16 v1, 8, v1
	s_delay_alu instid0(VALU_DEP_1) | instskip(SKIP_1) | instid1(VALU_DEP_2)
	v_and_or_b32 v10, 0x7f00, v1, 0.5
	v_bfe_i32 v1, v1, 0, 16
	v_add_f32_e32 v10, -0.5, v10
	v_lshrrev_b32_e32 v9, 4, v7
	v_cmp_gt_u32_e32 vcc_lo, 0x8000000, v7
	s_delay_alu instid0(VALU_DEP_2) | instskip(NEXT) | instid1(VALU_DEP_1)
	v_or_b32_e32 v9, 0x70000000, v9
	v_mul_f32_e32 v9, 0x7800000, v9
	s_delay_alu instid0(VALU_DEP_1) | instskip(NEXT) | instid1(VALU_DEP_1)
	v_cndmask_b32_e32 v7, v9, v10, vcc_lo
	v_and_or_b32 v1, 0x80000000, v1, v7
.LBB30_1580:
	s_mov_b32 s1, 0
	s_mov_b32 s3, -1
.LBB30_1581:
	s_and_not1_b32 vcc_lo, exec_lo, s1
	s_mov_b32 s1, 0
	s_cbranch_vccnz .LBB30_1592
; %bb.1582:
	v_cmp_lt_i16_e32 vcc_lo, 14, v6
	s_cbranch_vccz .LBB30_1585
; %bb.1583:
	v_cmp_eq_u16_e32 vcc_lo, 15, v6
	s_cbranch_vccz .LBB30_1588
; %bb.1584:
	global_load_u16 v1, v[3:4], off
	s_mov_b32 s0, 0
	s_mov_b32 s3, -1
	s_waitcnt vmcnt(0)
	v_lshlrev_b32_e32 v1, 16, v1
	s_branch .LBB30_1590
.LBB30_1585:
	s_mov_b32 s1, -1
	s_branch .LBB30_1589
.LBB30_1586:
	s_or_saveexec_b32 s6, s6
	v_mov_b32_e32 v1, s3
	s_xor_b32 exec_lo, exec_lo, s6
	s_cbranch_execz .LBB30_1567
.LBB30_1587:
	v_cmp_ne_u16_e32 vcc_lo, 0, v7
	v_mov_b32_e32 v1, 0
	s_and_not1_b32 s1, s1, exec_lo
	s_and_b32 s3, vcc_lo, exec_lo
	s_delay_alu instid0(SALU_CYCLE_1)
	s_or_b32 s1, s1, s3
	s_or_b32 exec_lo, exec_lo, s6
	s_and_saveexec_b32 s3, s1
	s_cbranch_execnz .LBB30_1568
	s_branch .LBB30_1569
.LBB30_1588:
	s_mov_b32 s0, -1
.LBB30_1589:
                                        ; implicit-def: $vgpr1
.LBB30_1590:
	s_and_b32 vcc_lo, exec_lo, s1
	s_mov_b32 s1, 0
	s_cbranch_vccz .LBB30_1592
; %bb.1591:
	v_cmp_ne_u16_e64 s0, 11, v6
	s_mov_b32 s1, -1
                                        ; implicit-def: $vgpr1
.LBB30_1592:
	s_delay_alu instid0(VALU_DEP_1)
	s_and_b32 vcc_lo, exec_lo, s0
	s_cbranch_vccnz .LBB30_2138
; %bb.1593:
	s_and_not1_b32 vcc_lo, exec_lo, s1
	s_cbranch_vccnz .LBB30_1595
.LBB30_1594:
	global_load_u8 v1, v[3:4], off
	s_mov_b32 s3, -1
	s_waitcnt vmcnt(0)
	v_cmp_ne_u16_e32 vcc_lo, 0, v1
	v_cndmask_b32_e64 v1, 0, 1.0, vcc_lo
.LBB30_1595:
	s_mov_b32 s0, 0
.LBB30_1596:
	s_delay_alu instid0(SALU_CYCLE_1)
	s_and_b32 vcc_lo, exec_lo, s0
	s_cbranch_vccz .LBB30_1645
; %bb.1597:
	v_cmp_gt_i16_e32 vcc_lo, 5, v6
	s_cbranch_vccnz .LBB30_1602
; %bb.1598:
	v_cmp_gt_i16_e32 vcc_lo, 8, v6
	s_cbranch_vccnz .LBB30_1603
	;; [unrolled: 3-line block ×3, first 2 shown]
; %bb.1600:
	v_cmp_lt_i16_e32 vcc_lo, 9, v6
	s_cbranch_vccz .LBB30_1605
; %bb.1601:
	global_load_b64 v[9:10], v[3:4], off
	s_mov_b32 s0, 0
	s_waitcnt vmcnt(0)
	v_cvt_f32_f64_e32 v1, v[9:10]
	s_branch .LBB30_1606
.LBB30_1602:
	s_mov_b32 s0, -1
                                        ; implicit-def: $vgpr1
	s_branch .LBB30_1624
.LBB30_1603:
	s_mov_b32 s0, -1
                                        ; implicit-def: $vgpr1
	s_branch .LBB30_1612
.LBB30_1604:
	s_mov_b32 s0, -1
                                        ; implicit-def: $vgpr1
	s_branch .LBB30_1609
.LBB30_1605:
	s_mov_b32 s0, -1
                                        ; implicit-def: $vgpr1
.LBB30_1606:
	s_delay_alu instid0(SALU_CYCLE_1)
	s_and_not1_b32 vcc_lo, exec_lo, s0
	s_cbranch_vccnz .LBB30_1608
; %bb.1607:
	global_load_b32 v1, v[3:4], off
.LBB30_1608:
	s_mov_b32 s0, 0
.LBB30_1609:
	s_delay_alu instid0(SALU_CYCLE_1)
	s_and_not1_b32 vcc_lo, exec_lo, s0
	s_cbranch_vccnz .LBB30_1611
; %bb.1610:
	global_load_b32 v1, v[3:4], off
	s_waitcnt vmcnt(0)
	v_cvt_f32_f16_e32 v1, v1
.LBB30_1611:
	s_mov_b32 s0, 0
.LBB30_1612:
	s_delay_alu instid0(SALU_CYCLE_1)
	s_and_not1_b32 vcc_lo, exec_lo, s0
	s_cbranch_vccnz .LBB30_1623
; %bb.1613:
	v_cmp_gt_i16_e32 vcc_lo, 6, v6
	s_cbranch_vccnz .LBB30_1616
; %bb.1614:
	v_cmp_lt_i16_e32 vcc_lo, 6, v6
	s_cbranch_vccz .LBB30_1617
; %bb.1615:
	global_load_b64 v[9:10], v[3:4], off
	s_mov_b32 s0, 0
	s_waitcnt vmcnt(0)
	v_cvt_f32_f64_e32 v1, v[9:10]
	s_branch .LBB30_1618
.LBB30_1616:
	s_mov_b32 s0, -1
                                        ; implicit-def: $vgpr1
	s_branch .LBB30_1621
.LBB30_1617:
	s_mov_b32 s0, -1
                                        ; implicit-def: $vgpr1
.LBB30_1618:
	s_delay_alu instid0(SALU_CYCLE_1)
	s_and_not1_b32 vcc_lo, exec_lo, s0
	s_cbranch_vccnz .LBB30_1620
; %bb.1619:
	global_load_b32 v1, v[3:4], off
.LBB30_1620:
	s_mov_b32 s0, 0
.LBB30_1621:
	s_delay_alu instid0(SALU_CYCLE_1)
	s_and_not1_b32 vcc_lo, exec_lo, s0
	s_cbranch_vccnz .LBB30_1623
; %bb.1622:
	global_load_u16 v1, v[3:4], off
	s_waitcnt vmcnt(0)
	v_cvt_f32_f16_e32 v1, v1
.LBB30_1623:
	s_mov_b32 s0, 0
.LBB30_1624:
	s_delay_alu instid0(SALU_CYCLE_1)
	s_and_not1_b32 vcc_lo, exec_lo, s0
	s_cbranch_vccnz .LBB30_1644
; %bb.1625:
	v_cmp_gt_i16_e32 vcc_lo, 2, v6
	s_cbranch_vccnz .LBB30_1629
; %bb.1626:
	v_cmp_gt_i16_e32 vcc_lo, 3, v6
	s_cbranch_vccnz .LBB30_1630
; %bb.1627:
	v_cmp_lt_i16_e32 vcc_lo, 3, v6
	s_cbranch_vccz .LBB30_1631
; %bb.1628:
	global_load_b64 v[9:10], v[3:4], off
	s_mov_b32 s0, 0
	s_waitcnt vmcnt(0)
	v_xor_b32_e32 v1, v9, v10
	v_cls_i32_e32 v7, v10
	s_delay_alu instid0(VALU_DEP_2) | instskip(NEXT) | instid1(VALU_DEP_2)
	v_ashrrev_i32_e32 v1, 31, v1
	v_add_nc_u32_e32 v7, -1, v7
	s_delay_alu instid0(VALU_DEP_2) | instskip(NEXT) | instid1(VALU_DEP_1)
	v_add_nc_u32_e32 v1, 32, v1
	v_min_u32_e32 v1, v7, v1
	s_delay_alu instid0(VALU_DEP_1) | instskip(SKIP_1) | instid1(VALU_DEP_2)
	v_lshlrev_b64 v[9:10], v1, v[9:10]
	v_sub_nc_u32_e32 v1, 32, v1
	v_min_u32_e32 v7, 1, v9
	s_delay_alu instid0(VALU_DEP_1) | instskip(NEXT) | instid1(VALU_DEP_1)
	v_or_b32_e32 v7, v10, v7
	v_cvt_f32_i32_e32 v7, v7
	s_delay_alu instid0(VALU_DEP_1)
	v_ldexp_f32 v1, v7, v1
	s_branch .LBB30_1632
.LBB30_1629:
	s_mov_b32 s0, -1
                                        ; implicit-def: $vgpr1
	s_branch .LBB30_1638
.LBB30_1630:
	s_mov_b32 s0, -1
                                        ; implicit-def: $vgpr1
	s_branch .LBB30_1635
.LBB30_1631:
	s_mov_b32 s0, -1
                                        ; implicit-def: $vgpr1
.LBB30_1632:
	s_delay_alu instid0(SALU_CYCLE_1)
	s_and_not1_b32 vcc_lo, exec_lo, s0
	s_cbranch_vccnz .LBB30_1634
; %bb.1633:
	global_load_b32 v1, v[3:4], off
	s_waitcnt vmcnt(0)
	v_cvt_f32_i32_e32 v1, v1
.LBB30_1634:
	s_mov_b32 s0, 0
.LBB30_1635:
	s_delay_alu instid0(SALU_CYCLE_1)
	s_and_not1_b32 vcc_lo, exec_lo, s0
	s_cbranch_vccnz .LBB30_1637
; %bb.1636:
	global_load_i16 v1, v[3:4], off
	s_waitcnt vmcnt(0)
	v_cvt_f32_i32_e32 v1, v1
.LBB30_1637:
	s_mov_b32 s0, 0
.LBB30_1638:
	s_delay_alu instid0(SALU_CYCLE_1)
	s_and_not1_b32 vcc_lo, exec_lo, s0
	s_cbranch_vccnz .LBB30_1644
; %bb.1639:
	v_cmp_lt_i16_e32 vcc_lo, 0, v6
	s_mov_b32 s0, 0
	s_cbranch_vccz .LBB30_1641
; %bb.1640:
	global_load_i8 v1, v[3:4], off
	s_waitcnt vmcnt(0)
	v_cvt_f32_i32_e32 v1, v1
	s_branch .LBB30_1642
.LBB30_1641:
	s_mov_b32 s0, -1
                                        ; implicit-def: $vgpr1
.LBB30_1642:
	s_delay_alu instid0(SALU_CYCLE_1)
	s_and_not1_b32 vcc_lo, exec_lo, s0
	s_cbranch_vccnz .LBB30_1644
; %bb.1643:
	global_load_u8 v1, v[3:4], off
	s_waitcnt vmcnt(0)
	v_cvt_f32_ubyte0_e32 v1, v1
.LBB30_1644:
	s_mov_b32 s3, -1
.LBB30_1645:
	s_delay_alu instid0(SALU_CYCLE_1)
	s_and_not1_b32 vcc_lo, exec_lo, s3
	s_cbranch_vccnz .LBB30_1736
; %bb.1646:
	s_waitcnt vmcnt(0)
	s_delay_alu instid0(VALU_DEP_1) | instskip(SKIP_1) | instid1(VALU_DEP_1)
	v_trunc_f32_e32 v3, v1
	s_mov_b32 s3, exec_lo
	v_mul_f32_e64 v4, 0x2f800000, |v3|
	s_delay_alu instid0(VALU_DEP_1) | instskip(NEXT) | instid1(VALU_DEP_1)
	v_floor_f32_e32 v4, v4
	v_fma_f32 v6, 0xcf800000, v4, |v3|
	v_ashrrev_i32_e32 v3, 31, v3
	v_cvt_u32_f32_e32 v4, v4
	s_delay_alu instid0(VALU_DEP_3) | instskip(NEXT) | instid1(VALU_DEP_2)
	v_cvt_u32_f32_e32 v6, v6
	v_xor_b32_e32 v4, v4, v3
	s_delay_alu instid0(VALU_DEP_2) | instskip(NEXT) | instid1(VALU_DEP_1)
	v_xor_b32_e32 v6, v6, v3
	v_sub_co_u32 v6, vcc_lo, v6, v3
	s_delay_alu instid0(VALU_DEP_3) | instskip(SKIP_1) | instid1(VALU_DEP_2)
	v_sub_co_ci_u32_e32 v3, vcc_lo, v4, v3, vcc_lo
	v_cmp_class_f32_e64 vcc_lo, v1, 0x1f8
	v_dual_mov_b32 v4, 0 :: v_dual_cndmask_b32 v7, -1, v3
	s_delay_alu instid0(VALU_DEP_4) | instskip(NEXT) | instid1(VALU_DEP_1)
	v_cndmask_b32_e32 v6, -1, v6, vcc_lo
	v_cmpx_lt_i64_e32 -1, v[6:7]
	s_cbranch_execz .LBB30_1658
; %bb.1647:
	v_mov_b32_e32 v4, 1.0
	s_mov_b32 s6, exec_lo
	v_cmpx_lt_i64_e32 0, v[6:7]
	s_cbranch_execz .LBB30_1657
; %bb.1648:
                                        ; implicit-def: $vgpr4
	s_mov_b32 s0, exec_lo
	v_cmpx_ne_u64_e32 1, v[6:7]
	s_xor_b32 s7, exec_lo, s0
	s_cbranch_execz .LBB30_1654
; %bb.1649:
	v_mov_b32_e32 v4, 0x7fc00000
	s_mov_b32 s13, exec_lo
	v_cmpx_gt_u64_e32 0x81, v[6:7]
	s_cbranch_execz .LBB30_1653
; %bb.1650:
	v_add_f32_e64 v1, s8, s8
	v_lshlrev_b64 v[6:7], 1, v[6:7]
	v_mov_b32_e32 v3, 1.0
	s_mov_b64 s[0:1], 2
	s_mov_b32 s14, 0
	v_mov_b32_e32 v4, v1
.LBB30_1651:                            ; =>This Inner Loop Header: Depth=1
	s_clz_i32_u32 s15, s1
	s_delay_alu instid0(SALU_CYCLE_1) | instskip(NEXT) | instid1(SALU_CYCLE_1)
	s_min_u32 s15, s15, 32
	s_lshl_b64 s[16:17], s[0:1], s15
	s_sub_i32 s15, 32, s15
	s_min_u32 s16, s16, 1
	s_delay_alu instid0(SALU_CYCLE_1) | instskip(SKIP_3) | instid1(SALU_CYCLE_1)
	s_or_b32 s16, s17, s16
	s_add_u32 s0, s0, 2
	v_cvt_f32_u32_e32 v9, s16
	s_addc_u32 s1, s1, 0
	v_cmp_ge_u64_e32 vcc_lo, s[0:1], v[6:7]
	s_delay_alu instid0(VALU_DEP_2) | instskip(SKIP_1) | instid1(VALU_DEP_1)
	v_ldexp_f32 v9, v9, s15
	s_or_b32 s14, vcc_lo, s14
	v_mul_f32_e32 v9, v3, v9
	v_mov_b32_e32 v3, v4
	s_delay_alu instid0(VALU_DEP_2)
	v_fma_f32 v4, v1, v4, -v9
	s_and_not1_b32 exec_lo, exec_lo, s14
	s_cbranch_execnz .LBB30_1651
; %bb.1652:
	s_or_b32 exec_lo, exec_lo, s14
.LBB30_1653:
	s_delay_alu instid0(SALU_CYCLE_1)
	s_or_b32 exec_lo, exec_lo, s13
.LBB30_1654:
	s_and_not1_saveexec_b32 s0, s7
; %bb.1655:
	v_add_f32_e64 v4, s8, s8
; %bb.1656:
	s_or_b32 exec_lo, exec_lo, s0
.LBB30_1657:
	s_delay_alu instid0(SALU_CYCLE_1)
	s_or_b32 exec_lo, exec_lo, s6
.LBB30_1658:
	s_delay_alu instid0(SALU_CYCLE_1) | instskip(SKIP_2) | instid1(VALU_DEP_1)
	s_or_b32 exec_lo, exec_lo, s3
	v_mul_lo_u32 v3, s2, v8
	v_and_b32_e64 v9, 0xff, s9
	v_cmp_gt_i16_e32 vcc_lo, 11, v9
	s_delay_alu instid0(VALU_DEP_3) | instskip(SKIP_1) | instid1(VALU_DEP_1)
	v_ashrrev_i32_e32 v1, 31, v3
	v_add_co_u32 v6, s0, s4, v3
	v_add_co_ci_u32_e64 v7, s0, s5, v1, s0
	s_cbranch_vccnz .LBB30_1781
; %bb.1659:
	v_cmp_lt_i16_e32 vcc_lo, 25, v9
	s_mov_b32 s6, -1
	s_mov_b32 s1, 0
	s_mov_b32 s3, 0
	;; [unrolled: 1-line block ×3, first 2 shown]
	s_cbranch_vccz .LBB30_1692
; %bb.1660:
	v_cmp_lt_i16_e32 vcc_lo, 28, v9
	s_cbranch_vccz .LBB30_1675
; %bb.1661:
	v_cmp_lt_i16_e32 vcc_lo, 43, v9
	;; [unrolled: 3-line block ×3, first 2 shown]
	s_cbranch_vccz .LBB30_1665
; %bb.1663:
	v_cmp_eq_u16_e32 vcc_lo, 46, v9
	s_mov_b32 s0, -1
	s_mov_b32 s6, 0
	s_cbranch_vccz .LBB30_1665
; %bb.1664:
	v_bfe_u32 v1, v0, 16, 1
	v_cmp_o_f32_e32 vcc_lo, v0, v0
	s_mov_b32 s0, 0
	s_mov_b32 s3, -1
	s_delay_alu instid0(VALU_DEP_2) | instskip(NEXT) | instid1(VALU_DEP_1)
	v_add3_u32 v1, v0, v1, 0x7fff
	v_lshrrev_b32_e32 v1, 16, v1
	s_delay_alu instid0(VALU_DEP_1)
	v_cndmask_b32_e32 v1, 0x7fc0, v1, vcc_lo
	global_store_b32 v[6:7], v1, off
.LBB30_1665:
	s_and_b32 vcc_lo, exec_lo, s6
	s_cbranch_vccz .LBB30_1670
; %bb.1666:
	v_cmp_eq_u16_e32 vcc_lo, 44, v9
	s_mov_b32 s0, -1
	s_cbranch_vccz .LBB30_1670
; %bb.1667:
	v_bfe_u32 v8, v0, 23, 8
	v_mov_b32_e32 v1, 0xff
	s_mov_b32 s3, exec_lo
	s_delay_alu instid0(VALU_DEP_2)
	v_cmpx_ne_u32_e32 0xff, v8
; %bb.1668:
	v_and_b32_e32 v1, 0x400000, v0
	v_and_or_b32 v8, 0x3fffff, v0, v8
	s_delay_alu instid0(VALU_DEP_2) | instskip(NEXT) | instid1(VALU_DEP_2)
	v_cmp_ne_u32_e32 vcc_lo, 0, v1
	v_cmp_ne_u32_e64 s0, 0, v8
	v_lshrrev_b32_e32 v1, 23, v0
	s_delay_alu instid0(VALU_DEP_2) | instskip(NEXT) | instid1(SALU_CYCLE_1)
	s_and_b32 s0, vcc_lo, s0
	v_cndmask_b32_e64 v8, 0, 1, s0
	s_delay_alu instid0(VALU_DEP_1)
	v_add_nc_u32_e32 v1, v1, v8
; %bb.1669:
	s_or_b32 exec_lo, exec_lo, s3
	s_mov_b32 s0, 0
	s_mov_b32 s3, -1
	global_store_b8 v[6:7], v1, off
.LBB30_1670:
	s_mov_b32 s6, 0
.LBB30_1671:
	s_delay_alu instid0(SALU_CYCLE_1)
	s_and_b32 vcc_lo, exec_lo, s6
	s_cbranch_vccz .LBB30_1674
; %bb.1672:
	v_cmp_eq_u16_e32 vcc_lo, 29, v9
	s_mov_b32 s0, -1
	s_cbranch_vccz .LBB30_1674
; %bb.1673:
	v_trunc_f32_e32 v1, v0
	s_mov_b32 s0, 0
	s_mov_b32 s3, -1
	s_delay_alu instid0(VALU_DEP_1) | instskip(NEXT) | instid1(VALU_DEP_1)
	v_mul_f32_e32 v8, 0x2f800000, v1
	v_floor_f32_e32 v8, v8
	s_delay_alu instid0(VALU_DEP_1) | instskip(SKIP_1) | instid1(VALU_DEP_2)
	v_fmamk_f32 v1, v8, 0xcf800000, v1
	v_cvt_u32_f32_e32 v11, v8
	v_cvt_u32_f32_e32 v10, v1
	global_store_b64 v[6:7], v[10:11], off
.LBB30_1674:
	s_mov_b32 s6, 0
.LBB30_1675:
	s_delay_alu instid0(SALU_CYCLE_1)
	s_and_b32 vcc_lo, exec_lo, s6
	s_cbranch_vccz .LBB30_1691
; %bb.1676:
	v_cmp_gt_i16_e32 vcc_lo, 27, v9
	s_mov_b32 s3, -1
	s_cbranch_vccnz .LBB30_1682
; %bb.1677:
	v_cmp_lt_i16_e32 vcc_lo, 27, v9
	v_cvt_u32_f32_e32 v1, v0
	s_cbranch_vccz .LBB30_1679
; %bb.1678:
	s_mov_b32 s3, 0
	global_store_b32 v[6:7], v1, off
.LBB30_1679:
	s_and_not1_b32 vcc_lo, exec_lo, s3
	s_cbranch_vccnz .LBB30_1681
; %bb.1680:
	global_store_b16 v[6:7], v1, off
.LBB30_1681:
	s_mov_b32 s3, 0
.LBB30_1682:
	s_delay_alu instid0(SALU_CYCLE_1)
	s_and_not1_b32 vcc_lo, exec_lo, s3
	s_cbranch_vccnz .LBB30_1690
; %bb.1683:
	v_and_b32_e32 v1, 0x7fffffff, v0
	v_mov_b32_e32 v8, 0x80
	s_mov_b32 s3, exec_lo
	s_delay_alu instid0(VALU_DEP_2)
	v_cmpx_gt_u32_e32 0x43800000, v1
	s_cbranch_execz .LBB30_1689
; %bb.1684:
	v_cmp_lt_u32_e32 vcc_lo, 0x3bffffff, v1
	s_mov_b32 s6, 0
                                        ; implicit-def: $vgpr1
	s_and_saveexec_b32 s7, vcc_lo
	s_delay_alu instid0(SALU_CYCLE_1)
	s_xor_b32 s7, exec_lo, s7
	s_cbranch_execz .LBB30_2140
; %bb.1685:
	v_bfe_u32 v1, v0, 20, 1
	s_mov_b32 s6, exec_lo
	s_delay_alu instid0(VALU_DEP_1) | instskip(NEXT) | instid1(VALU_DEP_1)
	v_add3_u32 v1, v0, v1, 0x487ffff
	v_lshrrev_b32_e32 v1, 20, v1
	s_or_saveexec_b32 s7, s7
                                        ; implicit-def: $sgpr8
	s_delay_alu instid0(SALU_CYCLE_1)
	s_xor_b32 exec_lo, exec_lo, s7
	s_cbranch_execnz .LBB30_2141
.LBB30_1686:
	s_or_b32 exec_lo, exec_lo, s7
	v_mov_b32_e32 v8, s8
	s_and_saveexec_b32 s7, s6
.LBB30_1687:
	v_lshrrev_b32_e32 v8, 24, v0
	s_delay_alu instid0(VALU_DEP_1)
	v_and_or_b32 v8, 0x80, v8, v1
.LBB30_1688:
	s_or_b32 exec_lo, exec_lo, s7
.LBB30_1689:
	s_delay_alu instid0(SALU_CYCLE_1)
	s_or_b32 exec_lo, exec_lo, s3
	global_store_b8 v[6:7], v8, off
.LBB30_1690:
	s_mov_b32 s3, -1
.LBB30_1691:
	s_mov_b32 s6, 0
.LBB30_1692:
	s_delay_alu instid0(SALU_CYCLE_1)
	s_and_b32 vcc_lo, exec_lo, s6
	s_cbranch_vccz .LBB30_1732
; %bb.1693:
	v_cmp_lt_i16_e32 vcc_lo, 22, v9
	s_mov_b32 s1, -1
	s_cbranch_vccz .LBB30_1725
; %bb.1694:
	v_cmp_gt_i16_e32 vcc_lo, 24, v9
	s_cbranch_vccnz .LBB30_1714
; %bb.1695:
	v_cmp_lt_i16_e32 vcc_lo, 24, v9
	s_cbranch_vccz .LBB30_1703
; %bb.1696:
	v_and_b32_e32 v1, 0x7fffffff, v0
	v_mov_b32_e32 v8, 0x80
	s_mov_b32 s1, exec_lo
	s_delay_alu instid0(VALU_DEP_2)
	v_cmpx_gt_u32_e32 0x47800000, v1
	s_cbranch_execz .LBB30_1702
; %bb.1697:
	v_cmp_lt_u32_e32 vcc_lo, 0x37ffffff, v1
	s_mov_b32 s3, 0
                                        ; implicit-def: $vgpr1
	s_and_saveexec_b32 s6, vcc_lo
	s_delay_alu instid0(SALU_CYCLE_1)
	s_xor_b32 s6, exec_lo, s6
	s_cbranch_execz .LBB30_2146
; %bb.1698:
	v_bfe_u32 v1, v0, 21, 1
	s_mov_b32 s3, exec_lo
	s_delay_alu instid0(VALU_DEP_1) | instskip(NEXT) | instid1(VALU_DEP_1)
	v_add3_u32 v1, v0, v1, 0x88fffff
	v_lshrrev_b32_e32 v1, 21, v1
	s_or_saveexec_b32 s6, s6
                                        ; implicit-def: $sgpr7
	s_delay_alu instid0(SALU_CYCLE_1)
	s_xor_b32 exec_lo, exec_lo, s6
	s_cbranch_execnz .LBB30_2147
.LBB30_1699:
	s_or_b32 exec_lo, exec_lo, s6
	v_mov_b32_e32 v8, s7
	s_and_saveexec_b32 s6, s3
.LBB30_1700:
	v_lshrrev_b32_e32 v8, 24, v0
	s_delay_alu instid0(VALU_DEP_1)
	v_and_or_b32 v8, 0x80, v8, v1
.LBB30_1701:
	s_or_b32 exec_lo, exec_lo, s6
.LBB30_1702:
	s_delay_alu instid0(SALU_CYCLE_1)
	s_or_b32 exec_lo, exec_lo, s1
	s_mov_b32 s1, 0
	global_store_b8 v[6:7], v8, off
.LBB30_1703:
	s_and_b32 vcc_lo, exec_lo, s1
	s_cbranch_vccz .LBB30_1713
; %bb.1704:
	v_and_b32_e32 v8, 0x7fffffff, v0
	s_mov_b32 s1, exec_lo
                                        ; implicit-def: $vgpr1
	s_delay_alu instid0(VALU_DEP_1)
	v_cmpx_gt_u32_e32 0x43f00000, v8
	s_xor_b32 s1, exec_lo, s1
	s_cbranch_execz .LBB30_1710
; %bb.1705:
	s_mov_b32 s3, exec_lo
                                        ; implicit-def: $vgpr1
	v_cmpx_lt_u32_e32 0x3c7fffff, v8
	s_xor_b32 s3, exec_lo, s3
; %bb.1706:
	v_bfe_u32 v1, v0, 20, 1
	s_delay_alu instid0(VALU_DEP_1) | instskip(NEXT) | instid1(VALU_DEP_1)
	v_add3_u32 v1, v0, v1, 0x407ffff
	v_and_b32_e32 v8, 0xff00000, v1
	v_lshrrev_b32_e32 v1, 20, v1
	s_delay_alu instid0(VALU_DEP_2) | instskip(NEXT) | instid1(VALU_DEP_2)
	v_cmp_ne_u32_e32 vcc_lo, 0x7f00000, v8
	v_cndmask_b32_e32 v1, 0x7e, v1, vcc_lo
; %bb.1707:
	s_and_not1_saveexec_b32 s3, s3
; %bb.1708:
	v_add_f32_e64 v1, 0x46800000, |v0|
; %bb.1709:
	s_or_b32 exec_lo, exec_lo, s3
                                        ; implicit-def: $vgpr8
.LBB30_1710:
	s_and_not1_saveexec_b32 s1, s1
; %bb.1711:
	v_mov_b32_e32 v1, 0x7f
	v_cmp_lt_u32_e32 vcc_lo, 0x7f800000, v8
	s_delay_alu instid0(VALU_DEP_2)
	v_cndmask_b32_e32 v1, 0x7e, v1, vcc_lo
; %bb.1712:
	s_or_b32 exec_lo, exec_lo, s1
	v_lshrrev_b32_e32 v8, 24, v0
	s_delay_alu instid0(VALU_DEP_1)
	v_and_or_b32 v1, 0x80, v8, v1
	global_store_b8 v[6:7], v1, off
.LBB30_1713:
	s_mov_b32 s1, 0
.LBB30_1714:
	s_delay_alu instid0(SALU_CYCLE_1)
	s_and_not1_b32 vcc_lo, exec_lo, s1
	s_cbranch_vccnz .LBB30_1724
; %bb.1715:
	v_and_b32_e32 v8, 0x7fffffff, v0
	s_mov_b32 s1, exec_lo
                                        ; implicit-def: $vgpr1
	s_delay_alu instid0(VALU_DEP_1)
	v_cmpx_gt_u32_e32 0x47800000, v8
	s_xor_b32 s1, exec_lo, s1
	s_cbranch_execz .LBB30_1721
; %bb.1716:
	s_mov_b32 s3, exec_lo
                                        ; implicit-def: $vgpr1
	v_cmpx_lt_u32_e32 0x387fffff, v8
	s_xor_b32 s3, exec_lo, s3
; %bb.1717:
	v_bfe_u32 v1, v0, 21, 1
	s_delay_alu instid0(VALU_DEP_1) | instskip(NEXT) | instid1(VALU_DEP_1)
	v_add3_u32 v1, v0, v1, 0x80fffff
	v_lshrrev_b32_e32 v1, 21, v1
; %bb.1718:
	s_and_not1_saveexec_b32 s3, s3
; %bb.1719:
	v_add_f32_e64 v1, 0x43000000, |v0|
; %bb.1720:
	s_or_b32 exec_lo, exec_lo, s3
                                        ; implicit-def: $vgpr8
.LBB30_1721:
	s_and_not1_saveexec_b32 s1, s1
; %bb.1722:
	v_mov_b32_e32 v1, 0x7f
	v_cmp_lt_u32_e32 vcc_lo, 0x7f800000, v8
	s_delay_alu instid0(VALU_DEP_2)
	v_cndmask_b32_e32 v1, 0x7c, v1, vcc_lo
; %bb.1723:
	s_or_b32 exec_lo, exec_lo, s1
	v_lshrrev_b32_e32 v8, 24, v0
	s_delay_alu instid0(VALU_DEP_1)
	v_and_or_b32 v1, 0x80, v8, v1
	global_store_b8 v[6:7], v1, off
.LBB30_1724:
	s_mov_b32 s1, 0
	s_mov_b32 s3, -1
.LBB30_1725:
	s_and_not1_b32 vcc_lo, exec_lo, s1
	s_mov_b32 s1, 0
	s_cbranch_vccnz .LBB30_1732
; %bb.1726:
	v_cmp_lt_i16_e32 vcc_lo, 14, v9
	s_mov_b32 s1, -1
	s_cbranch_vccz .LBB30_1730
; %bb.1727:
	v_cmp_eq_u16_e32 vcc_lo, 15, v9
	s_mov_b32 s0, -1
	s_cbranch_vccz .LBB30_1729
; %bb.1728:
	v_bfe_u32 v1, v0, 16, 1
	v_cmp_o_f32_e32 vcc_lo, v0, v0
	s_mov_b32 s0, 0
	s_mov_b32 s3, -1
	s_delay_alu instid0(VALU_DEP_2) | instskip(NEXT) | instid1(VALU_DEP_1)
	v_add3_u32 v1, v0, v1, 0x7fff
	v_lshrrev_b32_e32 v1, 16, v1
	s_delay_alu instid0(VALU_DEP_1)
	v_cndmask_b32_e32 v1, 0x7fc0, v1, vcc_lo
	global_store_b16 v[6:7], v1, off
.LBB30_1729:
	s_mov_b32 s1, 0
.LBB30_1730:
	s_delay_alu instid0(SALU_CYCLE_1)
	s_and_b32 vcc_lo, exec_lo, s1
	s_mov_b32 s1, 0
	s_cbranch_vccz .LBB30_1732
; %bb.1731:
	v_cmp_ne_u16_e64 s0, 11, v9
	s_mov_b32 s1, -1
.LBB30_1732:
	s_delay_alu instid0(VALU_DEP_1)
	s_and_b32 vcc_lo, exec_lo, s0
	s_cbranch_vccnz .LBB30_2144
; %bb.1733:
	s_and_not1_b32 vcc_lo, exec_lo, s1
	s_cbranch_vccnz .LBB30_1735
.LBB30_1734:
	v_cmp_neq_f32_e32 vcc_lo, 0, v0
	s_mov_b32 s3, -1
	v_cndmask_b32_e64 v1, 0, 1, vcc_lo
	global_store_b8 v[6:7], v1, off
.LBB30_1735:
	s_mov_b32 s0, 0
	s_branch .LBB30_1782
.LBB30_1736:
	s_mov_b32 s0, 0
	s_mov_b32 s1, 0
                                        ; implicit-def: $vgpr9
                                        ; implicit-def: $vgpr0_vgpr1
                                        ; implicit-def: $vgpr4
.LBB30_1737:
	s_and_not1_b32 s2, s12, exec_lo
	s_and_b32 s3, s10, exec_lo
	s_and_b32 s0, s0, exec_lo
	;; [unrolled: 1-line block ×3, first 2 shown]
	s_or_b32 s12, s2, s3
.LBB30_1738:
	s_or_b32 exec_lo, exec_lo, s11
	s_and_saveexec_b32 s1, s12
	s_cbranch_execz .LBB30_1741
; %bb.1739:
	; divergent unreachable
	s_or_b32 exec_lo, exec_lo, s1
	s_and_saveexec_b32 s1, s10
	s_delay_alu instid0(SALU_CYCLE_1)
	s_xor_b32 s1, exec_lo, s1
	s_cbranch_execnz .LBB30_1742
.LBB30_1740:
	s_or_b32 exec_lo, exec_lo, s1
	s_and_saveexec_b32 s1, s0
	s_cbranch_execnz .LBB30_1743
	s_branch .LBB30_1780
.LBB30_1741:
	s_or_b32 exec_lo, exec_lo, s1
	s_and_saveexec_b32 s1, s10
	s_delay_alu instid0(SALU_CYCLE_1)
	s_xor_b32 s1, exec_lo, s1
	s_cbranch_execz .LBB30_1740
.LBB30_1742:
	v_cmp_neq_f32_e32 vcc_lo, 0, v4
	s_waitcnt vmcnt(0)
	v_cndmask_b32_e64 v2, 0, 1, vcc_lo
	global_store_b8 v[0:1], v2, off
	s_or_b32 exec_lo, exec_lo, s1
	s_and_saveexec_b32 s1, s0
	s_cbranch_execz .LBB30_1780
.LBB30_1743:
	v_cmp_gt_i16_e32 vcc_lo, 5, v9
	s_mov_b32 s0, -1
	s_cbranch_vccnz .LBB30_1764
; %bb.1744:
	v_cmp_gt_i16_e32 vcc_lo, 8, v9
	s_cbranch_vccnz .LBB30_1754
; %bb.1745:
	v_cmp_gt_i16_e32 vcc_lo, 9, v9
	s_cbranch_vccnz .LBB30_1751
; %bb.1746:
	v_cmp_lt_i16_e32 vcc_lo, 9, v9
	s_cbranch_vccz .LBB30_1748
; %bb.1747:
	s_waitcnt vmcnt(0)
	v_cvt_f64_f32_e32 v[5:6], v4
	v_mov_b32_e32 v7, 0
	s_mov_b32 s0, 0
	s_delay_alu instid0(VALU_DEP_1)
	v_mov_b32_e32 v8, v7
	global_store_b128 v[0:1], v[5:8], off
.LBB30_1748:
	s_and_not1_b32 vcc_lo, exec_lo, s0
	s_cbranch_vccnz .LBB30_1750
; %bb.1749:
	s_waitcnt vmcnt(0)
	v_mov_b32_e32 v5, 0
	global_store_b64 v[0:1], v[4:5], off
.LBB30_1750:
	s_mov_b32 s0, 0
.LBB30_1751:
	s_delay_alu instid0(SALU_CYCLE_1)
	s_and_not1_b32 vcc_lo, exec_lo, s0
	s_cbranch_vccnz .LBB30_1753
; %bb.1752:
	s_waitcnt vmcnt(0)
	v_cvt_f16_f32_e32 v2, v4
	s_delay_alu instid0(VALU_DEP_1)
	v_and_b32_e32 v2, 0xffff, v2
	global_store_b32 v[0:1], v2, off
.LBB30_1753:
	s_mov_b32 s0, 0
.LBB30_1754:
	s_delay_alu instid0(SALU_CYCLE_1)
	s_and_not1_b32 vcc_lo, exec_lo, s0
	s_cbranch_vccnz .LBB30_1763
; %bb.1755:
	v_cmp_gt_i16_e32 vcc_lo, 6, v9
	s_mov_b32 s0, -1
	s_cbranch_vccnz .LBB30_1761
; %bb.1756:
	v_cmp_lt_i16_e32 vcc_lo, 6, v9
	s_cbranch_vccz .LBB30_1758
; %bb.1757:
	s_waitcnt vmcnt(0)
	v_cvt_f64_f32_e32 v[2:3], v4
	s_mov_b32 s0, 0
	global_store_b64 v[0:1], v[2:3], off
.LBB30_1758:
	s_and_not1_b32 vcc_lo, exec_lo, s0
	s_cbranch_vccnz .LBB30_1760
; %bb.1759:
	s_waitcnt vmcnt(0)
	global_store_b32 v[0:1], v4, off
.LBB30_1760:
	s_mov_b32 s0, 0
.LBB30_1761:
	s_delay_alu instid0(SALU_CYCLE_1)
	s_and_not1_b32 vcc_lo, exec_lo, s0
	s_cbranch_vccnz .LBB30_1763
; %bb.1762:
	s_waitcnt vmcnt(0)
	v_cvt_f16_f32_e32 v2, v4
	global_store_b16 v[0:1], v2, off
.LBB30_1763:
	s_mov_b32 s0, 0
.LBB30_1764:
	s_delay_alu instid0(SALU_CYCLE_1)
	s_and_not1_b32 vcc_lo, exec_lo, s0
	s_cbranch_vccnz .LBB30_1780
; %bb.1765:
	v_cmp_gt_i16_e32 vcc_lo, 2, v9
	s_mov_b32 s0, -1
	s_cbranch_vccnz .LBB30_1775
; %bb.1766:
	v_cmp_gt_i16_e32 vcc_lo, 3, v9
	s_cbranch_vccnz .LBB30_1772
; %bb.1767:
	v_cmp_lt_i16_e32 vcc_lo, 3, v9
	s_cbranch_vccz .LBB30_1769
; %bb.1768:
	s_waitcnt vmcnt(0)
	v_trunc_f32_e32 v2, v4
	s_mov_b32 s0, 0
	s_delay_alu instid0(VALU_DEP_1) | instskip(SKIP_1) | instid1(VALU_DEP_2)
	v_mul_f32_e64 v3, 0x2f800000, |v2|
	v_ashrrev_i32_e32 v6, 31, v2
	v_floor_f32_e32 v3, v3
	s_delay_alu instid0(VALU_DEP_1) | instskip(SKIP_1) | instid1(VALU_DEP_2)
	v_fma_f32 v5, 0xcf800000, v3, |v2|
	v_cvt_u32_f32_e32 v3, v3
	v_cvt_u32_f32_e32 v2, v5
	s_delay_alu instid0(VALU_DEP_2) | instskip(NEXT) | instid1(VALU_DEP_2)
	v_xor_b32_e32 v3, v3, v6
	v_xor_b32_e32 v2, v2, v6
	s_delay_alu instid0(VALU_DEP_1) | instskip(NEXT) | instid1(VALU_DEP_3)
	v_sub_co_u32 v2, vcc_lo, v2, v6
	v_sub_co_ci_u32_e32 v3, vcc_lo, v3, v6, vcc_lo
	global_store_b64 v[0:1], v[2:3], off
.LBB30_1769:
	s_and_not1_b32 vcc_lo, exec_lo, s0
	s_cbranch_vccnz .LBB30_1771
; %bb.1770:
	s_waitcnt vmcnt(0)
	v_cvt_i32_f32_e32 v2, v4
	global_store_b32 v[0:1], v2, off
.LBB30_1771:
	s_mov_b32 s0, 0
.LBB30_1772:
	s_delay_alu instid0(SALU_CYCLE_1)
	s_and_not1_b32 vcc_lo, exec_lo, s0
	s_cbranch_vccnz .LBB30_1774
; %bb.1773:
	s_waitcnt vmcnt(0)
	v_cvt_i32_f32_e32 v2, v4
	global_store_b16 v[0:1], v2, off
.LBB30_1774:
	s_mov_b32 s0, 0
.LBB30_1775:
	s_delay_alu instid0(SALU_CYCLE_1)
	s_and_not1_b32 vcc_lo, exec_lo, s0
	s_cbranch_vccnz .LBB30_1780
; %bb.1776:
	v_cmp_lt_i16_e32 vcc_lo, 0, v9
	s_mov_b32 s0, -1
	s_cbranch_vccz .LBB30_1778
; %bb.1777:
	s_waitcnt vmcnt(0)
	v_cvt_i32_f32_e32 v2, v4
	s_mov_b32 s0, 0
	global_store_b8 v[0:1], v2, off
.LBB30_1778:
	s_and_not1_b32 vcc_lo, exec_lo, s0
	s_cbranch_vccnz .LBB30_1780
; %bb.1779:
	s_waitcnt vmcnt(0)
	v_trunc_f32_e32 v2, v4
	s_delay_alu instid0(VALU_DEP_1) | instskip(NEXT) | instid1(VALU_DEP_1)
	v_mul_f32_e64 v3, 0x2f800000, |v2|
	v_floor_f32_e32 v3, v3
	s_delay_alu instid0(VALU_DEP_1) | instskip(SKIP_1) | instid1(VALU_DEP_2)
	v_fma_f32 v3, 0xcf800000, v3, |v2|
	v_ashrrev_i32_e32 v2, 31, v2
	v_cvt_u32_f32_e32 v3, v3
	s_delay_alu instid0(VALU_DEP_1) | instskip(NEXT) | instid1(VALU_DEP_1)
	v_xor_b32_e32 v3, v3, v2
	v_sub_nc_u32_e32 v2, v3, v2
	global_store_b8 v[0:1], v2, off
	s_nop 0
	s_sendmsg sendmsg(MSG_DEALLOC_VGPRS)
	s_endpgm
.LBB30_1780:
	s_nop 0
	s_sendmsg sendmsg(MSG_DEALLOC_VGPRS)
	s_endpgm
.LBB30_1781:
	s_mov_b32 s0, -1
	s_mov_b32 s3, 0
.LBB30_1782:
	s_and_b32 vcc_lo, exec_lo, s0
	s_cbranch_vccz .LBB30_1821
; %bb.1783:
	v_cmp_gt_i16_e32 vcc_lo, 5, v9
	s_mov_b32 s0, -1
	s_cbranch_vccnz .LBB30_1804
; %bb.1784:
	v_cmp_gt_i16_e32 vcc_lo, 8, v9
	s_cbranch_vccnz .LBB30_1794
; %bb.1785:
	v_cmp_gt_i16_e32 vcc_lo, 9, v9
	s_cbranch_vccnz .LBB30_1791
; %bb.1786:
	v_cmp_lt_i16_e32 vcc_lo, 9, v9
	s_cbranch_vccz .LBB30_1788
; %bb.1787:
	v_cvt_f64_f32_e32 v[10:11], v0
	v_mov_b32_e32 v12, 0
	s_mov_b32 s0, 0
	s_delay_alu instid0(VALU_DEP_1)
	v_mov_b32_e32 v13, v12
	global_store_b128 v[6:7], v[10:13], off
.LBB30_1788:
	s_and_not1_b32 vcc_lo, exec_lo, s0
	s_cbranch_vccnz .LBB30_1790
; %bb.1789:
	v_mov_b32_e32 v1, 0
	global_store_b64 v[6:7], v[0:1], off
.LBB30_1790:
	s_mov_b32 s0, 0
.LBB30_1791:
	s_delay_alu instid0(SALU_CYCLE_1)
	s_and_not1_b32 vcc_lo, exec_lo, s0
	s_cbranch_vccnz .LBB30_1793
; %bb.1792:
	v_cvt_f16_f32_e32 v1, v0
	s_delay_alu instid0(VALU_DEP_1)
	v_and_b32_e32 v1, 0xffff, v1
	global_store_b32 v[6:7], v1, off
.LBB30_1793:
	s_mov_b32 s0, 0
.LBB30_1794:
	s_delay_alu instid0(SALU_CYCLE_1)
	s_and_not1_b32 vcc_lo, exec_lo, s0
	s_cbranch_vccnz .LBB30_1803
; %bb.1795:
	v_cmp_gt_i16_e32 vcc_lo, 6, v9
	s_mov_b32 s0, -1
	s_cbranch_vccnz .LBB30_1801
; %bb.1796:
	v_cmp_lt_i16_e32 vcc_lo, 6, v9
	s_cbranch_vccz .LBB30_1798
; %bb.1797:
	v_cvt_f64_f32_e32 v[10:11], v0
	s_mov_b32 s0, 0
	global_store_b64 v[6:7], v[10:11], off
.LBB30_1798:
	s_and_not1_b32 vcc_lo, exec_lo, s0
	s_cbranch_vccnz .LBB30_1800
; %bb.1799:
	global_store_b32 v[6:7], v0, off
.LBB30_1800:
	s_mov_b32 s0, 0
.LBB30_1801:
	s_delay_alu instid0(SALU_CYCLE_1)
	s_and_not1_b32 vcc_lo, exec_lo, s0
	s_cbranch_vccnz .LBB30_1803
; %bb.1802:
	v_cvt_f16_f32_e32 v1, v0
	global_store_b16 v[6:7], v1, off
.LBB30_1803:
	s_mov_b32 s0, 0
.LBB30_1804:
	s_delay_alu instid0(SALU_CYCLE_1)
	s_and_not1_b32 vcc_lo, exec_lo, s0
	s_cbranch_vccnz .LBB30_1820
; %bb.1805:
	v_cmp_gt_i16_e32 vcc_lo, 2, v9
	s_mov_b32 s0, -1
	s_cbranch_vccnz .LBB30_1815
; %bb.1806:
	v_cmp_gt_i16_e32 vcc_lo, 3, v9
	s_cbranch_vccnz .LBB30_1812
; %bb.1807:
	v_cmp_lt_i16_e32 vcc_lo, 3, v9
	s_cbranch_vccz .LBB30_1809
; %bb.1808:
	v_trunc_f32_e32 v1, v0
	s_mov_b32 s0, 0
	s_delay_alu instid0(VALU_DEP_1) | instskip(NEXT) | instid1(VALU_DEP_1)
	v_mul_f32_e64 v8, 0x2f800000, |v1|
	v_floor_f32_e32 v8, v8
	s_delay_alu instid0(VALU_DEP_1) | instskip(SKIP_2) | instid1(VALU_DEP_3)
	v_fma_f32 v10, 0xcf800000, v8, |v1|
	v_ashrrev_i32_e32 v1, 31, v1
	v_cvt_u32_f32_e32 v8, v8
	v_cvt_u32_f32_e32 v10, v10
	s_delay_alu instid0(VALU_DEP_2) | instskip(NEXT) | instid1(VALU_DEP_2)
	v_xor_b32_e32 v8, v8, v1
	v_xor_b32_e32 v10, v10, v1
	s_delay_alu instid0(VALU_DEP_1) | instskip(NEXT) | instid1(VALU_DEP_3)
	v_sub_co_u32 v10, vcc_lo, v10, v1
	v_sub_co_ci_u32_e32 v11, vcc_lo, v8, v1, vcc_lo
	global_store_b64 v[6:7], v[10:11], off
.LBB30_1809:
	s_and_not1_b32 vcc_lo, exec_lo, s0
	s_cbranch_vccnz .LBB30_1811
; %bb.1810:
	v_cvt_i32_f32_e32 v1, v0
	global_store_b32 v[6:7], v1, off
.LBB30_1811:
	s_mov_b32 s0, 0
.LBB30_1812:
	s_delay_alu instid0(SALU_CYCLE_1)
	s_and_not1_b32 vcc_lo, exec_lo, s0
	s_cbranch_vccnz .LBB30_1814
; %bb.1813:
	v_cvt_i32_f32_e32 v1, v0
	global_store_b16 v[6:7], v1, off
.LBB30_1814:
	s_mov_b32 s0, 0
.LBB30_1815:
	s_delay_alu instid0(SALU_CYCLE_1)
	s_and_not1_b32 vcc_lo, exec_lo, s0
	s_cbranch_vccnz .LBB30_1820
; %bb.1816:
	v_cmp_lt_i16_e32 vcc_lo, 0, v9
	s_mov_b32 s0, -1
	s_cbranch_vccz .LBB30_1818
; %bb.1817:
	v_cvt_i32_f32_e32 v1, v0
	s_mov_b32 s0, 0
	global_store_b8 v[6:7], v1, off
.LBB30_1818:
	s_and_not1_b32 vcc_lo, exec_lo, s0
	s_cbranch_vccnz .LBB30_1820
; %bb.1819:
	v_trunc_f32_e32 v0, v0
	s_delay_alu instid0(VALU_DEP_1) | instskip(NEXT) | instid1(VALU_DEP_1)
	v_mul_f32_e64 v1, 0x2f800000, |v0|
	v_floor_f32_e32 v1, v1
	s_delay_alu instid0(VALU_DEP_1) | instskip(SKIP_1) | instid1(VALU_DEP_2)
	v_fma_f32 v1, 0xcf800000, v1, |v0|
	v_ashrrev_i32_e32 v0, 31, v0
	v_cvt_u32_f32_e32 v1, v1
	s_delay_alu instid0(VALU_DEP_1) | instskip(NEXT) | instid1(VALU_DEP_1)
	v_xor_b32_e32 v1, v1, v0
	v_sub_nc_u32_e32 v0, v1, v0
	global_store_b8 v[6:7], v0, off
.LBB30_1820:
	s_mov_b32 s3, -1
.LBB30_1821:
	s_delay_alu instid0(SALU_CYCLE_1)
	s_and_not1_b32 vcc_lo, exec_lo, s3
	s_cbranch_vccnz .LBB30_2136
; %bb.1822:
	s_lshl_b32 s1, s2, 7
	v_cmp_gt_i16_e32 vcc_lo, 11, v9
	v_add_nc_u32_e32 v6, s1, v3
	s_delay_alu instid0(VALU_DEP_1) | instskip(SKIP_1) | instid1(VALU_DEP_1)
	v_ashrrev_i32_e32 v1, 31, v6
	v_add_co_u32 v0, s0, s4, v6
	v_add_co_ci_u32_e64 v1, s0, s5, v1, s0
	s_cbranch_vccnz .LBB30_1900
; %bb.1823:
	v_cmp_lt_i16_e32 vcc_lo, 25, v9
	s_mov_b32 s6, -1
	s_mov_b32 s2, 0
	s_mov_b32 s3, 0
	;; [unrolled: 1-line block ×3, first 2 shown]
	s_cbranch_vccz .LBB30_1856
; %bb.1824:
	v_cmp_lt_i16_e32 vcc_lo, 28, v9
	s_cbranch_vccz .LBB30_1839
; %bb.1825:
	v_cmp_lt_i16_e32 vcc_lo, 43, v9
	;; [unrolled: 3-line block ×3, first 2 shown]
	s_cbranch_vccz .LBB30_1829
; %bb.1827:
	v_cmp_eq_u16_e32 vcc_lo, 46, v9
	s_mov_b32 s0, -1
	s_mov_b32 s6, 0
	s_cbranch_vccz .LBB30_1829
; %bb.1828:
	v_bfe_u32 v3, v2, 16, 1
	v_cmp_o_f32_e32 vcc_lo, v2, v2
	s_mov_b32 s0, 0
	s_mov_b32 s3, -1
	s_delay_alu instid0(VALU_DEP_2) | instskip(NEXT) | instid1(VALU_DEP_1)
	v_add3_u32 v3, v2, v3, 0x7fff
	v_lshrrev_b32_e32 v3, 16, v3
	s_delay_alu instid0(VALU_DEP_1)
	v_cndmask_b32_e32 v3, 0x7fc0, v3, vcc_lo
	global_store_b32 v[0:1], v3, off
.LBB30_1829:
	s_and_b32 vcc_lo, exec_lo, s6
	s_cbranch_vccz .LBB30_1834
; %bb.1830:
	v_cmp_eq_u16_e32 vcc_lo, 44, v9
	s_mov_b32 s0, -1
	s_cbranch_vccz .LBB30_1834
; %bb.1831:
	v_bfe_u32 v7, v2, 23, 8
	v_mov_b32_e32 v3, 0xff
	s_mov_b32 s3, exec_lo
	s_delay_alu instid0(VALU_DEP_2)
	v_cmpx_ne_u32_e32 0xff, v7
; %bb.1832:
	v_and_b32_e32 v3, 0x400000, v2
	v_and_or_b32 v7, 0x3fffff, v2, v7
	s_delay_alu instid0(VALU_DEP_2) | instskip(NEXT) | instid1(VALU_DEP_2)
	v_cmp_ne_u32_e32 vcc_lo, 0, v3
	v_cmp_ne_u32_e64 s0, 0, v7
	v_lshrrev_b32_e32 v3, 23, v2
	s_delay_alu instid0(VALU_DEP_2) | instskip(NEXT) | instid1(SALU_CYCLE_1)
	s_and_b32 s0, vcc_lo, s0
	v_cndmask_b32_e64 v7, 0, 1, s0
	s_delay_alu instid0(VALU_DEP_1)
	v_add_nc_u32_e32 v3, v3, v7
; %bb.1833:
	s_or_b32 exec_lo, exec_lo, s3
	s_mov_b32 s0, 0
	s_mov_b32 s3, -1
	global_store_b8 v[0:1], v3, off
.LBB30_1834:
	s_mov_b32 s6, 0
.LBB30_1835:
	s_delay_alu instid0(SALU_CYCLE_1)
	s_and_b32 vcc_lo, exec_lo, s6
	s_cbranch_vccz .LBB30_1838
; %bb.1836:
	v_cmp_eq_u16_e32 vcc_lo, 29, v9
	s_mov_b32 s0, -1
	s_cbranch_vccz .LBB30_1838
; %bb.1837:
	v_trunc_f32_e32 v3, v2
	s_mov_b32 s0, 0
	s_mov_b32 s3, -1
	s_delay_alu instid0(VALU_DEP_1) | instskip(NEXT) | instid1(VALU_DEP_1)
	v_mul_f32_e32 v7, 0x2f800000, v3
	v_floor_f32_e32 v7, v7
	s_delay_alu instid0(VALU_DEP_1) | instskip(SKIP_1) | instid1(VALU_DEP_2)
	v_fmamk_f32 v3, v7, 0xcf800000, v3
	v_cvt_u32_f32_e32 v8, v7
	v_cvt_u32_f32_e32 v7, v3
	global_store_b64 v[0:1], v[7:8], off
.LBB30_1838:
	s_mov_b32 s6, 0
.LBB30_1839:
	s_delay_alu instid0(SALU_CYCLE_1)
	s_and_b32 vcc_lo, exec_lo, s6
	s_cbranch_vccz .LBB30_1855
; %bb.1840:
	v_cmp_gt_i16_e32 vcc_lo, 27, v9
	s_mov_b32 s3, -1
	s_cbranch_vccnz .LBB30_1846
; %bb.1841:
	v_cmp_lt_i16_e32 vcc_lo, 27, v9
	v_cvt_u32_f32_e32 v3, v2
	s_cbranch_vccz .LBB30_1843
; %bb.1842:
	s_mov_b32 s3, 0
	global_store_b32 v[0:1], v3, off
.LBB30_1843:
	s_and_not1_b32 vcc_lo, exec_lo, s3
	s_cbranch_vccnz .LBB30_1845
; %bb.1844:
	global_store_b16 v[0:1], v3, off
.LBB30_1845:
	s_mov_b32 s3, 0
.LBB30_1846:
	s_delay_alu instid0(SALU_CYCLE_1)
	s_and_not1_b32 vcc_lo, exec_lo, s3
	s_cbranch_vccnz .LBB30_1854
; %bb.1847:
	v_and_b32_e32 v3, 0x7fffffff, v2
	v_mov_b32_e32 v7, 0x80
	s_mov_b32 s3, exec_lo
	s_delay_alu instid0(VALU_DEP_2)
	v_cmpx_gt_u32_e32 0x43800000, v3
	s_cbranch_execz .LBB30_1853
; %bb.1848:
	v_cmp_lt_u32_e32 vcc_lo, 0x3bffffff, v3
	s_mov_b32 s6, 0
                                        ; implicit-def: $vgpr3
	s_and_saveexec_b32 s7, vcc_lo
	s_delay_alu instid0(SALU_CYCLE_1)
	s_xor_b32 s7, exec_lo, s7
	s_cbranch_execz .LBB30_2148
; %bb.1849:
	v_bfe_u32 v3, v2, 20, 1
	s_mov_b32 s6, exec_lo
	s_delay_alu instid0(VALU_DEP_1) | instskip(NEXT) | instid1(VALU_DEP_1)
	v_add3_u32 v3, v2, v3, 0x487ffff
	v_lshrrev_b32_e32 v3, 20, v3
	s_or_saveexec_b32 s7, s7
                                        ; implicit-def: $sgpr8
	s_delay_alu instid0(SALU_CYCLE_1)
	s_xor_b32 exec_lo, exec_lo, s7
	s_cbranch_execnz .LBB30_2149
.LBB30_1850:
	s_or_b32 exec_lo, exec_lo, s7
	v_mov_b32_e32 v7, s8
	s_and_saveexec_b32 s7, s6
.LBB30_1851:
	v_lshrrev_b32_e32 v7, 24, v2
	s_delay_alu instid0(VALU_DEP_1)
	v_and_or_b32 v7, 0x80, v7, v3
.LBB30_1852:
	s_or_b32 exec_lo, exec_lo, s7
.LBB30_1853:
	s_delay_alu instid0(SALU_CYCLE_1)
	s_or_b32 exec_lo, exec_lo, s3
	global_store_b8 v[0:1], v7, off
.LBB30_1854:
	s_mov_b32 s3, -1
.LBB30_1855:
	s_mov_b32 s6, 0
.LBB30_1856:
	s_delay_alu instid0(SALU_CYCLE_1)
	s_and_b32 vcc_lo, exec_lo, s6
	s_cbranch_vccz .LBB30_1896
; %bb.1857:
	v_cmp_lt_i16_e32 vcc_lo, 22, v9
	s_mov_b32 s2, -1
	s_cbranch_vccz .LBB30_1889
; %bb.1858:
	v_cmp_gt_i16_e32 vcc_lo, 24, v9
	s_cbranch_vccnz .LBB30_1878
; %bb.1859:
	v_cmp_lt_i16_e32 vcc_lo, 24, v9
	s_cbranch_vccz .LBB30_1867
; %bb.1860:
	v_and_b32_e32 v3, 0x7fffffff, v2
	v_mov_b32_e32 v7, 0x80
	s_mov_b32 s2, exec_lo
	s_delay_alu instid0(VALU_DEP_2)
	v_cmpx_gt_u32_e32 0x47800000, v3
	s_cbranch_execz .LBB30_1866
; %bb.1861:
	v_cmp_lt_u32_e32 vcc_lo, 0x37ffffff, v3
	s_mov_b32 s3, 0
                                        ; implicit-def: $vgpr3
	s_and_saveexec_b32 s6, vcc_lo
	s_delay_alu instid0(SALU_CYCLE_1)
	s_xor_b32 s6, exec_lo, s6
	s_cbranch_execz .LBB30_2154
; %bb.1862:
	v_bfe_u32 v3, v2, 21, 1
	s_mov_b32 s3, exec_lo
	s_delay_alu instid0(VALU_DEP_1) | instskip(NEXT) | instid1(VALU_DEP_1)
	v_add3_u32 v3, v2, v3, 0x88fffff
	v_lshrrev_b32_e32 v3, 21, v3
	s_or_saveexec_b32 s6, s6
                                        ; implicit-def: $sgpr7
	s_delay_alu instid0(SALU_CYCLE_1)
	s_xor_b32 exec_lo, exec_lo, s6
	s_cbranch_execnz .LBB30_2155
.LBB30_1863:
	s_or_b32 exec_lo, exec_lo, s6
	v_mov_b32_e32 v7, s7
	s_and_saveexec_b32 s6, s3
.LBB30_1864:
	v_lshrrev_b32_e32 v7, 24, v2
	s_delay_alu instid0(VALU_DEP_1)
	v_and_or_b32 v7, 0x80, v7, v3
.LBB30_1865:
	s_or_b32 exec_lo, exec_lo, s6
.LBB30_1866:
	s_delay_alu instid0(SALU_CYCLE_1)
	s_or_b32 exec_lo, exec_lo, s2
	s_mov_b32 s2, 0
	global_store_b8 v[0:1], v7, off
.LBB30_1867:
	s_and_b32 vcc_lo, exec_lo, s2
	s_cbranch_vccz .LBB30_1877
; %bb.1868:
	v_and_b32_e32 v7, 0x7fffffff, v2
	s_mov_b32 s2, exec_lo
                                        ; implicit-def: $vgpr3
	s_delay_alu instid0(VALU_DEP_1)
	v_cmpx_gt_u32_e32 0x43f00000, v7
	s_xor_b32 s2, exec_lo, s2
	s_cbranch_execz .LBB30_1874
; %bb.1869:
	s_mov_b32 s3, exec_lo
                                        ; implicit-def: $vgpr3
	v_cmpx_lt_u32_e32 0x3c7fffff, v7
	s_xor_b32 s3, exec_lo, s3
; %bb.1870:
	v_bfe_u32 v3, v2, 20, 1
	s_delay_alu instid0(VALU_DEP_1) | instskip(NEXT) | instid1(VALU_DEP_1)
	v_add3_u32 v3, v2, v3, 0x407ffff
	v_and_b32_e32 v7, 0xff00000, v3
	v_lshrrev_b32_e32 v3, 20, v3
	s_delay_alu instid0(VALU_DEP_2) | instskip(NEXT) | instid1(VALU_DEP_2)
	v_cmp_ne_u32_e32 vcc_lo, 0x7f00000, v7
	v_cndmask_b32_e32 v3, 0x7e, v3, vcc_lo
; %bb.1871:
	s_and_not1_saveexec_b32 s3, s3
; %bb.1872:
	v_add_f32_e64 v3, 0x46800000, |v2|
; %bb.1873:
	s_or_b32 exec_lo, exec_lo, s3
                                        ; implicit-def: $vgpr7
.LBB30_1874:
	s_and_not1_saveexec_b32 s2, s2
; %bb.1875:
	v_mov_b32_e32 v3, 0x7f
	v_cmp_lt_u32_e32 vcc_lo, 0x7f800000, v7
	s_delay_alu instid0(VALU_DEP_2)
	v_cndmask_b32_e32 v3, 0x7e, v3, vcc_lo
; %bb.1876:
	s_or_b32 exec_lo, exec_lo, s2
	v_lshrrev_b32_e32 v7, 24, v2
	s_delay_alu instid0(VALU_DEP_1)
	v_and_or_b32 v3, 0x80, v7, v3
	global_store_b8 v[0:1], v3, off
.LBB30_1877:
	s_mov_b32 s2, 0
.LBB30_1878:
	s_delay_alu instid0(SALU_CYCLE_1)
	s_and_not1_b32 vcc_lo, exec_lo, s2
	s_cbranch_vccnz .LBB30_1888
; %bb.1879:
	v_and_b32_e32 v7, 0x7fffffff, v2
	s_mov_b32 s2, exec_lo
                                        ; implicit-def: $vgpr3
	s_delay_alu instid0(VALU_DEP_1)
	v_cmpx_gt_u32_e32 0x47800000, v7
	s_xor_b32 s2, exec_lo, s2
	s_cbranch_execz .LBB30_1885
; %bb.1880:
	s_mov_b32 s3, exec_lo
                                        ; implicit-def: $vgpr3
	v_cmpx_lt_u32_e32 0x387fffff, v7
	s_xor_b32 s3, exec_lo, s3
; %bb.1881:
	v_bfe_u32 v3, v2, 21, 1
	s_delay_alu instid0(VALU_DEP_1) | instskip(NEXT) | instid1(VALU_DEP_1)
	v_add3_u32 v3, v2, v3, 0x80fffff
	v_lshrrev_b32_e32 v3, 21, v3
; %bb.1882:
	s_and_not1_saveexec_b32 s3, s3
; %bb.1883:
	v_add_f32_e64 v3, 0x43000000, |v2|
; %bb.1884:
	s_or_b32 exec_lo, exec_lo, s3
                                        ; implicit-def: $vgpr7
.LBB30_1885:
	s_and_not1_saveexec_b32 s2, s2
; %bb.1886:
	v_mov_b32_e32 v3, 0x7f
	v_cmp_lt_u32_e32 vcc_lo, 0x7f800000, v7
	s_delay_alu instid0(VALU_DEP_2)
	v_cndmask_b32_e32 v3, 0x7c, v3, vcc_lo
; %bb.1887:
	s_or_b32 exec_lo, exec_lo, s2
	v_lshrrev_b32_e32 v7, 24, v2
	s_delay_alu instid0(VALU_DEP_1)
	v_and_or_b32 v3, 0x80, v7, v3
	global_store_b8 v[0:1], v3, off
.LBB30_1888:
	s_mov_b32 s2, 0
	s_mov_b32 s3, -1
.LBB30_1889:
	s_and_not1_b32 vcc_lo, exec_lo, s2
	s_mov_b32 s2, 0
	s_cbranch_vccnz .LBB30_1896
; %bb.1890:
	v_cmp_lt_i16_e32 vcc_lo, 14, v9
	s_mov_b32 s2, -1
	s_cbranch_vccz .LBB30_1894
; %bb.1891:
	v_cmp_eq_u16_e32 vcc_lo, 15, v9
	s_mov_b32 s0, -1
	s_cbranch_vccz .LBB30_1893
; %bb.1892:
	v_bfe_u32 v3, v2, 16, 1
	v_cmp_o_f32_e32 vcc_lo, v2, v2
	s_mov_b32 s0, 0
	s_mov_b32 s3, -1
	s_delay_alu instid0(VALU_DEP_2) | instskip(NEXT) | instid1(VALU_DEP_1)
	v_add3_u32 v3, v2, v3, 0x7fff
	v_lshrrev_b32_e32 v3, 16, v3
	s_delay_alu instid0(VALU_DEP_1)
	v_cndmask_b32_e32 v3, 0x7fc0, v3, vcc_lo
	global_store_b16 v[0:1], v3, off
.LBB30_1893:
	s_mov_b32 s2, 0
.LBB30_1894:
	s_delay_alu instid0(SALU_CYCLE_1)
	s_and_b32 vcc_lo, exec_lo, s2
	s_mov_b32 s2, 0
	s_cbranch_vccz .LBB30_1896
; %bb.1895:
	v_cmp_ne_u16_e64 s0, 11, v9
	s_mov_b32 s2, -1
.LBB30_1896:
	s_delay_alu instid0(VALU_DEP_1)
	s_and_b32 vcc_lo, exec_lo, s0
	s_cbranch_vccnz .LBB30_2152
; %bb.1897:
	s_and_not1_b32 vcc_lo, exec_lo, s2
	s_cbranch_vccnz .LBB30_1899
.LBB30_1898:
	v_cmp_neq_f32_e32 vcc_lo, 0, v2
	s_mov_b32 s3, -1
	v_cndmask_b32_e64 v3, 0, 1, vcc_lo
	global_store_b8 v[0:1], v3, off
.LBB30_1899:
	s_mov_b32 s0, 0
	s_branch .LBB30_1901
.LBB30_1900:
	s_mov_b32 s0, -1
	s_mov_b32 s3, 0
.LBB30_1901:
	s_and_b32 vcc_lo, exec_lo, s0
	s_cbranch_vccz .LBB30_1940
; %bb.1902:
	v_cmp_gt_i16_e32 vcc_lo, 5, v9
	s_mov_b32 s0, -1
	s_cbranch_vccnz .LBB30_1923
; %bb.1903:
	v_cmp_gt_i16_e32 vcc_lo, 8, v9
	s_cbranch_vccnz .LBB30_1913
; %bb.1904:
	v_cmp_gt_i16_e32 vcc_lo, 9, v9
	s_cbranch_vccnz .LBB30_1910
; %bb.1905:
	v_cmp_lt_i16_e32 vcc_lo, 9, v9
	s_cbranch_vccz .LBB30_1907
; %bb.1906:
	v_cvt_f64_f32_e32 v[10:11], v2
	v_mov_b32_e32 v12, 0
	s_mov_b32 s0, 0
	s_delay_alu instid0(VALU_DEP_1)
	v_mov_b32_e32 v13, v12
	global_store_b128 v[0:1], v[10:13], off
.LBB30_1907:
	s_and_not1_b32 vcc_lo, exec_lo, s0
	s_cbranch_vccnz .LBB30_1909
; %bb.1908:
	v_mov_b32_e32 v3, 0
	global_store_b64 v[0:1], v[2:3], off
.LBB30_1909:
	s_mov_b32 s0, 0
.LBB30_1910:
	s_delay_alu instid0(SALU_CYCLE_1)
	s_and_not1_b32 vcc_lo, exec_lo, s0
	s_cbranch_vccnz .LBB30_1912
; %bb.1911:
	v_cvt_f16_f32_e32 v3, v2
	s_delay_alu instid0(VALU_DEP_1)
	v_and_b32_e32 v3, 0xffff, v3
	global_store_b32 v[0:1], v3, off
.LBB30_1912:
	s_mov_b32 s0, 0
.LBB30_1913:
	s_delay_alu instid0(SALU_CYCLE_1)
	s_and_not1_b32 vcc_lo, exec_lo, s0
	s_cbranch_vccnz .LBB30_1922
; %bb.1914:
	v_cmp_gt_i16_e32 vcc_lo, 6, v9
	s_mov_b32 s0, -1
	s_cbranch_vccnz .LBB30_1920
; %bb.1915:
	v_cmp_lt_i16_e32 vcc_lo, 6, v9
	s_cbranch_vccz .LBB30_1917
; %bb.1916:
	v_cvt_f64_f32_e32 v[7:8], v2
	s_mov_b32 s0, 0
	global_store_b64 v[0:1], v[7:8], off
.LBB30_1917:
	s_and_not1_b32 vcc_lo, exec_lo, s0
	s_cbranch_vccnz .LBB30_1919
; %bb.1918:
	global_store_b32 v[0:1], v2, off
.LBB30_1919:
	s_mov_b32 s0, 0
.LBB30_1920:
	s_delay_alu instid0(SALU_CYCLE_1)
	s_and_not1_b32 vcc_lo, exec_lo, s0
	s_cbranch_vccnz .LBB30_1922
; %bb.1921:
	v_cvt_f16_f32_e32 v3, v2
	global_store_b16 v[0:1], v3, off
.LBB30_1922:
	s_mov_b32 s0, 0
.LBB30_1923:
	s_delay_alu instid0(SALU_CYCLE_1)
	s_and_not1_b32 vcc_lo, exec_lo, s0
	s_cbranch_vccnz .LBB30_1939
; %bb.1924:
	v_cmp_gt_i16_e32 vcc_lo, 2, v9
	s_mov_b32 s0, -1
	s_cbranch_vccnz .LBB30_1934
; %bb.1925:
	v_cmp_gt_i16_e32 vcc_lo, 3, v9
	s_cbranch_vccnz .LBB30_1931
; %bb.1926:
	v_cmp_lt_i16_e32 vcc_lo, 3, v9
	s_cbranch_vccz .LBB30_1928
; %bb.1927:
	v_trunc_f32_e32 v3, v2
	s_mov_b32 s0, 0
	s_delay_alu instid0(VALU_DEP_1) | instskip(NEXT) | instid1(VALU_DEP_1)
	v_mul_f32_e64 v7, 0x2f800000, |v3|
	v_floor_f32_e32 v7, v7
	s_delay_alu instid0(VALU_DEP_1) | instskip(SKIP_2) | instid1(VALU_DEP_3)
	v_fma_f32 v8, 0xcf800000, v7, |v3|
	v_ashrrev_i32_e32 v3, 31, v3
	v_cvt_u32_f32_e32 v7, v7
	v_cvt_u32_f32_e32 v8, v8
	s_delay_alu instid0(VALU_DEP_2) | instskip(NEXT) | instid1(VALU_DEP_2)
	v_xor_b32_e32 v10, v7, v3
	v_xor_b32_e32 v8, v8, v3
	s_delay_alu instid0(VALU_DEP_1) | instskip(NEXT) | instid1(VALU_DEP_3)
	v_sub_co_u32 v7, vcc_lo, v8, v3
	v_sub_co_ci_u32_e32 v8, vcc_lo, v10, v3, vcc_lo
	global_store_b64 v[0:1], v[7:8], off
.LBB30_1928:
	s_and_not1_b32 vcc_lo, exec_lo, s0
	s_cbranch_vccnz .LBB30_1930
; %bb.1929:
	v_cvt_i32_f32_e32 v3, v2
	global_store_b32 v[0:1], v3, off
.LBB30_1930:
	s_mov_b32 s0, 0
.LBB30_1931:
	s_delay_alu instid0(SALU_CYCLE_1)
	s_and_not1_b32 vcc_lo, exec_lo, s0
	s_cbranch_vccnz .LBB30_1933
; %bb.1932:
	v_cvt_i32_f32_e32 v3, v2
	global_store_b16 v[0:1], v3, off
.LBB30_1933:
	s_mov_b32 s0, 0
.LBB30_1934:
	s_delay_alu instid0(SALU_CYCLE_1)
	s_and_not1_b32 vcc_lo, exec_lo, s0
	s_cbranch_vccnz .LBB30_1939
; %bb.1935:
	v_cmp_lt_i16_e32 vcc_lo, 0, v9
	s_mov_b32 s0, -1
	s_cbranch_vccz .LBB30_1937
; %bb.1936:
	v_cvt_i32_f32_e32 v3, v2
	s_mov_b32 s0, 0
	global_store_b8 v[0:1], v3, off
.LBB30_1937:
	s_and_not1_b32 vcc_lo, exec_lo, s0
	s_cbranch_vccnz .LBB30_1939
; %bb.1938:
	v_trunc_f32_e32 v2, v2
	s_delay_alu instid0(VALU_DEP_1) | instskip(NEXT) | instid1(VALU_DEP_1)
	v_mul_f32_e64 v3, 0x2f800000, |v2|
	v_floor_f32_e32 v3, v3
	s_delay_alu instid0(VALU_DEP_1) | instskip(SKIP_1) | instid1(VALU_DEP_2)
	v_fma_f32 v3, 0xcf800000, v3, |v2|
	v_ashrrev_i32_e32 v2, 31, v2
	v_cvt_u32_f32_e32 v3, v3
	s_delay_alu instid0(VALU_DEP_1) | instskip(NEXT) | instid1(VALU_DEP_1)
	v_xor_b32_e32 v3, v3, v2
	v_sub_nc_u32_e32 v2, v3, v2
	global_store_b8 v[0:1], v2, off
.LBB30_1939:
	s_mov_b32 s3, -1
.LBB30_1940:
	s_delay_alu instid0(SALU_CYCLE_1)
	s_and_not1_b32 vcc_lo, exec_lo, s3
	s_cbranch_vccnz .LBB30_2136
; %bb.1941:
	v_add_nc_u32_e32 v2, s1, v6
	v_cmp_gt_i16_e32 vcc_lo, 11, v9
	s_delay_alu instid0(VALU_DEP_2) | instskip(SKIP_1) | instid1(VALU_DEP_1)
	v_ashrrev_i32_e32 v1, 31, v2
	v_add_co_u32 v0, s0, s4, v2
	v_add_co_ci_u32_e64 v1, s0, s5, v1, s0
	s_cbranch_vccnz .LBB30_2019
; %bb.1942:
	v_cmp_lt_i16_e32 vcc_lo, 25, v9
	s_mov_b32 s6, -1
	s_mov_b32 s2, 0
	s_mov_b32 s3, 0
	;; [unrolled: 1-line block ×3, first 2 shown]
	s_cbranch_vccz .LBB30_1975
; %bb.1943:
	v_cmp_lt_i16_e32 vcc_lo, 28, v9
	s_cbranch_vccz .LBB30_1958
; %bb.1944:
	v_cmp_lt_i16_e32 vcc_lo, 43, v9
	s_cbranch_vccz .LBB30_1954
; %bb.1945:
	v_cmp_lt_i16_e32 vcc_lo, 45, v9
	s_cbranch_vccz .LBB30_1948
; %bb.1946:
	v_cmp_eq_u16_e32 vcc_lo, 46, v9
	s_mov_b32 s0, -1
	s_mov_b32 s6, 0
	s_cbranch_vccz .LBB30_1948
; %bb.1947:
	v_bfe_u32 v3, v5, 16, 1
	v_cmp_o_f32_e32 vcc_lo, v5, v5
	s_mov_b32 s0, 0
	s_mov_b32 s3, -1
	s_delay_alu instid0(VALU_DEP_2) | instskip(NEXT) | instid1(VALU_DEP_1)
	v_add3_u32 v3, v5, v3, 0x7fff
	v_lshrrev_b32_e32 v3, 16, v3
	s_delay_alu instid0(VALU_DEP_1)
	v_cndmask_b32_e32 v3, 0x7fc0, v3, vcc_lo
	global_store_b32 v[0:1], v3, off
.LBB30_1948:
	s_and_b32 vcc_lo, exec_lo, s6
	s_cbranch_vccz .LBB30_1953
; %bb.1949:
	v_cmp_eq_u16_e32 vcc_lo, 44, v9
	s_mov_b32 s0, -1
	s_cbranch_vccz .LBB30_1953
; %bb.1950:
	v_bfe_u32 v6, v5, 23, 8
	v_mov_b32_e32 v3, 0xff
	s_mov_b32 s3, exec_lo
	s_delay_alu instid0(VALU_DEP_2)
	v_cmpx_ne_u32_e32 0xff, v6
; %bb.1951:
	v_and_b32_e32 v3, 0x400000, v5
	v_and_or_b32 v6, 0x3fffff, v5, v6
	s_delay_alu instid0(VALU_DEP_2) | instskip(NEXT) | instid1(VALU_DEP_2)
	v_cmp_ne_u32_e32 vcc_lo, 0, v3
	v_cmp_ne_u32_e64 s0, 0, v6
	v_lshrrev_b32_e32 v3, 23, v5
	s_delay_alu instid0(VALU_DEP_2) | instskip(NEXT) | instid1(SALU_CYCLE_1)
	s_and_b32 s0, vcc_lo, s0
	v_cndmask_b32_e64 v6, 0, 1, s0
	s_delay_alu instid0(VALU_DEP_1)
	v_add_nc_u32_e32 v3, v3, v6
; %bb.1952:
	s_or_b32 exec_lo, exec_lo, s3
	s_mov_b32 s0, 0
	s_mov_b32 s3, -1
	global_store_b8 v[0:1], v3, off
.LBB30_1953:
	s_mov_b32 s6, 0
.LBB30_1954:
	s_delay_alu instid0(SALU_CYCLE_1)
	s_and_b32 vcc_lo, exec_lo, s6
	s_cbranch_vccz .LBB30_1957
; %bb.1955:
	v_cmp_eq_u16_e32 vcc_lo, 29, v9
	s_mov_b32 s0, -1
	s_cbranch_vccz .LBB30_1957
; %bb.1956:
	v_trunc_f32_e32 v3, v5
	s_mov_b32 s0, 0
	s_mov_b32 s3, -1
	s_delay_alu instid0(VALU_DEP_1) | instskip(NEXT) | instid1(VALU_DEP_1)
	v_mul_f32_e32 v6, 0x2f800000, v3
	v_floor_f32_e32 v6, v6
	s_delay_alu instid0(VALU_DEP_1) | instskip(SKIP_1) | instid1(VALU_DEP_2)
	v_fmamk_f32 v3, v6, 0xcf800000, v3
	v_cvt_u32_f32_e32 v7, v6
	v_cvt_u32_f32_e32 v6, v3
	global_store_b64 v[0:1], v[6:7], off
.LBB30_1957:
	s_mov_b32 s6, 0
.LBB30_1958:
	s_delay_alu instid0(SALU_CYCLE_1)
	s_and_b32 vcc_lo, exec_lo, s6
	s_cbranch_vccz .LBB30_1974
; %bb.1959:
	v_cmp_gt_i16_e32 vcc_lo, 27, v9
	s_mov_b32 s3, -1
	s_cbranch_vccnz .LBB30_1965
; %bb.1960:
	v_cmp_lt_i16_e32 vcc_lo, 27, v9
	v_cvt_u32_f32_e32 v3, v5
	s_cbranch_vccz .LBB30_1962
; %bb.1961:
	s_mov_b32 s3, 0
	global_store_b32 v[0:1], v3, off
.LBB30_1962:
	s_and_not1_b32 vcc_lo, exec_lo, s3
	s_cbranch_vccnz .LBB30_1964
; %bb.1963:
	global_store_b16 v[0:1], v3, off
.LBB30_1964:
	s_mov_b32 s3, 0
.LBB30_1965:
	s_delay_alu instid0(SALU_CYCLE_1)
	s_and_not1_b32 vcc_lo, exec_lo, s3
	s_cbranch_vccnz .LBB30_1973
; %bb.1966:
	v_and_b32_e32 v3, 0x7fffffff, v5
	v_mov_b32_e32 v6, 0x80
	s_mov_b32 s3, exec_lo
	s_delay_alu instid0(VALU_DEP_2)
	v_cmpx_gt_u32_e32 0x43800000, v3
	s_cbranch_execz .LBB30_1972
; %bb.1967:
	v_cmp_lt_u32_e32 vcc_lo, 0x3bffffff, v3
	s_mov_b32 s6, 0
                                        ; implicit-def: $vgpr3
	s_and_saveexec_b32 s7, vcc_lo
	s_delay_alu instid0(SALU_CYCLE_1)
	s_xor_b32 s7, exec_lo, s7
	s_cbranch_execz .LBB30_2156
; %bb.1968:
	v_bfe_u32 v3, v5, 20, 1
	s_mov_b32 s6, exec_lo
	s_delay_alu instid0(VALU_DEP_1) | instskip(NEXT) | instid1(VALU_DEP_1)
	v_add3_u32 v3, v5, v3, 0x487ffff
	v_lshrrev_b32_e32 v3, 20, v3
	s_or_saveexec_b32 s7, s7
                                        ; implicit-def: $sgpr8
	s_delay_alu instid0(SALU_CYCLE_1)
	s_xor_b32 exec_lo, exec_lo, s7
	s_cbranch_execnz .LBB30_2157
.LBB30_1969:
	s_or_b32 exec_lo, exec_lo, s7
	v_mov_b32_e32 v6, s8
	s_and_saveexec_b32 s7, s6
.LBB30_1970:
	v_lshrrev_b32_e32 v6, 24, v5
	s_delay_alu instid0(VALU_DEP_1)
	v_and_or_b32 v6, 0x80, v6, v3
.LBB30_1971:
	s_or_b32 exec_lo, exec_lo, s7
.LBB30_1972:
	s_delay_alu instid0(SALU_CYCLE_1)
	s_or_b32 exec_lo, exec_lo, s3
	global_store_b8 v[0:1], v6, off
.LBB30_1973:
	s_mov_b32 s3, -1
.LBB30_1974:
	s_mov_b32 s6, 0
.LBB30_1975:
	s_delay_alu instid0(SALU_CYCLE_1)
	s_and_b32 vcc_lo, exec_lo, s6
	s_cbranch_vccz .LBB30_2015
; %bb.1976:
	v_cmp_lt_i16_e32 vcc_lo, 22, v9
	s_mov_b32 s2, -1
	s_cbranch_vccz .LBB30_2008
; %bb.1977:
	v_cmp_gt_i16_e32 vcc_lo, 24, v9
	s_cbranch_vccnz .LBB30_1997
; %bb.1978:
	v_cmp_lt_i16_e32 vcc_lo, 24, v9
	s_cbranch_vccz .LBB30_1986
; %bb.1979:
	v_and_b32_e32 v3, 0x7fffffff, v5
	v_mov_b32_e32 v6, 0x80
	s_mov_b32 s2, exec_lo
	s_delay_alu instid0(VALU_DEP_2)
	v_cmpx_gt_u32_e32 0x47800000, v3
	s_cbranch_execz .LBB30_1985
; %bb.1980:
	v_cmp_lt_u32_e32 vcc_lo, 0x37ffffff, v3
	s_mov_b32 s3, 0
                                        ; implicit-def: $vgpr3
	s_and_saveexec_b32 s6, vcc_lo
	s_delay_alu instid0(SALU_CYCLE_1)
	s_xor_b32 s6, exec_lo, s6
	s_cbranch_execz .LBB30_2162
; %bb.1981:
	v_bfe_u32 v3, v5, 21, 1
	s_mov_b32 s3, exec_lo
	s_delay_alu instid0(VALU_DEP_1) | instskip(NEXT) | instid1(VALU_DEP_1)
	v_add3_u32 v3, v5, v3, 0x88fffff
	v_lshrrev_b32_e32 v3, 21, v3
	s_or_saveexec_b32 s6, s6
                                        ; implicit-def: $sgpr7
	s_delay_alu instid0(SALU_CYCLE_1)
	s_xor_b32 exec_lo, exec_lo, s6
	s_cbranch_execnz .LBB30_2163
.LBB30_1982:
	s_or_b32 exec_lo, exec_lo, s6
	v_mov_b32_e32 v6, s7
	s_and_saveexec_b32 s6, s3
.LBB30_1983:
	v_lshrrev_b32_e32 v6, 24, v5
	s_delay_alu instid0(VALU_DEP_1)
	v_and_or_b32 v6, 0x80, v6, v3
.LBB30_1984:
	s_or_b32 exec_lo, exec_lo, s6
.LBB30_1985:
	s_delay_alu instid0(SALU_CYCLE_1)
	s_or_b32 exec_lo, exec_lo, s2
	s_mov_b32 s2, 0
	global_store_b8 v[0:1], v6, off
.LBB30_1986:
	s_and_b32 vcc_lo, exec_lo, s2
	s_cbranch_vccz .LBB30_1996
; %bb.1987:
	v_and_b32_e32 v6, 0x7fffffff, v5
	s_mov_b32 s2, exec_lo
                                        ; implicit-def: $vgpr3
	s_delay_alu instid0(VALU_DEP_1)
	v_cmpx_gt_u32_e32 0x43f00000, v6
	s_xor_b32 s2, exec_lo, s2
	s_cbranch_execz .LBB30_1993
; %bb.1988:
	s_mov_b32 s3, exec_lo
                                        ; implicit-def: $vgpr3
	v_cmpx_lt_u32_e32 0x3c7fffff, v6
	s_xor_b32 s3, exec_lo, s3
; %bb.1989:
	v_bfe_u32 v3, v5, 20, 1
	s_delay_alu instid0(VALU_DEP_1) | instskip(NEXT) | instid1(VALU_DEP_1)
	v_add3_u32 v3, v5, v3, 0x407ffff
	v_and_b32_e32 v6, 0xff00000, v3
	v_lshrrev_b32_e32 v3, 20, v3
	s_delay_alu instid0(VALU_DEP_2) | instskip(NEXT) | instid1(VALU_DEP_2)
	v_cmp_ne_u32_e32 vcc_lo, 0x7f00000, v6
	v_cndmask_b32_e32 v3, 0x7e, v3, vcc_lo
; %bb.1990:
	s_and_not1_saveexec_b32 s3, s3
; %bb.1991:
	v_add_f32_e64 v3, 0x46800000, |v5|
; %bb.1992:
	s_or_b32 exec_lo, exec_lo, s3
                                        ; implicit-def: $vgpr6
.LBB30_1993:
	s_and_not1_saveexec_b32 s2, s2
; %bb.1994:
	v_mov_b32_e32 v3, 0x7f
	v_cmp_lt_u32_e32 vcc_lo, 0x7f800000, v6
	s_delay_alu instid0(VALU_DEP_2)
	v_cndmask_b32_e32 v3, 0x7e, v3, vcc_lo
; %bb.1995:
	s_or_b32 exec_lo, exec_lo, s2
	v_lshrrev_b32_e32 v6, 24, v5
	s_delay_alu instid0(VALU_DEP_1)
	v_and_or_b32 v3, 0x80, v6, v3
	global_store_b8 v[0:1], v3, off
.LBB30_1996:
	s_mov_b32 s2, 0
.LBB30_1997:
	s_delay_alu instid0(SALU_CYCLE_1)
	s_and_not1_b32 vcc_lo, exec_lo, s2
	s_cbranch_vccnz .LBB30_2007
; %bb.1998:
	v_and_b32_e32 v6, 0x7fffffff, v5
	s_mov_b32 s2, exec_lo
                                        ; implicit-def: $vgpr3
	s_delay_alu instid0(VALU_DEP_1)
	v_cmpx_gt_u32_e32 0x47800000, v6
	s_xor_b32 s2, exec_lo, s2
	s_cbranch_execz .LBB30_2004
; %bb.1999:
	s_mov_b32 s3, exec_lo
                                        ; implicit-def: $vgpr3
	v_cmpx_lt_u32_e32 0x387fffff, v6
	s_xor_b32 s3, exec_lo, s3
; %bb.2000:
	v_bfe_u32 v3, v5, 21, 1
	s_delay_alu instid0(VALU_DEP_1) | instskip(NEXT) | instid1(VALU_DEP_1)
	v_add3_u32 v3, v5, v3, 0x80fffff
	v_lshrrev_b32_e32 v3, 21, v3
; %bb.2001:
	s_and_not1_saveexec_b32 s3, s3
; %bb.2002:
	v_add_f32_e64 v3, 0x43000000, |v5|
; %bb.2003:
	s_or_b32 exec_lo, exec_lo, s3
                                        ; implicit-def: $vgpr6
.LBB30_2004:
	s_and_not1_saveexec_b32 s2, s2
; %bb.2005:
	v_mov_b32_e32 v3, 0x7f
	v_cmp_lt_u32_e32 vcc_lo, 0x7f800000, v6
	s_delay_alu instid0(VALU_DEP_2)
	v_cndmask_b32_e32 v3, 0x7c, v3, vcc_lo
; %bb.2006:
	s_or_b32 exec_lo, exec_lo, s2
	v_lshrrev_b32_e32 v6, 24, v5
	s_delay_alu instid0(VALU_DEP_1)
	v_and_or_b32 v3, 0x80, v6, v3
	global_store_b8 v[0:1], v3, off
.LBB30_2007:
	s_mov_b32 s2, 0
	s_mov_b32 s3, -1
.LBB30_2008:
	s_and_not1_b32 vcc_lo, exec_lo, s2
	s_mov_b32 s2, 0
	s_cbranch_vccnz .LBB30_2015
; %bb.2009:
	v_cmp_lt_i16_e32 vcc_lo, 14, v9
	s_mov_b32 s2, -1
	s_cbranch_vccz .LBB30_2013
; %bb.2010:
	v_cmp_eq_u16_e32 vcc_lo, 15, v9
	s_mov_b32 s0, -1
	s_cbranch_vccz .LBB30_2012
; %bb.2011:
	v_bfe_u32 v3, v5, 16, 1
	v_cmp_o_f32_e32 vcc_lo, v5, v5
	s_mov_b32 s0, 0
	s_mov_b32 s3, -1
	s_delay_alu instid0(VALU_DEP_2) | instskip(NEXT) | instid1(VALU_DEP_1)
	v_add3_u32 v3, v5, v3, 0x7fff
	v_lshrrev_b32_e32 v3, 16, v3
	s_delay_alu instid0(VALU_DEP_1)
	v_cndmask_b32_e32 v3, 0x7fc0, v3, vcc_lo
	global_store_b16 v[0:1], v3, off
.LBB30_2012:
	s_mov_b32 s2, 0
.LBB30_2013:
	s_delay_alu instid0(SALU_CYCLE_1)
	s_and_b32 vcc_lo, exec_lo, s2
	s_mov_b32 s2, 0
	s_cbranch_vccz .LBB30_2015
; %bb.2014:
	v_cmp_ne_u16_e64 s0, 11, v9
	s_mov_b32 s2, -1
.LBB30_2015:
	s_delay_alu instid0(VALU_DEP_1)
	s_and_b32 vcc_lo, exec_lo, s0
	s_cbranch_vccnz .LBB30_2160
; %bb.2016:
	s_and_not1_b32 vcc_lo, exec_lo, s2
	s_cbranch_vccnz .LBB30_2018
.LBB30_2017:
	v_cmp_neq_f32_e32 vcc_lo, 0, v5
	s_mov_b32 s3, -1
	v_cndmask_b32_e64 v3, 0, 1, vcc_lo
	global_store_b8 v[0:1], v3, off
.LBB30_2018:
	s_mov_b32 s0, 0
	s_branch .LBB30_2020
.LBB30_2019:
	s_mov_b32 s0, -1
	s_mov_b32 s3, 0
.LBB30_2020:
	s_and_b32 vcc_lo, exec_lo, s0
	s_cbranch_vccz .LBB30_2059
; %bb.2021:
	v_cmp_gt_i16_e32 vcc_lo, 5, v9
	s_mov_b32 s0, -1
	s_cbranch_vccnz .LBB30_2042
; %bb.2022:
	v_cmp_gt_i16_e32 vcc_lo, 8, v9
	s_cbranch_vccnz .LBB30_2032
; %bb.2023:
	v_cmp_gt_i16_e32 vcc_lo, 9, v9
	s_cbranch_vccnz .LBB30_2029
; %bb.2024:
	v_cmp_lt_i16_e32 vcc_lo, 9, v9
	s_cbranch_vccz .LBB30_2026
; %bb.2025:
	v_cvt_f64_f32_e32 v[10:11], v5
	v_mov_b32_e32 v12, 0
	s_mov_b32 s0, 0
	s_delay_alu instid0(VALU_DEP_1)
	v_mov_b32_e32 v13, v12
	global_store_b128 v[0:1], v[10:13], off
.LBB30_2026:
	s_and_not1_b32 vcc_lo, exec_lo, s0
	s_cbranch_vccnz .LBB30_2028
; %bb.2027:
	v_mov_b32_e32 v6, 0
	global_store_b64 v[0:1], v[5:6], off
.LBB30_2028:
	s_mov_b32 s0, 0
.LBB30_2029:
	s_delay_alu instid0(SALU_CYCLE_1)
	s_and_not1_b32 vcc_lo, exec_lo, s0
	s_cbranch_vccnz .LBB30_2031
; %bb.2030:
	v_cvt_f16_f32_e32 v3, v5
	s_delay_alu instid0(VALU_DEP_1)
	v_and_b32_e32 v3, 0xffff, v3
	global_store_b32 v[0:1], v3, off
.LBB30_2031:
	s_mov_b32 s0, 0
.LBB30_2032:
	s_delay_alu instid0(SALU_CYCLE_1)
	s_and_not1_b32 vcc_lo, exec_lo, s0
	s_cbranch_vccnz .LBB30_2041
; %bb.2033:
	v_cmp_gt_i16_e32 vcc_lo, 6, v9
	s_mov_b32 s0, -1
	s_cbranch_vccnz .LBB30_2039
; %bb.2034:
	v_cmp_lt_i16_e32 vcc_lo, 6, v9
	s_cbranch_vccz .LBB30_2036
; %bb.2035:
	v_cvt_f64_f32_e32 v[6:7], v5
	s_mov_b32 s0, 0
	global_store_b64 v[0:1], v[6:7], off
.LBB30_2036:
	s_and_not1_b32 vcc_lo, exec_lo, s0
	s_cbranch_vccnz .LBB30_2038
; %bb.2037:
	global_store_b32 v[0:1], v5, off
.LBB30_2038:
	s_mov_b32 s0, 0
.LBB30_2039:
	s_delay_alu instid0(SALU_CYCLE_1)
	s_and_not1_b32 vcc_lo, exec_lo, s0
	s_cbranch_vccnz .LBB30_2041
; %bb.2040:
	v_cvt_f16_f32_e32 v3, v5
	global_store_b16 v[0:1], v3, off
.LBB30_2041:
	s_mov_b32 s0, 0
.LBB30_2042:
	s_delay_alu instid0(SALU_CYCLE_1)
	s_and_not1_b32 vcc_lo, exec_lo, s0
	s_cbranch_vccnz .LBB30_2058
; %bb.2043:
	v_cmp_gt_i16_e32 vcc_lo, 2, v9
	s_mov_b32 s0, -1
	s_cbranch_vccnz .LBB30_2053
; %bb.2044:
	v_cmp_gt_i16_e32 vcc_lo, 3, v9
	s_cbranch_vccnz .LBB30_2050
; %bb.2045:
	v_cmp_lt_i16_e32 vcc_lo, 3, v9
	s_cbranch_vccz .LBB30_2047
; %bb.2046:
	v_trunc_f32_e32 v3, v5
	s_mov_b32 s0, 0
	s_delay_alu instid0(VALU_DEP_1) | instskip(NEXT) | instid1(VALU_DEP_1)
	v_mul_f32_e64 v6, 0x2f800000, |v3|
	v_floor_f32_e32 v6, v6
	s_delay_alu instid0(VALU_DEP_1) | instskip(SKIP_2) | instid1(VALU_DEP_3)
	v_fma_f32 v7, 0xcf800000, v6, |v3|
	v_ashrrev_i32_e32 v3, 31, v3
	v_cvt_u32_f32_e32 v6, v6
	v_cvt_u32_f32_e32 v7, v7
	s_delay_alu instid0(VALU_DEP_2) | instskip(NEXT) | instid1(VALU_DEP_2)
	v_xor_b32_e32 v8, v6, v3
	v_xor_b32_e32 v7, v7, v3
	s_delay_alu instid0(VALU_DEP_1) | instskip(NEXT) | instid1(VALU_DEP_3)
	v_sub_co_u32 v6, vcc_lo, v7, v3
	v_sub_co_ci_u32_e32 v7, vcc_lo, v8, v3, vcc_lo
	global_store_b64 v[0:1], v[6:7], off
.LBB30_2047:
	s_and_not1_b32 vcc_lo, exec_lo, s0
	s_cbranch_vccnz .LBB30_2049
; %bb.2048:
	v_cvt_i32_f32_e32 v3, v5
	global_store_b32 v[0:1], v3, off
.LBB30_2049:
	s_mov_b32 s0, 0
.LBB30_2050:
	s_delay_alu instid0(SALU_CYCLE_1)
	s_and_not1_b32 vcc_lo, exec_lo, s0
	s_cbranch_vccnz .LBB30_2052
; %bb.2051:
	v_cvt_i32_f32_e32 v3, v5
	global_store_b16 v[0:1], v3, off
.LBB30_2052:
	s_mov_b32 s0, 0
.LBB30_2053:
	s_delay_alu instid0(SALU_CYCLE_1)
	s_and_not1_b32 vcc_lo, exec_lo, s0
	s_cbranch_vccnz .LBB30_2058
; %bb.2054:
	v_cmp_lt_i16_e32 vcc_lo, 0, v9
	s_mov_b32 s0, -1
	s_cbranch_vccz .LBB30_2056
; %bb.2055:
	v_cvt_i32_f32_e32 v3, v5
	s_mov_b32 s0, 0
	global_store_b8 v[0:1], v3, off
.LBB30_2056:
	s_and_not1_b32 vcc_lo, exec_lo, s0
	s_cbranch_vccnz .LBB30_2058
; %bb.2057:
	v_trunc_f32_e32 v3, v5
	s_delay_alu instid0(VALU_DEP_1) | instskip(NEXT) | instid1(VALU_DEP_1)
	v_mul_f32_e64 v5, 0x2f800000, |v3|
	v_floor_f32_e32 v5, v5
	s_delay_alu instid0(VALU_DEP_1) | instskip(SKIP_1) | instid1(VALU_DEP_2)
	v_fma_f32 v5, 0xcf800000, v5, |v3|
	v_ashrrev_i32_e32 v3, 31, v3
	v_cvt_u32_f32_e32 v5, v5
	s_delay_alu instid0(VALU_DEP_1) | instskip(NEXT) | instid1(VALU_DEP_1)
	v_xor_b32_e32 v5, v5, v3
	v_sub_nc_u32_e32 v3, v5, v3
	global_store_b8 v[0:1], v3, off
.LBB30_2058:
	s_mov_b32 s3, -1
.LBB30_2059:
	s_delay_alu instid0(SALU_CYCLE_1)
	s_and_not1_b32 vcc_lo, exec_lo, s3
	s_cbranch_vccnz .LBB30_2136
; %bb.2060:
	v_add_nc_u32_e32 v0, s1, v2
	v_cmp_gt_i16_e32 vcc_lo, 11, v9
	s_delay_alu instid0(VALU_DEP_2) | instskip(SKIP_1) | instid1(VALU_DEP_1)
	v_ashrrev_i32_e32 v1, 31, v0
	v_add_co_u32 v0, s0, s4, v0
	v_add_co_ci_u32_e64 v1, s0, s5, v1, s0
	s_cbranch_vccnz .LBB30_2137
; %bb.2061:
	v_cmp_lt_i16_e32 vcc_lo, 25, v9
	s_mov_b32 s2, -1
	s_mov_b32 s1, 0
	s_mov_b32 s0, 0
	s_cbranch_vccz .LBB30_2094
; %bb.2062:
	v_cmp_lt_i16_e32 vcc_lo, 28, v9
	s_cbranch_vccz .LBB30_2078
; %bb.2063:
	v_cmp_lt_i16_e32 vcc_lo, 43, v9
	;; [unrolled: 3-line block ×3, first 2 shown]
	s_cbranch_vccz .LBB30_2068
; %bb.2065:
	v_cmp_eq_u16_e32 vcc_lo, 46, v9
	s_mov_b32 s0, -1
	s_cbranch_vccz .LBB30_2067
; %bb.2066:
	v_bfe_u32 v2, v4, 16, 1
	v_cmp_o_f32_e32 vcc_lo, v4, v4
	s_mov_b32 s0, 0
	s_delay_alu instid0(VALU_DEP_2) | instskip(NEXT) | instid1(VALU_DEP_1)
	v_add3_u32 v2, v4, v2, 0x7fff
	v_lshrrev_b32_e32 v2, 16, v2
	s_delay_alu instid0(VALU_DEP_1)
	v_cndmask_b32_e32 v2, 0x7fc0, v2, vcc_lo
	global_store_b32 v[0:1], v2, off
.LBB30_2067:
	s_mov_b32 s2, 0
.LBB30_2068:
	s_delay_alu instid0(SALU_CYCLE_1)
	s_and_b32 vcc_lo, exec_lo, s2
	s_cbranch_vccz .LBB30_2073
; %bb.2069:
	v_cmp_eq_u16_e32 vcc_lo, 44, v9
	s_mov_b32 s0, -1
	s_cbranch_vccz .LBB30_2073
; %bb.2070:
	v_bfe_u32 v3, v4, 23, 8
	v_mov_b32_e32 v2, 0xff
	s_mov_b32 s2, exec_lo
	s_delay_alu instid0(VALU_DEP_2)
	v_cmpx_ne_u32_e32 0xff, v3
; %bb.2071:
	v_and_b32_e32 v2, 0x400000, v4
	v_and_or_b32 v3, 0x3fffff, v4, v3
	s_delay_alu instid0(VALU_DEP_2) | instskip(NEXT) | instid1(VALU_DEP_2)
	v_cmp_ne_u32_e32 vcc_lo, 0, v2
	v_cmp_ne_u32_e64 s0, 0, v3
	v_lshrrev_b32_e32 v2, 23, v4
	s_delay_alu instid0(VALU_DEP_2) | instskip(NEXT) | instid1(SALU_CYCLE_1)
	s_and_b32 s0, vcc_lo, s0
	v_cndmask_b32_e64 v3, 0, 1, s0
	s_delay_alu instid0(VALU_DEP_1)
	v_add_nc_u32_e32 v2, v2, v3
; %bb.2072:
	s_or_b32 exec_lo, exec_lo, s2
	s_mov_b32 s0, 0
	global_store_b8 v[0:1], v2, off
.LBB30_2073:
	s_mov_b32 s2, 0
.LBB30_2074:
	s_delay_alu instid0(SALU_CYCLE_1)
	s_and_b32 vcc_lo, exec_lo, s2
	s_cbranch_vccz .LBB30_2077
; %bb.2075:
	v_cmp_eq_u16_e32 vcc_lo, 29, v9
	s_mov_b32 s0, -1
	s_cbranch_vccz .LBB30_2077
; %bb.2076:
	v_trunc_f32_e32 v2, v4
	s_mov_b32 s0, 0
	s_delay_alu instid0(VALU_DEP_1) | instskip(NEXT) | instid1(VALU_DEP_1)
	v_mul_f32_e32 v3, 0x2f800000, v2
	v_floor_f32_e32 v3, v3
	s_delay_alu instid0(VALU_DEP_1) | instskip(SKIP_1) | instid1(VALU_DEP_2)
	v_fmamk_f32 v2, v3, 0xcf800000, v2
	v_cvt_u32_f32_e32 v3, v3
	v_cvt_u32_f32_e32 v2, v2
	global_store_b64 v[0:1], v[2:3], off
.LBB30_2077:
	s_mov_b32 s2, 0
.LBB30_2078:
	s_delay_alu instid0(SALU_CYCLE_1)
	s_and_b32 vcc_lo, exec_lo, s2
	s_cbranch_vccz .LBB30_2093
; %bb.2079:
	v_cmp_gt_i16_e32 vcc_lo, 27, v9
	s_mov_b32 s2, -1
	s_cbranch_vccnz .LBB30_2085
; %bb.2080:
	v_cmp_lt_i16_e32 vcc_lo, 27, v9
	v_cvt_u32_f32_e32 v2, v4
	s_cbranch_vccz .LBB30_2082
; %bb.2081:
	s_mov_b32 s2, 0
	global_store_b32 v[0:1], v2, off
.LBB30_2082:
	s_and_not1_b32 vcc_lo, exec_lo, s2
	s_cbranch_vccnz .LBB30_2084
; %bb.2083:
	global_store_b16 v[0:1], v2, off
.LBB30_2084:
	s_mov_b32 s2, 0
.LBB30_2085:
	s_delay_alu instid0(SALU_CYCLE_1)
	s_and_not1_b32 vcc_lo, exec_lo, s2
	s_cbranch_vccnz .LBB30_2093
; %bb.2086:
	v_and_b32_e32 v2, 0x7fffffff, v4
	v_mov_b32_e32 v3, 0x80
	s_mov_b32 s2, exec_lo
	s_delay_alu instid0(VALU_DEP_2)
	v_cmpx_gt_u32_e32 0x43800000, v2
	s_cbranch_execz .LBB30_2092
; %bb.2087:
	v_cmp_lt_u32_e32 vcc_lo, 0x3bffffff, v2
	s_mov_b32 s3, 0
                                        ; implicit-def: $vgpr2
	s_and_saveexec_b32 s4, vcc_lo
	s_delay_alu instid0(SALU_CYCLE_1)
	s_xor_b32 s4, exec_lo, s4
	s_cbranch_execz .LBB30_2164
; %bb.2088:
	v_bfe_u32 v2, v4, 20, 1
	s_mov_b32 s3, exec_lo
	s_delay_alu instid0(VALU_DEP_1) | instskip(NEXT) | instid1(VALU_DEP_1)
	v_add3_u32 v2, v4, v2, 0x487ffff
	v_lshrrev_b32_e32 v2, 20, v2
	s_or_saveexec_b32 s4, s4
                                        ; implicit-def: $sgpr5
	s_delay_alu instid0(SALU_CYCLE_1)
	s_xor_b32 exec_lo, exec_lo, s4
	s_cbranch_execnz .LBB30_2165
.LBB30_2089:
	s_or_b32 exec_lo, exec_lo, s4
	v_mov_b32_e32 v3, s5
	s_and_saveexec_b32 s4, s3
.LBB30_2090:
	v_lshrrev_b32_e32 v3, 24, v4
	s_delay_alu instid0(VALU_DEP_1)
	v_and_or_b32 v3, 0x80, v3, v2
.LBB30_2091:
	s_or_b32 exec_lo, exec_lo, s4
.LBB30_2092:
	s_delay_alu instid0(SALU_CYCLE_1)
	s_or_b32 exec_lo, exec_lo, s2
	global_store_b8 v[0:1], v3, off
.LBB30_2093:
	s_mov_b32 s2, 0
.LBB30_2094:
	s_delay_alu instid0(SALU_CYCLE_1)
	s_and_b32 vcc_lo, exec_lo, s2
	s_cbranch_vccz .LBB30_2134
; %bb.2095:
	v_cmp_lt_i16_e32 vcc_lo, 22, v9
	s_mov_b32 s1, -1
	s_cbranch_vccz .LBB30_2127
; %bb.2096:
	v_cmp_gt_i16_e32 vcc_lo, 24, v9
	s_cbranch_vccnz .LBB30_2116
; %bb.2097:
	v_cmp_lt_i16_e32 vcc_lo, 24, v9
	s_cbranch_vccz .LBB30_2105
; %bb.2098:
	v_and_b32_e32 v2, 0x7fffffff, v4
	v_mov_b32_e32 v3, 0x80
	s_mov_b32 s1, exec_lo
	s_delay_alu instid0(VALU_DEP_2)
	v_cmpx_gt_u32_e32 0x47800000, v2
	s_cbranch_execz .LBB30_2104
; %bb.2099:
	v_cmp_lt_u32_e32 vcc_lo, 0x37ffffff, v2
	s_mov_b32 s2, 0
                                        ; implicit-def: $vgpr2
	s_and_saveexec_b32 s3, vcc_lo
	s_delay_alu instid0(SALU_CYCLE_1)
	s_xor_b32 s3, exec_lo, s3
	s_cbranch_execz .LBB30_2170
; %bb.2100:
	v_bfe_u32 v2, v4, 21, 1
	s_mov_b32 s2, exec_lo
	s_delay_alu instid0(VALU_DEP_1) | instskip(NEXT) | instid1(VALU_DEP_1)
	v_add3_u32 v2, v4, v2, 0x88fffff
	v_lshrrev_b32_e32 v2, 21, v2
	s_or_saveexec_b32 s3, s3
                                        ; implicit-def: $sgpr4
	s_delay_alu instid0(SALU_CYCLE_1)
	s_xor_b32 exec_lo, exec_lo, s3
	s_cbranch_execnz .LBB30_2171
.LBB30_2101:
	s_or_b32 exec_lo, exec_lo, s3
	v_mov_b32_e32 v3, s4
	s_and_saveexec_b32 s3, s2
.LBB30_2102:
	v_lshrrev_b32_e32 v3, 24, v4
	s_delay_alu instid0(VALU_DEP_1)
	v_and_or_b32 v3, 0x80, v3, v2
.LBB30_2103:
	s_or_b32 exec_lo, exec_lo, s3
.LBB30_2104:
	s_delay_alu instid0(SALU_CYCLE_1)
	s_or_b32 exec_lo, exec_lo, s1
	s_mov_b32 s1, 0
	global_store_b8 v[0:1], v3, off
.LBB30_2105:
	s_and_b32 vcc_lo, exec_lo, s1
	s_cbranch_vccz .LBB30_2115
; %bb.2106:
	v_and_b32_e32 v3, 0x7fffffff, v4
	s_mov_b32 s1, exec_lo
                                        ; implicit-def: $vgpr2
	s_delay_alu instid0(VALU_DEP_1)
	v_cmpx_gt_u32_e32 0x43f00000, v3
	s_xor_b32 s1, exec_lo, s1
	s_cbranch_execz .LBB30_2112
; %bb.2107:
	s_mov_b32 s2, exec_lo
                                        ; implicit-def: $vgpr2
	v_cmpx_lt_u32_e32 0x3c7fffff, v3
	s_xor_b32 s2, exec_lo, s2
; %bb.2108:
	v_bfe_u32 v2, v4, 20, 1
	s_delay_alu instid0(VALU_DEP_1) | instskip(NEXT) | instid1(VALU_DEP_1)
	v_add3_u32 v2, v4, v2, 0x407ffff
	v_and_b32_e32 v3, 0xff00000, v2
	v_lshrrev_b32_e32 v2, 20, v2
	s_delay_alu instid0(VALU_DEP_2) | instskip(NEXT) | instid1(VALU_DEP_2)
	v_cmp_ne_u32_e32 vcc_lo, 0x7f00000, v3
	v_cndmask_b32_e32 v2, 0x7e, v2, vcc_lo
; %bb.2109:
	s_and_not1_saveexec_b32 s2, s2
; %bb.2110:
	v_add_f32_e64 v2, 0x46800000, |v4|
; %bb.2111:
	s_or_b32 exec_lo, exec_lo, s2
                                        ; implicit-def: $vgpr3
.LBB30_2112:
	s_and_not1_saveexec_b32 s1, s1
; %bb.2113:
	v_mov_b32_e32 v2, 0x7f
	v_cmp_lt_u32_e32 vcc_lo, 0x7f800000, v3
	s_delay_alu instid0(VALU_DEP_2)
	v_cndmask_b32_e32 v2, 0x7e, v2, vcc_lo
; %bb.2114:
	s_or_b32 exec_lo, exec_lo, s1
	v_lshrrev_b32_e32 v3, 24, v4
	s_delay_alu instid0(VALU_DEP_1)
	v_and_or_b32 v2, 0x80, v3, v2
	global_store_b8 v[0:1], v2, off
.LBB30_2115:
	s_mov_b32 s1, 0
.LBB30_2116:
	s_delay_alu instid0(SALU_CYCLE_1)
	s_and_not1_b32 vcc_lo, exec_lo, s1
	s_cbranch_vccnz .LBB30_2126
; %bb.2117:
	v_and_b32_e32 v3, 0x7fffffff, v4
	s_mov_b32 s1, exec_lo
                                        ; implicit-def: $vgpr2
	s_delay_alu instid0(VALU_DEP_1)
	v_cmpx_gt_u32_e32 0x47800000, v3
	s_xor_b32 s1, exec_lo, s1
	s_cbranch_execz .LBB30_2123
; %bb.2118:
	s_mov_b32 s2, exec_lo
                                        ; implicit-def: $vgpr2
	v_cmpx_lt_u32_e32 0x387fffff, v3
	s_xor_b32 s2, exec_lo, s2
; %bb.2119:
	v_bfe_u32 v2, v4, 21, 1
	s_delay_alu instid0(VALU_DEP_1) | instskip(NEXT) | instid1(VALU_DEP_1)
	v_add3_u32 v2, v4, v2, 0x80fffff
	v_lshrrev_b32_e32 v2, 21, v2
; %bb.2120:
	s_and_not1_saveexec_b32 s2, s2
; %bb.2121:
	v_add_f32_e64 v2, 0x43000000, |v4|
; %bb.2122:
	s_or_b32 exec_lo, exec_lo, s2
                                        ; implicit-def: $vgpr3
.LBB30_2123:
	s_and_not1_saveexec_b32 s1, s1
; %bb.2124:
	v_mov_b32_e32 v2, 0x7f
	v_cmp_lt_u32_e32 vcc_lo, 0x7f800000, v3
	s_delay_alu instid0(VALU_DEP_2)
	v_cndmask_b32_e32 v2, 0x7c, v2, vcc_lo
; %bb.2125:
	s_or_b32 exec_lo, exec_lo, s1
	v_lshrrev_b32_e32 v3, 24, v4
	s_delay_alu instid0(VALU_DEP_1)
	v_and_or_b32 v2, 0x80, v3, v2
	global_store_b8 v[0:1], v2, off
.LBB30_2126:
	s_mov_b32 s1, 0
.LBB30_2127:
	s_delay_alu instid0(SALU_CYCLE_1)
	s_and_not1_b32 vcc_lo, exec_lo, s1
	s_mov_b32 s1, 0
	s_cbranch_vccnz .LBB30_2134
; %bb.2128:
	v_cmp_lt_i16_e32 vcc_lo, 14, v9
	s_mov_b32 s1, -1
	s_cbranch_vccz .LBB30_2132
; %bb.2129:
	v_cmp_eq_u16_e32 vcc_lo, 15, v9
	s_mov_b32 s0, -1
	s_cbranch_vccz .LBB30_2131
; %bb.2130:
	v_bfe_u32 v2, v4, 16, 1
	v_cmp_o_f32_e32 vcc_lo, v4, v4
	s_mov_b32 s0, 0
	s_delay_alu instid0(VALU_DEP_2) | instskip(NEXT) | instid1(VALU_DEP_1)
	v_add3_u32 v2, v4, v2, 0x7fff
	v_lshrrev_b32_e32 v2, 16, v2
	s_delay_alu instid0(VALU_DEP_1)
	v_cndmask_b32_e32 v2, 0x7fc0, v2, vcc_lo
	global_store_b16 v[0:1], v2, off
.LBB30_2131:
	s_mov_b32 s1, 0
.LBB30_2132:
	s_delay_alu instid0(SALU_CYCLE_1)
	s_and_b32 vcc_lo, exec_lo, s1
	s_mov_b32 s1, 0
	s_cbranch_vccz .LBB30_2134
; %bb.2133:
	v_cmp_ne_u16_e64 s0, 11, v9
	s_mov_b32 s1, -1
.LBB30_2134:
	s_delay_alu instid0(VALU_DEP_1)
	s_and_b32 vcc_lo, exec_lo, s0
	s_cbranch_vccnz .LBB30_2168
.LBB30_2135:
	s_mov_b32 s0, 0
	s_branch .LBB30_1737
.LBB30_2136:
	s_mov_b32 s0, 0
	s_mov_b32 s1, 0
                                        ; implicit-def: $vgpr9
                                        ; implicit-def: $vgpr0_vgpr1
	s_branch .LBB30_1737
.LBB30_2137:
	s_mov_b32 s1, 0
	s_mov_b32 s0, -1
	s_branch .LBB30_1737
.LBB30_2138:
	s_cbranch_execnz .LBB30_2142
; %bb.2139:
	s_or_b32 s10, s10, exec_lo
                                        ; implicit-def: $vgpr1
	s_cbranch_execz .LBB30_1594
	s_branch .LBB30_1595
.LBB30_2140:
	s_or_saveexec_b32 s7, s7
                                        ; implicit-def: $sgpr8
	s_delay_alu instid0(SALU_CYCLE_1)
	s_xor_b32 exec_lo, exec_lo, s7
	s_cbranch_execz .LBB30_1686
.LBB30_2141:
	v_add_f32_e64 v1, 0x46000000, |v0|
	s_and_not1_b32 s6, s6, exec_lo
	s_mov_b32 s8, 0
	s_delay_alu instid0(VALU_DEP_1) | instskip(NEXT) | instid1(VALU_DEP_1)
	v_and_b32_e32 v1, 0xff, v1
	v_cmp_ne_u32_e32 vcc_lo, 0, v1
	s_and_b32 s9, vcc_lo, exec_lo
	s_delay_alu instid0(SALU_CYCLE_1)
	s_or_b32 s6, s6, s9
	s_or_b32 exec_lo, exec_lo, s7
	v_mov_b32_e32 v8, s8
	s_and_saveexec_b32 s7, s6
	s_cbranch_execnz .LBB30_1687
	s_branch .LBB30_1688
.LBB30_2142:
	s_trap 2
	s_sendmsg_rtn_b32 s0, sendmsg(MSG_RTN_GET_DOORBELL)
	s_mov_b32 ttmp2, m0
	s_waitcnt lgkmcnt(0)
	s_and_b32 s0, s0, 0x3ff
	s_delay_alu instid0(SALU_CYCLE_1) | instskip(NEXT) | instid1(SALU_CYCLE_1)
	s_bitset1_b32 s0, 10
	s_mov_b32 m0, s0
	s_sendmsg sendmsg(MSG_INTERRUPT)
	s_mov_b32 m0, ttmp2
.LBB30_2143:                            ; =>This Inner Loop Header: Depth=1
	s_sethalt 5
	s_branch .LBB30_2143
.LBB30_2144:
	s_cbranch_execnz .LBB30_2150
; %bb.2145:
	s_or_b32 s10, s10, exec_lo
	s_cbranch_execz .LBB30_1734
	s_branch .LBB30_1735
.LBB30_2146:
	s_or_saveexec_b32 s6, s6
                                        ; implicit-def: $sgpr7
	s_delay_alu instid0(SALU_CYCLE_1)
	s_xor_b32 exec_lo, exec_lo, s6
	s_cbranch_execz .LBB30_1699
.LBB30_2147:
	v_add_f32_e64 v1, 0x42800000, |v0|
	s_and_not1_b32 s3, s3, exec_lo
	s_mov_b32 s7, 0
	s_delay_alu instid0(VALU_DEP_1) | instskip(NEXT) | instid1(VALU_DEP_1)
	v_and_b32_e32 v1, 0xff, v1
	v_cmp_ne_u32_e32 vcc_lo, 0, v1
	s_and_b32 s8, vcc_lo, exec_lo
	s_delay_alu instid0(SALU_CYCLE_1)
	s_or_b32 s3, s3, s8
	s_or_b32 exec_lo, exec_lo, s6
	v_mov_b32_e32 v8, s7
	s_and_saveexec_b32 s6, s3
	s_cbranch_execnz .LBB30_1700
	s_branch .LBB30_1701
.LBB30_2148:
	s_or_saveexec_b32 s7, s7
                                        ; implicit-def: $sgpr8
	s_delay_alu instid0(SALU_CYCLE_1)
	s_xor_b32 exec_lo, exec_lo, s7
	s_cbranch_execz .LBB30_1850
.LBB30_2149:
	v_add_f32_e64 v3, 0x46000000, |v2|
	s_and_not1_b32 s6, s6, exec_lo
	s_mov_b32 s8, 0
	s_delay_alu instid0(VALU_DEP_1) | instskip(NEXT) | instid1(VALU_DEP_1)
	v_and_b32_e32 v3, 0xff, v3
	v_cmp_ne_u32_e32 vcc_lo, 0, v3
	s_and_b32 s9, vcc_lo, exec_lo
	s_delay_alu instid0(SALU_CYCLE_1)
	s_or_b32 s6, s6, s9
	s_or_b32 exec_lo, exec_lo, s7
	v_mov_b32_e32 v7, s8
	s_and_saveexec_b32 s7, s6
	s_cbranch_execnz .LBB30_1851
	s_branch .LBB30_1852
.LBB30_2150:
	s_trap 2
	s_sendmsg_rtn_b32 s0, sendmsg(MSG_RTN_GET_DOORBELL)
	s_mov_b32 ttmp2, m0
	s_waitcnt lgkmcnt(0)
	s_and_b32 s0, s0, 0x3ff
	s_delay_alu instid0(SALU_CYCLE_1) | instskip(NEXT) | instid1(SALU_CYCLE_1)
	s_bitset1_b32 s0, 10
	s_mov_b32 m0, s0
	s_sendmsg sendmsg(MSG_INTERRUPT)
	s_mov_b32 m0, ttmp2
.LBB30_2151:                            ; =>This Inner Loop Header: Depth=1
	s_sethalt 5
	s_branch .LBB30_2151
.LBB30_2152:
	s_cbranch_execnz .LBB30_2158
; %bb.2153:
	s_or_b32 s10, s10, exec_lo
	s_cbranch_execz .LBB30_1898
	s_branch .LBB30_1899
.LBB30_2154:
	s_or_saveexec_b32 s6, s6
                                        ; implicit-def: $sgpr7
	s_delay_alu instid0(SALU_CYCLE_1)
	s_xor_b32 exec_lo, exec_lo, s6
	s_cbranch_execz .LBB30_1863
.LBB30_2155:
	v_add_f32_e64 v3, 0x42800000, |v2|
	s_and_not1_b32 s3, s3, exec_lo
	s_mov_b32 s7, 0
	s_delay_alu instid0(VALU_DEP_1) | instskip(NEXT) | instid1(VALU_DEP_1)
	v_and_b32_e32 v3, 0xff, v3
	v_cmp_ne_u32_e32 vcc_lo, 0, v3
	s_and_b32 s8, vcc_lo, exec_lo
	s_delay_alu instid0(SALU_CYCLE_1)
	s_or_b32 s3, s3, s8
	s_or_b32 exec_lo, exec_lo, s6
	v_mov_b32_e32 v7, s7
	s_and_saveexec_b32 s6, s3
	s_cbranch_execnz .LBB30_1864
	s_branch .LBB30_1865
.LBB30_2156:
	s_or_saveexec_b32 s7, s7
                                        ; implicit-def: $sgpr8
	s_delay_alu instid0(SALU_CYCLE_1)
	s_xor_b32 exec_lo, exec_lo, s7
	s_cbranch_execz .LBB30_1969
.LBB30_2157:
	v_add_f32_e64 v3, 0x46000000, |v5|
	s_and_not1_b32 s6, s6, exec_lo
	s_mov_b32 s8, 0
	s_delay_alu instid0(VALU_DEP_1) | instskip(NEXT) | instid1(VALU_DEP_1)
	v_and_b32_e32 v3, 0xff, v3
	v_cmp_ne_u32_e32 vcc_lo, 0, v3
	s_and_b32 s9, vcc_lo, exec_lo
	s_delay_alu instid0(SALU_CYCLE_1)
	s_or_b32 s6, s6, s9
	s_or_b32 exec_lo, exec_lo, s7
	v_mov_b32_e32 v6, s8
	s_and_saveexec_b32 s7, s6
	s_cbranch_execnz .LBB30_1970
	s_branch .LBB30_1971
.LBB30_2158:
	s_trap 2
	s_sendmsg_rtn_b32 s0, sendmsg(MSG_RTN_GET_DOORBELL)
	s_mov_b32 ttmp2, m0
	s_waitcnt lgkmcnt(0)
	s_and_b32 s0, s0, 0x3ff
	s_delay_alu instid0(SALU_CYCLE_1) | instskip(NEXT) | instid1(SALU_CYCLE_1)
	s_bitset1_b32 s0, 10
	s_mov_b32 m0, s0
	s_sendmsg sendmsg(MSG_INTERRUPT)
	s_mov_b32 m0, ttmp2
.LBB30_2159:                            ; =>This Inner Loop Header: Depth=1
	s_sethalt 5
	s_branch .LBB30_2159
.LBB30_2160:
	s_cbranch_execnz .LBB30_2166
; %bb.2161:
	s_or_b32 s10, s10, exec_lo
	s_cbranch_execz .LBB30_2017
	s_branch .LBB30_2018
.LBB30_2162:
	s_or_saveexec_b32 s6, s6
                                        ; implicit-def: $sgpr7
	s_delay_alu instid0(SALU_CYCLE_1)
	s_xor_b32 exec_lo, exec_lo, s6
	s_cbranch_execz .LBB30_1982
.LBB30_2163:
	v_add_f32_e64 v3, 0x42800000, |v5|
	s_and_not1_b32 s3, s3, exec_lo
	s_mov_b32 s7, 0
	s_delay_alu instid0(VALU_DEP_1) | instskip(NEXT) | instid1(VALU_DEP_1)
	v_and_b32_e32 v3, 0xff, v3
	v_cmp_ne_u32_e32 vcc_lo, 0, v3
	s_and_b32 s8, vcc_lo, exec_lo
	s_delay_alu instid0(SALU_CYCLE_1)
	s_or_b32 s3, s3, s8
	s_or_b32 exec_lo, exec_lo, s6
	v_mov_b32_e32 v6, s7
	s_and_saveexec_b32 s6, s3
	s_cbranch_execnz .LBB30_1983
	s_branch .LBB30_1984
.LBB30_2164:
	s_or_saveexec_b32 s4, s4
                                        ; implicit-def: $sgpr5
	s_delay_alu instid0(SALU_CYCLE_1)
	s_xor_b32 exec_lo, exec_lo, s4
	s_cbranch_execz .LBB30_2089
.LBB30_2165:
	v_add_f32_e64 v2, 0x46000000, |v4|
	s_and_not1_b32 s3, s3, exec_lo
	s_mov_b32 s5, 0
	s_delay_alu instid0(VALU_DEP_1) | instskip(NEXT) | instid1(VALU_DEP_1)
	v_and_b32_e32 v2, 0xff, v2
	v_cmp_ne_u32_e32 vcc_lo, 0, v2
	s_and_b32 s6, vcc_lo, exec_lo
	s_delay_alu instid0(SALU_CYCLE_1)
	s_or_b32 s3, s3, s6
	s_or_b32 exec_lo, exec_lo, s4
	v_mov_b32_e32 v3, s5
	s_and_saveexec_b32 s4, s3
	s_cbranch_execnz .LBB30_2090
	s_branch .LBB30_2091
.LBB30_2166:
	s_trap 2
	s_sendmsg_rtn_b32 s0, sendmsg(MSG_RTN_GET_DOORBELL)
	s_mov_b32 ttmp2, m0
	s_waitcnt lgkmcnt(0)
	s_and_b32 s0, s0, 0x3ff
	s_delay_alu instid0(SALU_CYCLE_1) | instskip(NEXT) | instid1(SALU_CYCLE_1)
	s_bitset1_b32 s0, 10
	s_mov_b32 m0, s0
	s_sendmsg sendmsg(MSG_INTERRUPT)
	s_mov_b32 m0, ttmp2
.LBB30_2167:                            ; =>This Inner Loop Header: Depth=1
	s_sethalt 5
	s_branch .LBB30_2167
.LBB30_2168:
	s_cbranch_execnz .LBB30_2172
; %bb.2169:
	s_mov_b32 s1, 0
	s_or_b32 s10, s10, exec_lo
	s_branch .LBB30_2135
.LBB30_2170:
	s_or_saveexec_b32 s3, s3
                                        ; implicit-def: $sgpr4
	s_delay_alu instid0(SALU_CYCLE_1)
	s_xor_b32 exec_lo, exec_lo, s3
	s_cbranch_execz .LBB30_2101
.LBB30_2171:
	v_add_f32_e64 v2, 0x42800000, |v4|
	s_and_not1_b32 s2, s2, exec_lo
	s_mov_b32 s4, 0
	s_delay_alu instid0(VALU_DEP_1) | instskip(NEXT) | instid1(VALU_DEP_1)
	v_and_b32_e32 v2, 0xff, v2
	v_cmp_ne_u32_e32 vcc_lo, 0, v2
	s_and_b32 s5, vcc_lo, exec_lo
	s_delay_alu instid0(SALU_CYCLE_1)
	s_or_b32 s2, s2, s5
	s_or_b32 exec_lo, exec_lo, s3
	v_mov_b32_e32 v3, s4
	s_and_saveexec_b32 s3, s2
	s_cbranch_execnz .LBB30_2102
	s_branch .LBB30_2103
.LBB30_2172:
	s_trap 2
	s_sendmsg_rtn_b32 s0, sendmsg(MSG_RTN_GET_DOORBELL)
	s_mov_b32 ttmp2, m0
	s_waitcnt lgkmcnt(0)
	s_and_b32 s0, s0, 0x3ff
	s_delay_alu instid0(SALU_CYCLE_1) | instskip(NEXT) | instid1(SALU_CYCLE_1)
	s_bitset1_b32 s0, 10
	s_mov_b32 m0, s0
	s_sendmsg sendmsg(MSG_INTERRUPT)
	s_mov_b32 m0, ttmp2
.LBB30_2173:                            ; =>This Inner Loop Header: Depth=1
	s_sethalt 5
	s_branch .LBB30_2173
	.section	.rodata,"a",@progbits
	.p2align	6, 0x0
	.amdhsa_kernel _ZN2at6native32elementwise_kernel_manual_unrollILi128ELi4EZNS0_15gpu_kernel_implINS0_13AUnaryFunctorIfffZZZNS0_12_GLOBAL__N_132hermite_polynomial_h_kernel_cudaERNS_18TensorIteratorBaseEENKUlvE_clEvENKUlvE0_clEvEUlffE_EEEEvS6_RKT_EUlibE_EEviT1_
		.amdhsa_group_segment_fixed_size 0
		.amdhsa_private_segment_fixed_size 0
		.amdhsa_kernarg_size 48
		.amdhsa_user_sgpr_count 15
		.amdhsa_user_sgpr_dispatch_ptr 0
		.amdhsa_user_sgpr_queue_ptr 0
		.amdhsa_user_sgpr_kernarg_segment_ptr 1
		.amdhsa_user_sgpr_dispatch_id 0
		.amdhsa_user_sgpr_private_segment_size 0
		.amdhsa_wavefront_size32 1
		.amdhsa_uses_dynamic_stack 0
		.amdhsa_enable_private_segment 0
		.amdhsa_system_sgpr_workgroup_id_x 1
		.amdhsa_system_sgpr_workgroup_id_y 0
		.amdhsa_system_sgpr_workgroup_id_z 0
		.amdhsa_system_sgpr_workgroup_info 0
		.amdhsa_system_vgpr_workitem_id 0
		.amdhsa_next_free_vgpr 14
		.amdhsa_next_free_sgpr 29
		.amdhsa_reserve_vcc 1
		.amdhsa_float_round_mode_32 0
		.amdhsa_float_round_mode_16_64 0
		.amdhsa_float_denorm_mode_32 3
		.amdhsa_float_denorm_mode_16_64 3
		.amdhsa_dx10_clamp 1
		.amdhsa_ieee_mode 1
		.amdhsa_fp16_overflow 0
		.amdhsa_workgroup_processor_mode 1
		.amdhsa_memory_ordered 1
		.amdhsa_forward_progress 0
		.amdhsa_shared_vgpr_count 0
		.amdhsa_exception_fp_ieee_invalid_op 0
		.amdhsa_exception_fp_denorm_src 0
		.amdhsa_exception_fp_ieee_div_zero 0
		.amdhsa_exception_fp_ieee_overflow 0
		.amdhsa_exception_fp_ieee_underflow 0
		.amdhsa_exception_fp_ieee_inexact 0
		.amdhsa_exception_int_div_zero 0
	.end_amdhsa_kernel
	.section	.text._ZN2at6native32elementwise_kernel_manual_unrollILi128ELi4EZNS0_15gpu_kernel_implINS0_13AUnaryFunctorIfffZZZNS0_12_GLOBAL__N_132hermite_polynomial_h_kernel_cudaERNS_18TensorIteratorBaseEENKUlvE_clEvENKUlvE0_clEvEUlffE_EEEEvS6_RKT_EUlibE_EEviT1_,"axG",@progbits,_ZN2at6native32elementwise_kernel_manual_unrollILi128ELi4EZNS0_15gpu_kernel_implINS0_13AUnaryFunctorIfffZZZNS0_12_GLOBAL__N_132hermite_polynomial_h_kernel_cudaERNS_18TensorIteratorBaseEENKUlvE_clEvENKUlvE0_clEvEUlffE_EEEEvS6_RKT_EUlibE_EEviT1_,comdat
.Lfunc_end30:
	.size	_ZN2at6native32elementwise_kernel_manual_unrollILi128ELi4EZNS0_15gpu_kernel_implINS0_13AUnaryFunctorIfffZZZNS0_12_GLOBAL__N_132hermite_polynomial_h_kernel_cudaERNS_18TensorIteratorBaseEENKUlvE_clEvENKUlvE0_clEvEUlffE_EEEEvS6_RKT_EUlibE_EEviT1_, .Lfunc_end30-_ZN2at6native32elementwise_kernel_manual_unrollILi128ELi4EZNS0_15gpu_kernel_implINS0_13AUnaryFunctorIfffZZZNS0_12_GLOBAL__N_132hermite_polynomial_h_kernel_cudaERNS_18TensorIteratorBaseEENKUlvE_clEvENKUlvE0_clEvEUlffE_EEEEvS6_RKT_EUlibE_EEviT1_
                                        ; -- End function
	.section	.AMDGPU.csdata,"",@progbits
; Kernel info:
; codeLenInByte = 38244
; NumSgprs: 31
; NumVgprs: 14
; ScratchSize: 0
; MemoryBound: 1
; FloatMode: 240
; IeeeMode: 1
; LDSByteSize: 0 bytes/workgroup (compile time only)
; SGPRBlocks: 3
; VGPRBlocks: 1
; NumSGPRsForWavesPerEU: 31
; NumVGPRsForWavesPerEU: 14
; Occupancy: 16
; WaveLimiterHint : 0
; COMPUTE_PGM_RSRC2:SCRATCH_EN: 0
; COMPUTE_PGM_RSRC2:USER_SGPR: 15
; COMPUTE_PGM_RSRC2:TRAP_HANDLER: 0
; COMPUTE_PGM_RSRC2:TGID_X_EN: 1
; COMPUTE_PGM_RSRC2:TGID_Y_EN: 0
; COMPUTE_PGM_RSRC2:TGID_Z_EN: 0
; COMPUTE_PGM_RSRC2:TIDIG_COMP_CNT: 0
	.section	.text._ZN2at6native32elementwise_kernel_manual_unrollILi128ELi4EZNS0_15gpu_kernel_implINS0_13AUnaryFunctorIfffZZZNS0_12_GLOBAL__N_132hermite_polynomial_h_kernel_cudaERNS_18TensorIteratorBaseEENKUlvE_clEvENKUlvE0_clEvEUlffE_EEEEvS6_RKT_EUlibE0_EEviT1_,"axG",@progbits,_ZN2at6native32elementwise_kernel_manual_unrollILi128ELi4EZNS0_15gpu_kernel_implINS0_13AUnaryFunctorIfffZZZNS0_12_GLOBAL__N_132hermite_polynomial_h_kernel_cudaERNS_18TensorIteratorBaseEENKUlvE_clEvENKUlvE0_clEvEUlffE_EEEEvS6_RKT_EUlibE0_EEviT1_,comdat
	.globl	_ZN2at6native32elementwise_kernel_manual_unrollILi128ELi4EZNS0_15gpu_kernel_implINS0_13AUnaryFunctorIfffZZZNS0_12_GLOBAL__N_132hermite_polynomial_h_kernel_cudaERNS_18TensorIteratorBaseEENKUlvE_clEvENKUlvE0_clEvEUlffE_EEEEvS6_RKT_EUlibE0_EEviT1_ ; -- Begin function _ZN2at6native32elementwise_kernel_manual_unrollILi128ELi4EZNS0_15gpu_kernel_implINS0_13AUnaryFunctorIfffZZZNS0_12_GLOBAL__N_132hermite_polynomial_h_kernel_cudaERNS_18TensorIteratorBaseEENKUlvE_clEvENKUlvE0_clEvEUlffE_EEEEvS6_RKT_EUlibE0_EEviT1_
	.p2align	8
	.type	_ZN2at6native32elementwise_kernel_manual_unrollILi128ELi4EZNS0_15gpu_kernel_implINS0_13AUnaryFunctorIfffZZZNS0_12_GLOBAL__N_132hermite_polynomial_h_kernel_cudaERNS_18TensorIteratorBaseEENKUlvE_clEvENKUlvE0_clEvEUlffE_EEEEvS6_RKT_EUlibE0_EEviT1_,@function
_ZN2at6native32elementwise_kernel_manual_unrollILi128ELi4EZNS0_15gpu_kernel_implINS0_13AUnaryFunctorIfffZZZNS0_12_GLOBAL__N_132hermite_polynomial_h_kernel_cudaERNS_18TensorIteratorBaseEENKUlvE_clEvENKUlvE0_clEvEUlffE_EEEEvS6_RKT_EUlibE0_EEviT1_: ; @_ZN2at6native32elementwise_kernel_manual_unrollILi128ELi4EZNS0_15gpu_kernel_implINS0_13AUnaryFunctorIfffZZZNS0_12_GLOBAL__N_132hermite_polynomial_h_kernel_cudaERNS_18TensorIteratorBaseEENKUlvE_clEvENKUlvE0_clEvEUlffE_EEEEvS6_RKT_EUlibE0_EEviT1_
; %bb.0:
	s_clause 0x1
	s_load_b32 s26, s[0:1], 0x8
	s_load_b32 s33, s[0:1], 0x0
	v_lshl_or_b32 v7, s15, 9, v0
	s_or_b32 s16, s0, 8
	s_mov_b32 s23, -1
	s_mov_b32 s28, 0
	s_mov_b32 s17, s1
	v_or_b32_e32 v9, 0x180, v7
	s_mov_b32 s8, 0
	s_mov_b32 s2, exec_lo
	s_waitcnt lgkmcnt(0)
	s_add_i32 s27, s26, -1
	s_delay_alu instid0(SALU_CYCLE_1)
	s_cmp_gt_u32 s27, 1
	s_cselect_b32 s29, -1, 0
	v_cmpx_le_i32_e64 s33, v9
	s_xor_b32 s30, exec_lo, s2
	s_cbranch_execz .LBB31_1124
; %bb.1:
	s_clause 0x4
	s_load_b64 s[2:3], s[16:17], 0x15c
	s_load_b128 s[12:15], s[16:17], 0x4
	s_load_b64 s[18:19], s[16:17], 0x14
	s_load_b128 s[8:11], s[16:17], 0xc4
	s_load_b128 s[4:7], s[16:17], 0x148
	s_cmp_lg_u32 s26, 0
	s_mov_b32 s39, 0
	s_cselect_b32 s35, -1, 0
	s_add_u32 s20, s16, 0xc4
	s_addc_u32 s21, s17, 0
	s_min_u32 s34, s27, 15
	s_cmp_gt_u32 s26, 1
	s_mov_b32 s37, 0
	s_cselect_b32 s31, -1, 0
	s_mov_b32 s36, 0
	s_mov_b32 s38, exec_lo
	s_waitcnt lgkmcnt(0)
	v_lshrrev_b16 v6, 8, s3
	v_add_f32_e64 v5, s2, s2
	v_cmpx_gt_i32_e64 s33, v7
	s_cbranch_execz .LBB31_275
; %bb.2:
	s_and_not1_b32 vcc_lo, exec_lo, s29
	s_cbranch_vccnz .LBB31_7
; %bb.3:
	v_dual_mov_b32 v0, 0 :: v_dual_mov_b32 v1, 0
	s_and_not1_b32 vcc_lo, exec_lo, s35
	s_mov_b32 s2, 0
	s_cbranch_vccnz .LBB31_12
; %bb.4:
	v_mov_b32_e32 v0, 0
	s_add_i32 s37, s34, 1
	s_cmp_eq_u32 s27, 2
	s_cbranch_scc1 .LBB31_8
; %bb.5:
	v_dual_mov_b32 v1, 0 :: v_dual_mov_b32 v0, 0
	v_mov_b32_e32 v2, v7
	s_and_b32 s36, s37, 28
	s_mov_b32 s40, 0
	s_mov_b64 s[22:23], s[20:21]
	s_mov_b64 s[24:25], s[16:17]
.LBB31_6:                               ; =>This Inner Loop Header: Depth=1
	s_clause 0x1
	s_load_b256 s[44:51], s[24:25], 0x4
	s_load_b128 s[60:63], s[24:25], 0x24
	s_load_b256 s[52:59], s[22:23], 0x0
	s_add_u32 s24, s24, 48
	s_addc_u32 s25, s25, 0
	s_add_i32 s40, s40, 4
	s_add_u32 s22, s22, 32
	s_addc_u32 s23, s23, 0
	s_cmp_lg_u32 s36, s40
	s_waitcnt lgkmcnt(0)
	v_mul_hi_u32 v3, s45, v2
	s_delay_alu instid0(VALU_DEP_1) | instskip(NEXT) | instid1(VALU_DEP_1)
	v_add_nc_u32_e32 v3, v2, v3
	v_lshrrev_b32_e32 v3, s46, v3
	s_delay_alu instid0(VALU_DEP_1) | instskip(SKIP_1) | instid1(VALU_DEP_2)
	v_mul_hi_u32 v4, s48, v3
	v_mul_lo_u32 v9, v3, s44
	v_add_nc_u32_e32 v4, v3, v4
	s_delay_alu instid0(VALU_DEP_2) | instskip(NEXT) | instid1(VALU_DEP_2)
	v_sub_nc_u32_e32 v2, v2, v9
	v_lshrrev_b32_e32 v4, s49, v4
	s_delay_alu instid0(VALU_DEP_2) | instskip(SKIP_1) | instid1(VALU_DEP_3)
	v_mul_lo_u32 v9, v2, s52
	v_mul_lo_u32 v11, v2, s53
	v_mul_hi_u32 v8, s51, v4
	s_delay_alu instid0(VALU_DEP_1) | instskip(NEXT) | instid1(VALU_DEP_1)
	v_add_nc_u32_e32 v8, v4, v8
	v_lshrrev_b32_e32 v8, s60, v8
	s_delay_alu instid0(VALU_DEP_1) | instskip(SKIP_1) | instid1(VALU_DEP_2)
	v_mul_hi_u32 v10, s62, v8
	v_mul_lo_u32 v12, v8, s50
	v_add_nc_u32_e32 v2, v8, v10
	v_mul_lo_u32 v10, v4, s47
	s_delay_alu instid0(VALU_DEP_3) | instskip(NEXT) | instid1(VALU_DEP_3)
	v_sub_nc_u32_e32 v4, v4, v12
	v_lshrrev_b32_e32 v2, s63, v2
	s_delay_alu instid0(VALU_DEP_2) | instskip(SKIP_2) | instid1(VALU_DEP_4)
	v_mul_lo_u32 v12, v4, s56
	v_mul_lo_u32 v4, v4, s57
	v_sub_nc_u32_e32 v3, v3, v10
	v_mul_lo_u32 v13, v2, s61
	s_delay_alu instid0(VALU_DEP_2) | instskip(SKIP_1) | instid1(VALU_DEP_3)
	v_mul_lo_u32 v10, v3, s54
	v_mul_lo_u32 v3, v3, s55
	v_sub_nc_u32_e32 v8, v8, v13
	s_delay_alu instid0(VALU_DEP_3) | instskip(NEXT) | instid1(VALU_DEP_2)
	v_add3_u32 v0, v9, v0, v10
	v_mul_lo_u32 v13, v8, s58
	v_mul_lo_u32 v8, v8, s59
	v_add3_u32 v1, v11, v1, v3
	s_delay_alu instid0(VALU_DEP_3) | instskip(NEXT) | instid1(VALU_DEP_2)
	v_add3_u32 v0, v12, v0, v13
	v_add3_u32 v1, v4, v1, v8
	s_cbranch_scc1 .LBB31_6
	s_branch .LBB31_9
.LBB31_7:
	s_mov_b32 s2, -1
                                        ; implicit-def: $vgpr0
                                        ; implicit-def: $vgpr1
	s_branch .LBB31_12
.LBB31_8:
	v_dual_mov_b32 v2, v7 :: v_dual_mov_b32 v1, 0
.LBB31_9:
	s_and_b32 s37, s37, 3
	s_delay_alu instid0(SALU_CYCLE_1)
	s_cmp_eq_u32 s37, 0
	s_cbranch_scc1 .LBB31_12
; %bb.10:
	s_lshl_b32 s22, s36, 3
	s_mul_i32 s24, s36, 12
	s_add_u32 s22, s22, s16
	s_addc_u32 s23, s17, 0
	s_add_u32 s22, s22, 0xc4
	s_addc_u32 s23, s23, 0
	;; [unrolled: 2-line block ×3, first 2 shown]
	.p2align	6
.LBB31_11:                              ; =>This Inner Loop Header: Depth=1
	s_clause 0x1
	s_load_b64 s[40:41], s[24:25], 0x4
	s_load_b32 s36, s[24:25], 0xc
	s_load_b64 s[42:43], s[22:23], 0x0
	s_add_u32 s24, s24, 12
	s_addc_u32 s25, s25, 0
	s_add_u32 s22, s22, 8
	s_addc_u32 s23, s23, 0
	s_add_i32 s37, s37, -1
	s_delay_alu instid0(SALU_CYCLE_1) | instskip(SKIP_2) | instid1(VALU_DEP_1)
	s_cmp_lg_u32 s37, 0
	s_waitcnt lgkmcnt(0)
	v_mul_hi_u32 v3, s41, v2
	v_add_nc_u32_e32 v3, v2, v3
	s_delay_alu instid0(VALU_DEP_1) | instskip(NEXT) | instid1(VALU_DEP_1)
	v_lshrrev_b32_e32 v10, s36, v3
	v_mul_lo_u32 v3, v10, s40
	s_delay_alu instid0(VALU_DEP_1) | instskip(NEXT) | instid1(VALU_DEP_1)
	v_sub_nc_u32_e32 v2, v2, v3
	v_mad_u64_u32 v[3:4], null, v2, s42, v[0:1]
	v_mad_u64_u32 v[8:9], null, v2, s43, v[1:2]
	v_mov_b32_e32 v2, v10
	s_delay_alu instid0(VALU_DEP_2)
	v_dual_mov_b32 v0, v3 :: v_dual_mov_b32 v1, v8
	s_cbranch_scc1 .LBB31_11
.LBB31_12:
	s_and_not1_b32 vcc_lo, exec_lo, s2
	s_cbranch_vccnz .LBB31_15
; %bb.13:
	v_mul_hi_u32 v0, s13, v7
	s_and_not1_b32 vcc_lo, exec_lo, s31
	s_delay_alu instid0(VALU_DEP_1) | instskip(NEXT) | instid1(VALU_DEP_1)
	v_add_nc_u32_e32 v0, v7, v0
	v_lshrrev_b32_e32 v2, s14, v0
	s_delay_alu instid0(VALU_DEP_1) | instskip(NEXT) | instid1(VALU_DEP_1)
	v_mul_lo_u32 v0, v2, s12
	v_sub_nc_u32_e32 v1, v7, v0
	s_delay_alu instid0(VALU_DEP_1)
	v_mul_lo_u32 v0, v1, s8
	v_mul_lo_u32 v1, v1, s9
	s_cbranch_vccnz .LBB31_15
; %bb.14:
	v_mul_hi_u32 v3, s18, v2
	s_delay_alu instid0(VALU_DEP_1) | instskip(NEXT) | instid1(VALU_DEP_1)
	v_add_nc_u32_e32 v3, v2, v3
	v_lshrrev_b32_e32 v3, s19, v3
	s_delay_alu instid0(VALU_DEP_1) | instskip(NEXT) | instid1(VALU_DEP_1)
	v_mul_lo_u32 v3, v3, s15
	v_sub_nc_u32_e32 v8, v2, v3
	s_delay_alu instid0(VALU_DEP_1) | instskip(NEXT) | instid1(VALU_DEP_1)
	v_mad_u64_u32 v[2:3], null, v8, s10, v[0:1]
	v_mad_u64_u32 v[3:4], null, v8, s11, v[1:2]
	s_delay_alu instid0(VALU_DEP_1)
	v_dual_mov_b32 v0, v2 :: v_dual_mov_b32 v1, v3
.LBB31_15:
	v_cmp_gt_i16_e32 vcc_lo, 11, v6
	s_delay_alu instid0(VALU_DEP_2) | instskip(NEXT) | instid1(VALU_DEP_1)
	v_add_co_u32 v1, s2, s6, v1
	v_add_co_ci_u32_e64 v2, null, s7, 0, s2
	s_mov_b32 s24, 0
	s_cbranch_vccnz .LBB31_22
; %bb.16:
	v_cmp_lt_i16_e32 vcc_lo, 25, v6
	s_cbranch_vccz .LBB31_153
; %bb.17:
	v_cmp_lt_i16_e32 vcc_lo, 28, v6
	s_cbranch_vccz .LBB31_154
	;; [unrolled: 3-line block ×4, first 2 shown]
; %bb.20:
	v_cmp_eq_u16_e32 vcc_lo, 46, v6
	s_mov_b32 s22, 0
	s_cbranch_vccz .LBB31_157
; %bb.21:
	global_load_b32 v3, v[1:2], off
	s_mov_b32 s2, -1
	s_waitcnt vmcnt(0)
	v_lshlrev_b32_e32 v3, 16, v3
	s_branch .LBB31_159
.LBB31_22:
	s_mov_b32 s2, 0
                                        ; implicit-def: $vgpr3
	s_cbranch_execnz .LBB31_225
.LBB31_23:
	s_and_not1_b32 vcc_lo, exec_lo, s2
	s_cbranch_vccnz .LBB31_272
.LBB31_24:
	s_waitcnt vmcnt(0)
	s_delay_alu instid0(VALU_DEP_1) | instskip(SKIP_1) | instid1(VALU_DEP_1)
	v_trunc_f32_e32 v1, v3
	s_mov_b32 s2, exec_lo
	v_mul_f32_e64 v2, 0x2f800000, |v1|
	s_delay_alu instid0(VALU_DEP_1) | instskip(NEXT) | instid1(VALU_DEP_1)
	v_floor_f32_e32 v2, v2
	v_fma_f32 v4, 0xcf800000, v2, |v1|
	v_ashrrev_i32_e32 v1, 31, v1
	v_cvt_u32_f32_e32 v2, v2
	s_delay_alu instid0(VALU_DEP_3) | instskip(NEXT) | instid1(VALU_DEP_2)
	v_cvt_u32_f32_e32 v4, v4
	v_xor_b32_e32 v2, v2, v1
	s_delay_alu instid0(VALU_DEP_2) | instskip(NEXT) | instid1(VALU_DEP_1)
	v_xor_b32_e32 v4, v4, v1
	v_sub_co_u32 v4, vcc_lo, v4, v1
	s_delay_alu instid0(VALU_DEP_3) | instskip(SKIP_1) | instid1(VALU_DEP_2)
	v_sub_co_ci_u32_e32 v1, vcc_lo, v2, v1, vcc_lo
	v_cmp_class_f32_e64 vcc_lo, v3, 0x1f8
	v_dual_cndmask_b32 v3, -1, v1 :: v_dual_cndmask_b32 v2, -1, v4
	v_mov_b32_e32 v1, 0
	s_delay_alu instid0(VALU_DEP_2)
	v_cmpx_lt_i64_e32 -1, v[2:3]
	s_cbranch_execz .LBB31_36
; %bb.25:
	v_mov_b32_e32 v1, 1.0
	s_mov_b32 s25, exec_lo
	v_cmpx_lt_i64_e32 0, v[2:3]
	s_cbranch_execz .LBB31_35
; %bb.26:
                                        ; implicit-def: $vgpr1
	s_mov_b32 s22, exec_lo
	v_cmpx_ne_u64_e32 1, v[2:3]
	s_xor_b32 s36, exec_lo, s22
	s_cbranch_execz .LBB31_32
; %bb.27:
	v_mov_b32_e32 v1, 0x7fc00000
	s_mov_b32 s37, exec_lo
	v_cmpx_gt_u64_e32 0x81, v[2:3]
	s_cbranch_execz .LBB31_31
; %bb.28:
	v_lshlrev_b64 v[2:3], 1, v[2:3]
	v_dual_mov_b32 v4, 1.0 :: v_dual_mov_b32 v1, v5
	s_mov_b64 s[22:23], 2
	s_mov_b32 s40, 0
	.p2align	6
.LBB31_29:                              ; =>This Inner Loop Header: Depth=1
	s_clz_i32_u32 s41, s23
	s_delay_alu instid0(SALU_CYCLE_1) | instskip(NEXT) | instid1(SALU_CYCLE_1)
	s_min_u32 s41, s41, 32
	s_lshl_b64 s[42:43], s[22:23], s41
	s_sub_i32 s41, 32, s41
	s_min_u32 s42, s42, 1
	s_delay_alu instid0(SALU_CYCLE_1) | instskip(SKIP_3) | instid1(SALU_CYCLE_1)
	s_or_b32 s42, s43, s42
	s_add_u32 s22, s22, 2
	v_cvt_f32_u32_e32 v8, s42
	s_addc_u32 s23, s23, 0
	v_cmp_ge_u64_e32 vcc_lo, s[22:23], v[2:3]
	s_delay_alu instid0(VALU_DEP_2) | instskip(SKIP_1) | instid1(VALU_DEP_1)
	v_ldexp_f32 v8, v8, s41
	s_or_b32 s40, vcc_lo, s40
	v_mul_f32_e32 v8, v4, v8
	v_mov_b32_e32 v4, v1
	s_delay_alu instid0(VALU_DEP_2)
	v_fma_f32 v1, v5, v1, -v8
	s_and_not1_b32 exec_lo, exec_lo, s40
	s_cbranch_execnz .LBB31_29
; %bb.30:
	s_or_b32 exec_lo, exec_lo, s40
.LBB31_31:
	s_delay_alu instid0(SALU_CYCLE_1)
	s_or_b32 exec_lo, exec_lo, s37
.LBB31_32:
	s_and_not1_saveexec_b32 s22, s36
; %bb.33:
	v_mov_b32_e32 v1, v5
; %bb.34:
	s_or_b32 exec_lo, exec_lo, s22
.LBB31_35:
	s_delay_alu instid0(SALU_CYCLE_1)
	s_or_b32 exec_lo, exec_lo, s25
.LBB31_36:
	s_delay_alu instid0(SALU_CYCLE_1) | instskip(SKIP_2) | instid1(VALU_DEP_1)
	s_or_b32 exec_lo, exec_lo, s2
	v_and_b32_e64 v8, 0xff, s3
	v_add_co_u32 v3, s22, s4, v0
	v_add_co_ci_u32_e64 v4, null, s5, 0, s22
	s_delay_alu instid0(VALU_DEP_3)
	v_cmp_gt_i16_e32 vcc_lo, 11, v8
	s_mov_b32 s2, 0
	s_mov_b32 s23, -1
	s_mov_b32 s22, 0
	s_cbranch_vccnz .LBB31_113
; %bb.37:
	v_cmp_lt_i16_e32 vcc_lo, 25, v8
	s_cbranch_vccz .LBB31_70
; %bb.38:
	v_cmp_lt_i16_e32 vcc_lo, 28, v8
	s_cbranch_vccz .LBB31_53
	;; [unrolled: 3-line block ×4, first 2 shown]
; %bb.41:
	v_cmp_eq_u16_e32 vcc_lo, 46, v8
	s_mov_b32 s23, 0
	s_mov_b32 s2, -1
	s_cbranch_vccz .LBB31_43
; %bb.42:
	v_bfe_u32 v0, v1, 16, 1
	v_cmp_o_f32_e32 vcc_lo, v1, v1
	s_mov_b32 s22, -1
	s_mov_b32 s2, 0
	s_delay_alu instid0(VALU_DEP_2) | instskip(NEXT) | instid1(VALU_DEP_1)
	v_add3_u32 v0, v1, v0, 0x7fff
	v_lshrrev_b32_e32 v0, 16, v0
	s_delay_alu instid0(VALU_DEP_1)
	v_cndmask_b32_e32 v0, 0x7fc0, v0, vcc_lo
	global_store_b32 v[3:4], v0, off
.LBB31_43:
	s_and_b32 vcc_lo, exec_lo, s23
	s_cbranch_vccz .LBB31_48
; %bb.44:
	v_cmp_eq_u16_e32 vcc_lo, 44, v8
	s_mov_b32 s2, -1
	s_cbranch_vccz .LBB31_48
; %bb.45:
	v_bfe_u32 v2, v1, 23, 8
	v_mov_b32_e32 v0, 0xff
	s_mov_b32 s22, exec_lo
	s_delay_alu instid0(VALU_DEP_2)
	v_cmpx_ne_u32_e32 0xff, v2
; %bb.46:
	v_and_b32_e32 v0, 0x400000, v1
	v_and_or_b32 v2, 0x3fffff, v1, v2
	s_delay_alu instid0(VALU_DEP_2) | instskip(NEXT) | instid1(VALU_DEP_2)
	v_cmp_ne_u32_e32 vcc_lo, 0, v0
	v_cmp_ne_u32_e64 s2, 0, v2
	v_lshrrev_b32_e32 v0, 23, v1
	s_delay_alu instid0(VALU_DEP_2) | instskip(NEXT) | instid1(SALU_CYCLE_1)
	s_and_b32 s2, vcc_lo, s2
	v_cndmask_b32_e64 v2, 0, 1, s2
	s_delay_alu instid0(VALU_DEP_1)
	v_add_nc_u32_e32 v0, v0, v2
; %bb.47:
	s_or_b32 exec_lo, exec_lo, s22
	s_mov_b32 s22, -1
	s_mov_b32 s2, 0
	global_store_b8 v[3:4], v0, off
.LBB31_48:
	s_mov_b32 s23, 0
.LBB31_49:
	s_delay_alu instid0(SALU_CYCLE_1)
	s_and_b32 vcc_lo, exec_lo, s23
	s_cbranch_vccz .LBB31_52
; %bb.50:
	v_cmp_eq_u16_e32 vcc_lo, 29, v8
	s_mov_b32 s2, -1
	s_cbranch_vccz .LBB31_52
; %bb.51:
	v_trunc_f32_e32 v0, v1
	s_mov_b32 s22, -1
	s_mov_b32 s2, 0
	s_delay_alu instid0(VALU_DEP_1) | instskip(NEXT) | instid1(VALU_DEP_1)
	v_mul_f32_e32 v2, 0x2f800000, v0
	v_floor_f32_e32 v2, v2
	s_delay_alu instid0(VALU_DEP_1) | instskip(SKIP_1) | instid1(VALU_DEP_2)
	v_fmamk_f32 v0, v2, 0xcf800000, v0
	v_cvt_u32_f32_e32 v10, v2
	v_cvt_u32_f32_e32 v9, v0
	global_store_b64 v[3:4], v[9:10], off
.LBB31_52:
	s_mov_b32 s23, 0
.LBB31_53:
	s_delay_alu instid0(SALU_CYCLE_1)
	s_and_b32 vcc_lo, exec_lo, s23
	s_cbranch_vccz .LBB31_69
; %bb.54:
	v_cmp_gt_i16_e32 vcc_lo, 27, v8
	s_mov_b32 s22, -1
	s_cbranch_vccnz .LBB31_60
; %bb.55:
	v_cmp_lt_i16_e32 vcc_lo, 27, v8
	s_cbranch_vccz .LBB31_57
; %bb.56:
	v_cvt_u32_f32_e32 v0, v1
	s_mov_b32 s22, 0
	global_store_b32 v[3:4], v0, off
.LBB31_57:
	s_and_not1_b32 vcc_lo, exec_lo, s22
	s_cbranch_vccnz .LBB31_59
; %bb.58:
	v_cvt_u32_f32_e32 v0, v1
	global_store_b16 v[3:4], v0, off
.LBB31_59:
	s_mov_b32 s22, 0
.LBB31_60:
	s_delay_alu instid0(SALU_CYCLE_1)
	s_and_not1_b32 vcc_lo, exec_lo, s22
	s_cbranch_vccnz .LBB31_68
; %bb.61:
	v_and_b32_e32 v0, 0x7fffffff, v1
	v_mov_b32_e32 v2, 0x80
	s_mov_b32 s22, exec_lo
	s_delay_alu instid0(VALU_DEP_2)
	v_cmpx_gt_u32_e32 0x43800000, v0
	s_cbranch_execz .LBB31_67
; %bb.62:
	v_cmp_lt_u32_e32 vcc_lo, 0x3bffffff, v0
	s_mov_b32 s23, 0
                                        ; implicit-def: $vgpr0
	s_and_saveexec_b32 s25, vcc_lo
	s_delay_alu instid0(SALU_CYCLE_1)
	s_xor_b32 s25, exec_lo, s25
	s_cbranch_execz .LBB31_162
; %bb.63:
	v_bfe_u32 v0, v1, 20, 1
	s_mov_b32 s23, exec_lo
	s_delay_alu instid0(VALU_DEP_1) | instskip(NEXT) | instid1(VALU_DEP_1)
	v_add3_u32 v0, v1, v0, 0x487ffff
	v_lshrrev_b32_e32 v0, 20, v0
	s_or_saveexec_b32 s25, s25
                                        ; implicit-def: $sgpr36
	s_delay_alu instid0(SALU_CYCLE_1)
	s_xor_b32 exec_lo, exec_lo, s25
	s_cbranch_execnz .LBB31_163
.LBB31_64:
	s_or_b32 exec_lo, exec_lo, s25
	v_mov_b32_e32 v2, s36
	s_and_saveexec_b32 s25, s23
.LBB31_65:
	v_lshrrev_b32_e32 v2, 24, v1
	s_delay_alu instid0(VALU_DEP_1)
	v_and_or_b32 v2, 0x80, v2, v0
.LBB31_66:
	s_or_b32 exec_lo, exec_lo, s25
.LBB31_67:
	s_delay_alu instid0(SALU_CYCLE_1)
	s_or_b32 exec_lo, exec_lo, s22
	global_store_b8 v[3:4], v2, off
.LBB31_68:
	s_mov_b32 s22, -1
.LBB31_69:
	s_mov_b32 s23, 0
.LBB31_70:
	s_delay_alu instid0(SALU_CYCLE_1)
	s_and_b32 vcc_lo, exec_lo, s23
	s_cbranch_vccz .LBB31_111
; %bb.71:
	v_cmp_lt_i16_e32 vcc_lo, 22, v8
	s_mov_b32 s23, -1
	s_cbranch_vccz .LBB31_103
; %bb.72:
	v_cmp_gt_i16_e32 vcc_lo, 24, v8
	s_mov_b32 s22, -1
	s_cbranch_vccnz .LBB31_92
; %bb.73:
	v_cmp_lt_i16_e32 vcc_lo, 24, v8
	s_cbranch_vccz .LBB31_81
; %bb.74:
	v_and_b32_e32 v0, 0x7fffffff, v1
	v_mov_b32_e32 v2, 0x80
	s_mov_b32 s22, exec_lo
	s_delay_alu instid0(VALU_DEP_2)
	v_cmpx_gt_u32_e32 0x47800000, v0
	s_cbranch_execz .LBB31_80
; %bb.75:
	v_cmp_lt_u32_e32 vcc_lo, 0x37ffffff, v0
	s_mov_b32 s23, 0
                                        ; implicit-def: $vgpr0
	s_and_saveexec_b32 s25, vcc_lo
	s_delay_alu instid0(SALU_CYCLE_1)
	s_xor_b32 s25, exec_lo, s25
	s_cbranch_execz .LBB31_365
; %bb.76:
	v_bfe_u32 v0, v1, 21, 1
	s_mov_b32 s23, exec_lo
	s_delay_alu instid0(VALU_DEP_1) | instskip(NEXT) | instid1(VALU_DEP_1)
	v_add3_u32 v0, v1, v0, 0x88fffff
	v_lshrrev_b32_e32 v0, 21, v0
	s_or_saveexec_b32 s25, s25
                                        ; implicit-def: $sgpr36
	s_delay_alu instid0(SALU_CYCLE_1)
	s_xor_b32 exec_lo, exec_lo, s25
	s_cbranch_execnz .LBB31_366
.LBB31_77:
	s_or_b32 exec_lo, exec_lo, s25
	v_mov_b32_e32 v2, s36
	s_and_saveexec_b32 s25, s23
.LBB31_78:
	v_lshrrev_b32_e32 v2, 24, v1
	s_delay_alu instid0(VALU_DEP_1)
	v_and_or_b32 v2, 0x80, v2, v0
.LBB31_79:
	s_or_b32 exec_lo, exec_lo, s25
.LBB31_80:
	s_delay_alu instid0(SALU_CYCLE_1)
	s_or_b32 exec_lo, exec_lo, s22
	s_mov_b32 s22, 0
	global_store_b8 v[3:4], v2, off
.LBB31_81:
	s_and_b32 vcc_lo, exec_lo, s22
	s_cbranch_vccz .LBB31_91
; %bb.82:
	v_and_b32_e32 v2, 0x7fffffff, v1
	s_mov_b32 s22, exec_lo
                                        ; implicit-def: $vgpr0
	s_delay_alu instid0(VALU_DEP_1)
	v_cmpx_gt_u32_e32 0x43f00000, v2
	s_xor_b32 s22, exec_lo, s22
	s_cbranch_execz .LBB31_88
; %bb.83:
	s_mov_b32 s23, exec_lo
                                        ; implicit-def: $vgpr0
	v_cmpx_lt_u32_e32 0x3c7fffff, v2
	s_xor_b32 s23, exec_lo, s23
; %bb.84:
	v_bfe_u32 v0, v1, 20, 1
	s_delay_alu instid0(VALU_DEP_1) | instskip(NEXT) | instid1(VALU_DEP_1)
	v_add3_u32 v0, v1, v0, 0x407ffff
	v_and_b32_e32 v2, 0xff00000, v0
	v_lshrrev_b32_e32 v0, 20, v0
	s_delay_alu instid0(VALU_DEP_2) | instskip(NEXT) | instid1(VALU_DEP_2)
	v_cmp_ne_u32_e32 vcc_lo, 0x7f00000, v2
	v_cndmask_b32_e32 v0, 0x7e, v0, vcc_lo
; %bb.85:
	s_and_not1_saveexec_b32 s23, s23
; %bb.86:
	v_add_f32_e64 v0, 0x46800000, |v1|
; %bb.87:
	s_or_b32 exec_lo, exec_lo, s23
                                        ; implicit-def: $vgpr2
.LBB31_88:
	s_and_not1_saveexec_b32 s22, s22
; %bb.89:
	v_mov_b32_e32 v0, 0x7f
	v_cmp_lt_u32_e32 vcc_lo, 0x7f800000, v2
	s_delay_alu instid0(VALU_DEP_2)
	v_cndmask_b32_e32 v0, 0x7e, v0, vcc_lo
; %bb.90:
	s_or_b32 exec_lo, exec_lo, s22
	v_lshrrev_b32_e32 v2, 24, v1
	s_delay_alu instid0(VALU_DEP_1)
	v_and_or_b32 v0, 0x80, v2, v0
	global_store_b8 v[3:4], v0, off
.LBB31_91:
	s_mov_b32 s22, 0
.LBB31_92:
	s_delay_alu instid0(SALU_CYCLE_1)
	s_and_not1_b32 vcc_lo, exec_lo, s22
	s_cbranch_vccnz .LBB31_102
; %bb.93:
	v_and_b32_e32 v2, 0x7fffffff, v1
	s_mov_b32 s22, exec_lo
                                        ; implicit-def: $vgpr0
	s_delay_alu instid0(VALU_DEP_1)
	v_cmpx_gt_u32_e32 0x47800000, v2
	s_xor_b32 s22, exec_lo, s22
	s_cbranch_execz .LBB31_99
; %bb.94:
	s_mov_b32 s23, exec_lo
                                        ; implicit-def: $vgpr0
	v_cmpx_lt_u32_e32 0x387fffff, v2
	s_xor_b32 s23, exec_lo, s23
; %bb.95:
	v_bfe_u32 v0, v1, 21, 1
	s_delay_alu instid0(VALU_DEP_1) | instskip(NEXT) | instid1(VALU_DEP_1)
	v_add3_u32 v0, v1, v0, 0x80fffff
	v_lshrrev_b32_e32 v0, 21, v0
; %bb.96:
	s_and_not1_saveexec_b32 s23, s23
; %bb.97:
	v_add_f32_e64 v0, 0x43000000, |v1|
; %bb.98:
	s_or_b32 exec_lo, exec_lo, s23
                                        ; implicit-def: $vgpr2
.LBB31_99:
	s_and_not1_saveexec_b32 s22, s22
; %bb.100:
	v_mov_b32_e32 v0, 0x7f
	v_cmp_lt_u32_e32 vcc_lo, 0x7f800000, v2
	s_delay_alu instid0(VALU_DEP_2)
	v_cndmask_b32_e32 v0, 0x7c, v0, vcc_lo
; %bb.101:
	s_or_b32 exec_lo, exec_lo, s22
	v_lshrrev_b32_e32 v2, 24, v1
	s_delay_alu instid0(VALU_DEP_1)
	v_and_or_b32 v0, 0x80, v2, v0
	global_store_b8 v[3:4], v0, off
.LBB31_102:
	s_mov_b32 s23, 0
	s_mov_b32 s22, -1
.LBB31_103:
	s_and_not1_b32 vcc_lo, exec_lo, s23
	s_cbranch_vccnz .LBB31_111
; %bb.104:
	v_cmp_lt_i16_e32 vcc_lo, 14, v8
	s_mov_b32 s23, -1
	s_cbranch_vccz .LBB31_108
; %bb.105:
	v_cmp_eq_u16_e32 vcc_lo, 15, v8
	s_mov_b32 s2, -1
	s_cbranch_vccz .LBB31_107
; %bb.106:
	v_bfe_u32 v0, v1, 16, 1
	v_cmp_o_f32_e32 vcc_lo, v1, v1
	s_mov_b32 s22, -1
	s_mov_b32 s2, 0
	s_delay_alu instid0(VALU_DEP_2) | instskip(NEXT) | instid1(VALU_DEP_1)
	v_add3_u32 v0, v1, v0, 0x7fff
	v_lshrrev_b32_e32 v0, 16, v0
	s_delay_alu instid0(VALU_DEP_1)
	v_cndmask_b32_e32 v0, 0x7fc0, v0, vcc_lo
	global_store_b16 v[3:4], v0, off
.LBB31_107:
	s_mov_b32 s23, 0
.LBB31_108:
	s_delay_alu instid0(SALU_CYCLE_1)
	s_and_b32 vcc_lo, exec_lo, s23
	s_cbranch_vccz .LBB31_111
; %bb.109:
	v_cmp_eq_u16_e32 vcc_lo, 11, v8
	s_mov_b32 s2, -1
	s_cbranch_vccz .LBB31_111
; %bb.110:
	v_cmp_neq_f32_e32 vcc_lo, 0, v1
	s_mov_b32 s2, 0
	s_mov_b32 s22, -1
	v_cndmask_b32_e64 v0, 0, 1, vcc_lo
	global_store_b8 v[3:4], v0, off
.LBB31_111:
.LBB31_112:
	s_and_not1_b32 vcc_lo, exec_lo, s22
	s_cbranch_vccz .LBB31_152
	s_branch .LBB31_273
.LBB31_113:
	s_and_b32 vcc_lo, exec_lo, s23
	s_cbranch_vccz .LBB31_112
; %bb.114:
	v_cmp_gt_i16_e32 vcc_lo, 5, v8
	s_mov_b32 s22, -1
	s_cbranch_vccnz .LBB31_135
; %bb.115:
	v_cmp_gt_i16_e32 vcc_lo, 8, v8
	s_cbranch_vccnz .LBB31_125
; %bb.116:
	v_cmp_gt_i16_e32 vcc_lo, 9, v8
	s_cbranch_vccnz .LBB31_122
; %bb.117:
	v_cmp_lt_i16_e32 vcc_lo, 9, v8
	s_cbranch_vccz .LBB31_119
; %bb.118:
	v_cvt_f64_f32_e32 v[9:10], v1
	v_mov_b32_e32 v11, 0
	s_mov_b32 s22, 0
	s_delay_alu instid0(VALU_DEP_1)
	v_mov_b32_e32 v12, v11
	global_store_b128 v[3:4], v[9:12], off
.LBB31_119:
	s_and_not1_b32 vcc_lo, exec_lo, s22
	s_cbranch_vccnz .LBB31_121
; %bb.120:
	v_mov_b32_e32 v2, 0
	global_store_b64 v[3:4], v[1:2], off
.LBB31_121:
	s_mov_b32 s22, 0
.LBB31_122:
	s_delay_alu instid0(SALU_CYCLE_1)
	s_and_not1_b32 vcc_lo, exec_lo, s22
	s_cbranch_vccnz .LBB31_124
; %bb.123:
	v_cvt_f16_f32_e32 v0, v1
	s_delay_alu instid0(VALU_DEP_1)
	v_and_b32_e32 v0, 0xffff, v0
	global_store_b32 v[3:4], v0, off
.LBB31_124:
	s_mov_b32 s22, 0
.LBB31_125:
	s_delay_alu instid0(SALU_CYCLE_1)
	s_and_not1_b32 vcc_lo, exec_lo, s22
	s_cbranch_vccnz .LBB31_134
; %bb.126:
	v_cmp_gt_i16_e32 vcc_lo, 6, v8
	s_mov_b32 s22, -1
	s_cbranch_vccnz .LBB31_132
; %bb.127:
	v_cmp_lt_i16_e32 vcc_lo, 6, v8
	s_cbranch_vccz .LBB31_129
; %bb.128:
	v_cvt_f64_f32_e32 v[9:10], v1
	s_mov_b32 s22, 0
	global_store_b64 v[3:4], v[9:10], off
.LBB31_129:
	s_and_not1_b32 vcc_lo, exec_lo, s22
	s_cbranch_vccnz .LBB31_131
; %bb.130:
	global_store_b32 v[3:4], v1, off
.LBB31_131:
	s_mov_b32 s22, 0
.LBB31_132:
	s_delay_alu instid0(SALU_CYCLE_1)
	s_and_not1_b32 vcc_lo, exec_lo, s22
	s_cbranch_vccnz .LBB31_134
; %bb.133:
	v_cvt_f16_f32_e32 v0, v1
	global_store_b16 v[3:4], v0, off
.LBB31_134:
	s_mov_b32 s22, 0
.LBB31_135:
	s_delay_alu instid0(SALU_CYCLE_1)
	s_and_not1_b32 vcc_lo, exec_lo, s22
	s_cbranch_vccnz .LBB31_151
; %bb.136:
	v_cmp_gt_i16_e32 vcc_lo, 2, v8
	s_mov_b32 s22, -1
	s_cbranch_vccnz .LBB31_146
; %bb.137:
	v_cmp_gt_i16_e32 vcc_lo, 3, v8
	s_cbranch_vccnz .LBB31_143
; %bb.138:
	v_cmp_lt_i16_e32 vcc_lo, 3, v8
	s_cbranch_vccz .LBB31_140
; %bb.139:
	v_trunc_f32_e32 v0, v1
	s_mov_b32 s22, 0
	s_delay_alu instid0(VALU_DEP_1) | instskip(NEXT) | instid1(VALU_DEP_1)
	v_mul_f32_e64 v2, 0x2f800000, |v0|
	v_floor_f32_e32 v2, v2
	s_delay_alu instid0(VALU_DEP_1) | instskip(SKIP_2) | instid1(VALU_DEP_3)
	v_fma_f32 v9, 0xcf800000, v2, |v0|
	v_ashrrev_i32_e32 v0, 31, v0
	v_cvt_u32_f32_e32 v2, v2
	v_cvt_u32_f32_e32 v9, v9
	s_delay_alu instid0(VALU_DEP_2) | instskip(NEXT) | instid1(VALU_DEP_2)
	v_xor_b32_e32 v2, v2, v0
	v_xor_b32_e32 v9, v9, v0
	s_delay_alu instid0(VALU_DEP_1) | instskip(NEXT) | instid1(VALU_DEP_3)
	v_sub_co_u32 v9, vcc_lo, v9, v0
	v_sub_co_ci_u32_e32 v10, vcc_lo, v2, v0, vcc_lo
	global_store_b64 v[3:4], v[9:10], off
.LBB31_140:
	s_and_not1_b32 vcc_lo, exec_lo, s22
	s_cbranch_vccnz .LBB31_142
; %bb.141:
	v_cvt_i32_f32_e32 v0, v1
	global_store_b32 v[3:4], v0, off
.LBB31_142:
	s_mov_b32 s22, 0
.LBB31_143:
	s_delay_alu instid0(SALU_CYCLE_1)
	s_and_not1_b32 vcc_lo, exec_lo, s22
	s_cbranch_vccnz .LBB31_145
; %bb.144:
	v_cvt_i32_f32_e32 v0, v1
	global_store_b16 v[3:4], v0, off
.LBB31_145:
	s_mov_b32 s22, 0
.LBB31_146:
	s_delay_alu instid0(SALU_CYCLE_1)
	s_and_not1_b32 vcc_lo, exec_lo, s22
	s_cbranch_vccnz .LBB31_151
; %bb.147:
	v_cmp_lt_i16_e32 vcc_lo, 0, v8
	s_mov_b32 s22, -1
	s_cbranch_vccz .LBB31_149
; %bb.148:
	v_cvt_i32_f32_e32 v0, v1
	s_mov_b32 s22, 0
	global_store_b8 v[3:4], v0, off
.LBB31_149:
	s_and_not1_b32 vcc_lo, exec_lo, s22
	s_cbranch_vccnz .LBB31_151
; %bb.150:
	v_trunc_f32_e32 v0, v1
	s_delay_alu instid0(VALU_DEP_1) | instskip(NEXT) | instid1(VALU_DEP_1)
	v_mul_f32_e64 v1, 0x2f800000, |v0|
	v_floor_f32_e32 v1, v1
	s_delay_alu instid0(VALU_DEP_1) | instskip(SKIP_1) | instid1(VALU_DEP_2)
	v_fma_f32 v1, 0xcf800000, v1, |v0|
	v_ashrrev_i32_e32 v0, 31, v0
	v_cvt_u32_f32_e32 v1, v1
	s_delay_alu instid0(VALU_DEP_1) | instskip(NEXT) | instid1(VALU_DEP_1)
	v_xor_b32_e32 v1, v1, v0
	v_sub_nc_u32_e32 v0, v1, v0
	global_store_b8 v[3:4], v0, off
.LBB31_151:
.LBB31_152:
	v_add_nc_u32_e32 v7, 0x80, v7
	s_mov_b32 s22, -1
	s_branch .LBB31_274
.LBB31_153:
	s_mov_b32 s2, 0
                                        ; implicit-def: $vgpr3
	s_cbranch_execnz .LBB31_190
	s_branch .LBB31_224
.LBB31_154:
	s_mov_b32 s22, -1
	s_mov_b32 s2, 0
                                        ; implicit-def: $vgpr3
	s_branch .LBB31_171
.LBB31_155:
	s_mov_b32 s22, -1
	s_mov_b32 s2, 0
                                        ; implicit-def: $vgpr3
	s_branch .LBB31_166
.LBB31_156:
	s_mov_b32 s22, -1
	s_branch .LBB31_158
.LBB31_157:
	s_mov_b32 s24, -1
.LBB31_158:
	s_mov_b32 s2, 0
                                        ; implicit-def: $vgpr3
.LBB31_159:
	s_and_b32 vcc_lo, exec_lo, s22
	s_cbranch_vccz .LBB31_165
; %bb.160:
	v_cmp_eq_u16_e32 vcc_lo, 44, v6
	s_cbranch_vccz .LBB31_164
; %bb.161:
	global_load_u8 v3, v[1:2], off
	s_mov_b32 s24, 0
	s_mov_b32 s2, -1
	s_waitcnt vmcnt(0)
	v_lshlrev_b32_e32 v4, 23, v3
	v_cmp_ne_u32_e32 vcc_lo, 0xff, v3
	s_delay_alu instid0(VALU_DEP_2) | instskip(SKIP_1) | instid1(VALU_DEP_2)
	v_cndmask_b32_e32 v4, 0x7f800001, v4, vcc_lo
	v_cmp_ne_u32_e32 vcc_lo, 0, v3
	v_cndmask_b32_e32 v3, 0x400000, v4, vcc_lo
	s_branch .LBB31_165
.LBB31_162:
	s_or_saveexec_b32 s25, s25
                                        ; implicit-def: $sgpr36
	s_delay_alu instid0(SALU_CYCLE_1)
	s_xor_b32 exec_lo, exec_lo, s25
	s_cbranch_execz .LBB31_64
.LBB31_163:
	v_add_f32_e64 v0, 0x46000000, |v1|
	s_and_not1_b32 s23, s23, exec_lo
	s_mov_b32 s36, 0
	s_delay_alu instid0(VALU_DEP_1) | instskip(NEXT) | instid1(VALU_DEP_1)
	v_and_b32_e32 v0, 0xff, v0
	v_cmp_ne_u32_e32 vcc_lo, 0, v0
	s_and_b32 s37, vcc_lo, exec_lo
	s_delay_alu instid0(SALU_CYCLE_1)
	s_or_b32 s23, s23, s37
	s_or_b32 exec_lo, exec_lo, s25
	v_mov_b32_e32 v2, s36
	s_and_saveexec_b32 s25, s23
	s_cbranch_execnz .LBB31_65
	s_branch .LBB31_66
.LBB31_164:
	s_mov_b32 s24, -1
                                        ; implicit-def: $vgpr3
.LBB31_165:
	s_mov_b32 s22, 0
.LBB31_166:
	s_delay_alu instid0(SALU_CYCLE_1)
	s_and_b32 vcc_lo, exec_lo, s22
	s_cbranch_vccz .LBB31_170
; %bb.167:
	v_cmp_eq_u16_e32 vcc_lo, 29, v6
	s_cbranch_vccz .LBB31_169
; %bb.168:
	global_load_b64 v[3:4], v[1:2], off
	s_mov_b32 s2, -1
	s_mov_b32 s24, 0
	s_mov_b32 s22, 0
	s_waitcnt vmcnt(0)
	v_clz_i32_u32_e32 v8, v4
	s_delay_alu instid0(VALU_DEP_1) | instskip(NEXT) | instid1(VALU_DEP_1)
	v_min_u32_e32 v8, 32, v8
	v_lshlrev_b64 v[3:4], v8, v[3:4]
	s_delay_alu instid0(VALU_DEP_1) | instskip(NEXT) | instid1(VALU_DEP_1)
	v_min_u32_e32 v3, 1, v3
	v_or_b32_e32 v3, v4, v3
	v_sub_nc_u32_e32 v4, 32, v8
	s_delay_alu instid0(VALU_DEP_2) | instskip(NEXT) | instid1(VALU_DEP_1)
	v_cvt_f32_u32_e32 v3, v3
	v_ldexp_f32 v3, v3, v4
	s_branch .LBB31_171
.LBB31_169:
	s_mov_b32 s24, -1
                                        ; implicit-def: $vgpr3
.LBB31_170:
	s_mov_b32 s22, 0
.LBB31_171:
	s_delay_alu instid0(SALU_CYCLE_1)
	s_and_b32 vcc_lo, exec_lo, s22
	s_cbranch_vccz .LBB31_189
; %bb.172:
	v_cmp_gt_i16_e32 vcc_lo, 27, v6
	s_cbranch_vccnz .LBB31_175
; %bb.173:
	v_cmp_lt_i16_e32 vcc_lo, 27, v6
	s_cbranch_vccz .LBB31_176
; %bb.174:
	global_load_b32 v3, v[1:2], off
	s_mov_b32 s2, 0
	s_waitcnt vmcnt(0)
	v_cvt_f32_u32_e32 v3, v3
	s_branch .LBB31_177
.LBB31_175:
	s_mov_b32 s2, -1
                                        ; implicit-def: $vgpr3
	s_branch .LBB31_180
.LBB31_176:
	s_mov_b32 s2, -1
                                        ; implicit-def: $vgpr3
.LBB31_177:
	s_delay_alu instid0(SALU_CYCLE_1)
	s_and_not1_b32 vcc_lo, exec_lo, s2
	s_cbranch_vccnz .LBB31_179
; %bb.178:
	global_load_u16 v3, v[1:2], off
	s_waitcnt vmcnt(0)
	v_cvt_f32_u32_e32 v3, v3
.LBB31_179:
	s_mov_b32 s2, 0
.LBB31_180:
	s_delay_alu instid0(SALU_CYCLE_1)
	s_and_not1_b32 vcc_lo, exec_lo, s2
	s_cbranch_vccnz .LBB31_188
; %bb.181:
	global_load_u8 v4, v[1:2], off
	s_mov_b32 s2, 0
	s_mov_b32 s23, exec_lo
                                        ; implicit-def: $sgpr22
	s_waitcnt vmcnt(0)
	v_cmpx_lt_i16_e32 0x7f, v4
	s_xor_b32 s23, exec_lo, s23
	s_cbranch_execz .LBB31_201
; %bb.182:
	s_mov_b32 s2, -1
	s_mov_b32 s25, exec_lo
                                        ; implicit-def: $sgpr22
	v_cmpx_eq_u16_e32 0x80, v4
; %bb.183:
	s_mov_b32 s22, 0x7f800001
	s_xor_b32 s2, exec_lo, -1
; %bb.184:
	s_or_b32 exec_lo, exec_lo, s25
	s_delay_alu instid0(SALU_CYCLE_1)
	s_and_b32 s2, s2, exec_lo
	s_or_saveexec_b32 s23, s23
	v_mov_b32_e32 v3, s22
	s_xor_b32 exec_lo, exec_lo, s23
	s_cbranch_execnz .LBB31_202
.LBB31_185:
	s_or_b32 exec_lo, exec_lo, s23
	s_and_saveexec_b32 s22, s2
	s_cbranch_execz .LBB31_187
.LBB31_186:
	v_and_b32_e32 v3, 0xffff, v4
	v_lshlrev_b32_e32 v4, 24, v4
	s_delay_alu instid0(VALU_DEP_2) | instskip(NEXT) | instid1(VALU_DEP_2)
	v_and_b32_e32 v8, 7, v3
	v_and_b32_e32 v4, 0x80000000, v4
	s_delay_alu instid0(VALU_DEP_2) | instskip(NEXT) | instid1(VALU_DEP_1)
	v_clz_i32_u32_e32 v9, v8
	v_min_u32_e32 v9, 32, v9
	s_delay_alu instid0(VALU_DEP_1) | instskip(SKIP_1) | instid1(VALU_DEP_2)
	v_subrev_nc_u32_e32 v10, 28, v9
	v_sub_nc_u32_e32 v9, 29, v9
	v_lshlrev_b32_e32 v10, v10, v3
	v_bfe_u32 v3, v3, 3, 4
	s_delay_alu instid0(VALU_DEP_2) | instskip(NEXT) | instid1(VALU_DEP_2)
	v_and_b32_e32 v10, 7, v10
	v_cmp_eq_u32_e32 vcc_lo, 0, v3
	s_delay_alu instid0(VALU_DEP_2) | instskip(NEXT) | instid1(VALU_DEP_1)
	v_dual_cndmask_b32 v3, v3, v9 :: v_dual_cndmask_b32 v8, v8, v10
	v_lshl_add_u32 v3, v3, 23, 0x3b800000
	s_delay_alu instid0(VALU_DEP_2) | instskip(NEXT) | instid1(VALU_DEP_1)
	v_lshlrev_b32_e32 v8, 20, v8
	v_or3_b32 v3, v4, v3, v8
.LBB31_187:
	s_or_b32 exec_lo, exec_lo, s22
.LBB31_188:
	s_mov_b32 s2, -1
.LBB31_189:
	s_branch .LBB31_224
.LBB31_190:
	v_cmp_lt_i16_e32 vcc_lo, 22, v6
	s_cbranch_vccz .LBB31_200
; %bb.191:
	v_cmp_gt_i16_e32 vcc_lo, 24, v6
	s_cbranch_vccnz .LBB31_203
; %bb.192:
	v_cmp_lt_i16_e32 vcc_lo, 24, v6
	s_cbranch_vccz .LBB31_204
; %bb.193:
	global_load_u8 v4, v[1:2], off
	s_mov_b32 s2, 0
	s_mov_b32 s23, exec_lo
                                        ; implicit-def: $sgpr22
	s_waitcnt vmcnt(0)
	v_cmpx_lt_i16_e32 0x7f, v4
	s_xor_b32 s23, exec_lo, s23
	s_cbranch_execz .LBB31_216
; %bb.194:
	s_mov_b32 s2, -1
	s_mov_b32 s25, exec_lo
                                        ; implicit-def: $sgpr22
	v_cmpx_eq_u16_e32 0x80, v4
; %bb.195:
	s_mov_b32 s22, 0x7f800001
	s_xor_b32 s2, exec_lo, -1
; %bb.196:
	s_or_b32 exec_lo, exec_lo, s25
	s_delay_alu instid0(SALU_CYCLE_1)
	s_and_b32 s2, s2, exec_lo
	s_or_saveexec_b32 s23, s23
	v_mov_b32_e32 v3, s22
	s_xor_b32 exec_lo, exec_lo, s23
	s_cbranch_execnz .LBB31_217
.LBB31_197:
	s_or_b32 exec_lo, exec_lo, s23
	s_and_saveexec_b32 s22, s2
	s_cbranch_execz .LBB31_199
.LBB31_198:
	v_and_b32_e32 v3, 0xffff, v4
	v_lshlrev_b32_e32 v4, 24, v4
	s_delay_alu instid0(VALU_DEP_2) | instskip(NEXT) | instid1(VALU_DEP_2)
	v_and_b32_e32 v8, 3, v3
	v_and_b32_e32 v4, 0x80000000, v4
	s_delay_alu instid0(VALU_DEP_2) | instskip(NEXT) | instid1(VALU_DEP_1)
	v_clz_i32_u32_e32 v9, v8
	v_min_u32_e32 v9, 32, v9
	s_delay_alu instid0(VALU_DEP_1) | instskip(SKIP_1) | instid1(VALU_DEP_2)
	v_subrev_nc_u32_e32 v10, 29, v9
	v_sub_nc_u32_e32 v9, 30, v9
	v_lshlrev_b32_e32 v10, v10, v3
	v_bfe_u32 v3, v3, 2, 5
	s_delay_alu instid0(VALU_DEP_2) | instskip(NEXT) | instid1(VALU_DEP_2)
	v_and_b32_e32 v10, 3, v10
	v_cmp_eq_u32_e32 vcc_lo, 0, v3
	s_delay_alu instid0(VALU_DEP_2) | instskip(NEXT) | instid1(VALU_DEP_1)
	v_dual_cndmask_b32 v3, v3, v9 :: v_dual_cndmask_b32 v8, v8, v10
	v_lshl_add_u32 v3, v3, 23, 0x37800000
	s_delay_alu instid0(VALU_DEP_2) | instskip(NEXT) | instid1(VALU_DEP_1)
	v_lshlrev_b32_e32 v8, 21, v8
	v_or3_b32 v3, v4, v3, v8
.LBB31_199:
	s_or_b32 exec_lo, exec_lo, s22
	s_mov_b32 s2, 0
	s_branch .LBB31_205
.LBB31_200:
	s_mov_b32 s22, -1
                                        ; implicit-def: $vgpr3
	s_branch .LBB31_211
.LBB31_201:
	s_or_saveexec_b32 s23, s23
	v_mov_b32_e32 v3, s22
	s_xor_b32 exec_lo, exec_lo, s23
	s_cbranch_execz .LBB31_185
.LBB31_202:
	v_cmp_ne_u16_e32 vcc_lo, 0, v4
	v_mov_b32_e32 v3, 0
	s_and_not1_b32 s2, s2, exec_lo
	s_and_b32 s22, vcc_lo, exec_lo
	s_delay_alu instid0(SALU_CYCLE_1)
	s_or_b32 s2, s2, s22
	s_or_b32 exec_lo, exec_lo, s23
	s_and_saveexec_b32 s22, s2
	s_cbranch_execnz .LBB31_186
	s_branch .LBB31_187
.LBB31_203:
	s_mov_b32 s2, -1
                                        ; implicit-def: $vgpr3
	s_branch .LBB31_208
.LBB31_204:
	s_mov_b32 s2, -1
                                        ; implicit-def: $vgpr3
.LBB31_205:
	s_delay_alu instid0(SALU_CYCLE_1)
	s_and_b32 vcc_lo, exec_lo, s2
	s_cbranch_vccz .LBB31_207
; %bb.206:
	global_load_u8 v3, v[1:2], off
	s_waitcnt vmcnt(0)
	v_lshlrev_b32_e32 v3, 24, v3
	s_delay_alu instid0(VALU_DEP_1) | instskip(NEXT) | instid1(VALU_DEP_1)
	v_and_b32_e32 v4, 0x7f000000, v3
	v_clz_i32_u32_e32 v8, v4
	v_add_nc_u32_e32 v10, 0x1000000, v4
	v_cmp_ne_u32_e32 vcc_lo, 0, v4
	s_delay_alu instid0(VALU_DEP_3) | instskip(NEXT) | instid1(VALU_DEP_1)
	v_min_u32_e32 v8, 32, v8
	v_sub_nc_u32_e64 v8, v8, 4 clamp
	s_delay_alu instid0(VALU_DEP_1) | instskip(SKIP_1) | instid1(VALU_DEP_2)
	v_lshlrev_b32_e32 v9, v8, v4
	v_lshlrev_b32_e32 v8, 23, v8
	v_lshrrev_b32_e32 v9, 4, v9
	s_delay_alu instid0(VALU_DEP_1) | instskip(SKIP_1) | instid1(VALU_DEP_2)
	v_sub_nc_u32_e32 v8, v9, v8
	v_ashrrev_i32_e32 v9, 8, v10
	v_add_nc_u32_e32 v8, 0x3c000000, v8
	s_delay_alu instid0(VALU_DEP_1) | instskip(NEXT) | instid1(VALU_DEP_1)
	v_and_or_b32 v8, 0x7f800000, v9, v8
	v_cndmask_b32_e32 v4, 0, v8, vcc_lo
	s_delay_alu instid0(VALU_DEP_1)
	v_and_or_b32 v3, 0x80000000, v3, v4
.LBB31_207:
	s_mov_b32 s2, 0
.LBB31_208:
	s_delay_alu instid0(SALU_CYCLE_1)
	s_and_not1_b32 vcc_lo, exec_lo, s2
	s_cbranch_vccnz .LBB31_210
; %bb.209:
	global_load_u8 v3, v[1:2], off
	s_waitcnt vmcnt(0)
	v_lshlrev_b32_e32 v4, 25, v3
	v_lshlrev_b16 v3, 8, v3
	s_delay_alu instid0(VALU_DEP_1) | instskip(SKIP_1) | instid1(VALU_DEP_2)
	v_and_or_b32 v9, 0x7f00, v3, 0.5
	v_bfe_i32 v3, v3, 0, 16
	v_add_f32_e32 v9, -0.5, v9
	v_lshrrev_b32_e32 v8, 4, v4
	v_cmp_gt_u32_e32 vcc_lo, 0x8000000, v4
	s_delay_alu instid0(VALU_DEP_2) | instskip(NEXT) | instid1(VALU_DEP_1)
	v_or_b32_e32 v8, 0x70000000, v8
	v_mul_f32_e32 v8, 0x7800000, v8
	s_delay_alu instid0(VALU_DEP_1) | instskip(NEXT) | instid1(VALU_DEP_1)
	v_cndmask_b32_e32 v4, v8, v9, vcc_lo
	v_and_or_b32 v3, 0x80000000, v3, v4
.LBB31_210:
	s_mov_b32 s22, 0
	s_mov_b32 s2, -1
.LBB31_211:
	s_and_not1_b32 vcc_lo, exec_lo, s22
	s_cbranch_vccnz .LBB31_224
; %bb.212:
	v_cmp_lt_i16_e32 vcc_lo, 14, v6
	s_cbranch_vccz .LBB31_215
; %bb.213:
	v_cmp_eq_u16_e32 vcc_lo, 15, v6
	s_cbranch_vccz .LBB31_218
; %bb.214:
	global_load_u16 v3, v[1:2], off
	s_mov_b32 s2, -1
	s_mov_b32 s24, 0
	s_waitcnt vmcnt(0)
	v_lshlrev_b32_e32 v3, 16, v3
	s_branch .LBB31_219
.LBB31_215:
	s_mov_b32 s22, -1
                                        ; implicit-def: $vgpr3
	s_branch .LBB31_220
.LBB31_216:
	s_or_saveexec_b32 s23, s23
	v_mov_b32_e32 v3, s22
	s_xor_b32 exec_lo, exec_lo, s23
	s_cbranch_execz .LBB31_197
.LBB31_217:
	v_cmp_ne_u16_e32 vcc_lo, 0, v4
	v_mov_b32_e32 v3, 0
	s_and_not1_b32 s2, s2, exec_lo
	s_and_b32 s22, vcc_lo, exec_lo
	s_delay_alu instid0(SALU_CYCLE_1)
	s_or_b32 s2, s2, s22
	s_or_b32 exec_lo, exec_lo, s23
	s_and_saveexec_b32 s22, s2
	s_cbranch_execnz .LBB31_198
	s_branch .LBB31_199
.LBB31_218:
	s_mov_b32 s24, -1
                                        ; implicit-def: $vgpr3
.LBB31_219:
	s_mov_b32 s22, 0
.LBB31_220:
	s_delay_alu instid0(SALU_CYCLE_1)
	s_and_b32 vcc_lo, exec_lo, s22
	s_cbranch_vccz .LBB31_224
; %bb.221:
	v_cmp_eq_u16_e32 vcc_lo, 11, v6
	s_cbranch_vccz .LBB31_223
; %bb.222:
	global_load_u8 v3, v[1:2], off
	s_mov_b32 s24, 0
	s_mov_b32 s2, -1
	s_waitcnt vmcnt(0)
	v_cmp_ne_u16_e32 vcc_lo, 0, v3
	v_cndmask_b32_e64 v3, 0, 1.0, vcc_lo
	s_branch .LBB31_224
.LBB31_223:
	s_mov_b32 s24, -1
                                        ; implicit-def: $vgpr3
.LBB31_224:
	s_branch .LBB31_23
.LBB31_225:
	v_cmp_gt_i16_e32 vcc_lo, 5, v6
	s_cbranch_vccnz .LBB31_230
; %bb.226:
	v_cmp_gt_i16_e32 vcc_lo, 8, v6
	s_cbranch_vccnz .LBB31_231
; %bb.227:
	;; [unrolled: 3-line block ×3, first 2 shown]
	v_cmp_lt_i16_e32 vcc_lo, 9, v6
	s_cbranch_vccz .LBB31_233
; %bb.229:
	global_load_b64 v[3:4], v[1:2], off
	s_mov_b32 s2, 0
	s_waitcnt vmcnt(0)
	v_cvt_f32_f64_e32 v3, v[3:4]
	s_branch .LBB31_234
.LBB31_230:
                                        ; implicit-def: $vgpr3
	s_branch .LBB31_252
.LBB31_231:
	s_mov_b32 s2, -1
                                        ; implicit-def: $vgpr3
	s_branch .LBB31_240
.LBB31_232:
	s_mov_b32 s2, -1
                                        ; implicit-def: $vgpr3
	s_branch .LBB31_237
.LBB31_233:
	s_mov_b32 s2, -1
                                        ; implicit-def: $vgpr3
.LBB31_234:
	s_delay_alu instid0(SALU_CYCLE_1)
	s_and_not1_b32 vcc_lo, exec_lo, s2
	s_cbranch_vccnz .LBB31_236
; %bb.235:
	global_load_b32 v3, v[1:2], off
.LBB31_236:
	s_mov_b32 s2, 0
.LBB31_237:
	s_delay_alu instid0(SALU_CYCLE_1)
	s_and_not1_b32 vcc_lo, exec_lo, s2
	s_cbranch_vccnz .LBB31_239
; %bb.238:
	global_load_b32 v3, v[1:2], off
	s_waitcnt vmcnt(0)
	v_cvt_f32_f16_e32 v3, v3
.LBB31_239:
	s_mov_b32 s2, 0
.LBB31_240:
	s_delay_alu instid0(SALU_CYCLE_1)
	s_and_not1_b32 vcc_lo, exec_lo, s2
	s_cbranch_vccnz .LBB31_251
; %bb.241:
	v_cmp_gt_i16_e32 vcc_lo, 6, v6
	s_cbranch_vccnz .LBB31_244
; %bb.242:
	v_cmp_lt_i16_e32 vcc_lo, 6, v6
	s_cbranch_vccz .LBB31_245
; %bb.243:
	global_load_b64 v[3:4], v[1:2], off
	s_mov_b32 s2, 0
	s_waitcnt vmcnt(0)
	v_cvt_f32_f64_e32 v3, v[3:4]
	s_branch .LBB31_246
.LBB31_244:
	s_mov_b32 s2, -1
                                        ; implicit-def: $vgpr3
	s_branch .LBB31_249
.LBB31_245:
	s_mov_b32 s2, -1
                                        ; implicit-def: $vgpr3
.LBB31_246:
	s_delay_alu instid0(SALU_CYCLE_1)
	s_and_not1_b32 vcc_lo, exec_lo, s2
	s_cbranch_vccnz .LBB31_248
; %bb.247:
	global_load_b32 v3, v[1:2], off
.LBB31_248:
	s_mov_b32 s2, 0
.LBB31_249:
	s_delay_alu instid0(SALU_CYCLE_1)
	s_and_not1_b32 vcc_lo, exec_lo, s2
	s_cbranch_vccnz .LBB31_251
; %bb.250:
	global_load_u16 v3, v[1:2], off
	s_waitcnt vmcnt(0)
	v_cvt_f32_f16_e32 v3, v3
.LBB31_251:
	s_cbranch_execnz .LBB31_271
.LBB31_252:
	v_cmp_gt_i16_e32 vcc_lo, 2, v6
	s_cbranch_vccnz .LBB31_256
; %bb.253:
	v_cmp_gt_i16_e32 vcc_lo, 3, v6
	s_cbranch_vccnz .LBB31_257
; %bb.254:
	v_cmp_lt_i16_e32 vcc_lo, 3, v6
	s_cbranch_vccz .LBB31_258
; %bb.255:
	global_load_b64 v[3:4], v[1:2], off
	s_mov_b32 s2, 0
	s_waitcnt vmcnt(0)
	v_xor_b32_e32 v8, v3, v4
	v_cls_i32_e32 v9, v4
	s_delay_alu instid0(VALU_DEP_2) | instskip(NEXT) | instid1(VALU_DEP_2)
	v_ashrrev_i32_e32 v8, 31, v8
	v_add_nc_u32_e32 v9, -1, v9
	s_delay_alu instid0(VALU_DEP_2) | instskip(NEXT) | instid1(VALU_DEP_1)
	v_add_nc_u32_e32 v8, 32, v8
	v_min_u32_e32 v8, v9, v8
	s_delay_alu instid0(VALU_DEP_1) | instskip(NEXT) | instid1(VALU_DEP_1)
	v_lshlrev_b64 v[3:4], v8, v[3:4]
	v_min_u32_e32 v3, 1, v3
	s_delay_alu instid0(VALU_DEP_1) | instskip(SKIP_1) | instid1(VALU_DEP_2)
	v_or_b32_e32 v3, v4, v3
	v_sub_nc_u32_e32 v4, 32, v8
	v_cvt_f32_i32_e32 v3, v3
	s_delay_alu instid0(VALU_DEP_1)
	v_ldexp_f32 v3, v3, v4
	s_branch .LBB31_259
.LBB31_256:
	s_mov_b32 s2, -1
                                        ; implicit-def: $vgpr3
	s_branch .LBB31_265
.LBB31_257:
	s_mov_b32 s2, -1
                                        ; implicit-def: $vgpr3
	s_branch .LBB31_262
.LBB31_258:
	s_mov_b32 s2, -1
                                        ; implicit-def: $vgpr3
.LBB31_259:
	s_delay_alu instid0(SALU_CYCLE_1)
	s_and_not1_b32 vcc_lo, exec_lo, s2
	s_cbranch_vccnz .LBB31_261
; %bb.260:
	global_load_b32 v3, v[1:2], off
	s_waitcnt vmcnt(0)
	v_cvt_f32_i32_e32 v3, v3
.LBB31_261:
	s_mov_b32 s2, 0
.LBB31_262:
	s_delay_alu instid0(SALU_CYCLE_1)
	s_and_not1_b32 vcc_lo, exec_lo, s2
	s_cbranch_vccnz .LBB31_264
; %bb.263:
	global_load_i16 v3, v[1:2], off
	s_waitcnt vmcnt(0)
	v_cvt_f32_i32_e32 v3, v3
.LBB31_264:
	s_mov_b32 s2, 0
.LBB31_265:
	s_delay_alu instid0(SALU_CYCLE_1)
	s_and_not1_b32 vcc_lo, exec_lo, s2
	s_cbranch_vccnz .LBB31_271
; %bb.266:
	v_cmp_lt_i16_e32 vcc_lo, 0, v6
	s_mov_b32 s2, 0
	s_cbranch_vccz .LBB31_268
; %bb.267:
	global_load_i8 v3, v[1:2], off
	s_waitcnt vmcnt(0)
	v_cvt_f32_i32_e32 v3, v3
	s_branch .LBB31_269
.LBB31_268:
	s_mov_b32 s2, -1
                                        ; implicit-def: $vgpr3
.LBB31_269:
	s_delay_alu instid0(SALU_CYCLE_1)
	s_and_not1_b32 vcc_lo, exec_lo, s2
	s_cbranch_vccnz .LBB31_271
; %bb.270:
	global_load_u8 v1, v[1:2], off
	s_waitcnt vmcnt(0)
	v_cvt_f32_ubyte0_e32 v3, v1
.LBB31_271:
	s_branch .LBB31_24
.LBB31_272:
	s_mov_b32 s2, 0
.LBB31_273:
	s_mov_b32 s22, 0
                                        ; implicit-def: $vgpr7
.LBB31_274:
	s_and_b32 s36, s2, exec_lo
	s_and_b32 s37, s24, exec_lo
	s_or_not1_b32 s23, s22, exec_lo
.LBB31_275:
	s_or_b32 exec_lo, exec_lo, s38
	s_mov_b32 s22, 0
	s_mov_b32 s2, 0
                                        ; implicit-def: $vgpr1_vgpr2
                                        ; implicit-def: $vgpr0
                                        ; implicit-def: $vgpr8
	s_and_saveexec_b32 s38, s23
	s_cbranch_execz .LBB31_942
; %bb.276:
	s_mov_b32 s2, -1
	s_mov_b32 s39, s37
	s_mov_b32 s40, s36
	s_mov_b32 s41, exec_lo
	v_cmpx_gt_i32_e64 s33, v7
	s_cbranch_execz .LBB31_557
; %bb.277:
	s_and_not1_b32 vcc_lo, exec_lo, s29
	s_cbranch_vccnz .LBB31_282
; %bb.278:
	v_dual_mov_b32 v0, 0 :: v_dual_mov_b32 v1, 0
	s_and_not1_b32 vcc_lo, exec_lo, s35
	s_mov_b32 s2, 0
	s_cbranch_vccnz .LBB31_287
; %bb.279:
	v_mov_b32_e32 v0, 0
	s_add_i32 s40, s34, 1
	s_cmp_eq_u32 s27, 2
	s_mov_b32 s39, 0
	s_cbranch_scc1 .LBB31_283
; %bb.280:
	v_dual_mov_b32 v1, 0 :: v_dual_mov_b32 v0, 0
	v_mov_b32_e32 v2, v7
	s_and_b32 s39, s40, 28
	s_mov_b32 s42, 0
	s_mov_b64 s[22:23], s[20:21]
	s_mov_b64 s[24:25], s[16:17]
.LBB31_281:                             ; =>This Inner Loop Header: Depth=1
	s_clause 0x1
	s_load_b256 s[44:51], s[24:25], 0x4
	s_load_b128 s[60:63], s[24:25], 0x24
	s_load_b256 s[52:59], s[22:23], 0x0
	s_add_u32 s24, s24, 48
	s_addc_u32 s25, s25, 0
	s_add_i32 s42, s42, 4
	s_add_u32 s22, s22, 32
	s_addc_u32 s23, s23, 0
	s_cmp_eq_u32 s39, s42
	s_waitcnt vmcnt(0) lgkmcnt(0)
	v_mul_hi_u32 v3, s45, v2
	s_delay_alu instid0(VALU_DEP_1) | instskip(NEXT) | instid1(VALU_DEP_1)
	v_add_nc_u32_e32 v3, v2, v3
	v_lshrrev_b32_e32 v3, s46, v3
	s_delay_alu instid0(VALU_DEP_1) | instskip(SKIP_1) | instid1(VALU_DEP_2)
	v_mul_hi_u32 v4, s48, v3
	v_mul_lo_u32 v9, v3, s44
	v_add_nc_u32_e32 v4, v3, v4
	s_delay_alu instid0(VALU_DEP_2) | instskip(NEXT) | instid1(VALU_DEP_2)
	v_sub_nc_u32_e32 v2, v2, v9
	v_lshrrev_b32_e32 v4, s49, v4
	s_delay_alu instid0(VALU_DEP_2) | instskip(SKIP_1) | instid1(VALU_DEP_3)
	v_mul_lo_u32 v9, v2, s52
	v_mul_lo_u32 v11, v2, s53
	v_mul_hi_u32 v8, s51, v4
	s_delay_alu instid0(VALU_DEP_1) | instskip(NEXT) | instid1(VALU_DEP_1)
	v_add_nc_u32_e32 v8, v4, v8
	v_lshrrev_b32_e32 v8, s60, v8
	s_delay_alu instid0(VALU_DEP_1) | instskip(SKIP_1) | instid1(VALU_DEP_2)
	v_mul_hi_u32 v10, s62, v8
	v_mul_lo_u32 v12, v8, s50
	v_add_nc_u32_e32 v2, v8, v10
	v_mul_lo_u32 v10, v4, s47
	s_delay_alu instid0(VALU_DEP_3) | instskip(NEXT) | instid1(VALU_DEP_3)
	v_sub_nc_u32_e32 v4, v4, v12
	v_lshrrev_b32_e32 v2, s63, v2
	s_delay_alu instid0(VALU_DEP_2) | instskip(SKIP_2) | instid1(VALU_DEP_4)
	v_mul_lo_u32 v12, v4, s56
	v_mul_lo_u32 v4, v4, s57
	v_sub_nc_u32_e32 v3, v3, v10
	v_mul_lo_u32 v13, v2, s61
	s_delay_alu instid0(VALU_DEP_2) | instskip(SKIP_1) | instid1(VALU_DEP_3)
	v_mul_lo_u32 v10, v3, s54
	v_mul_lo_u32 v3, v3, s55
	v_sub_nc_u32_e32 v8, v8, v13
	s_delay_alu instid0(VALU_DEP_3) | instskip(NEXT) | instid1(VALU_DEP_2)
	v_add3_u32 v0, v9, v0, v10
	v_mul_lo_u32 v13, v8, s58
	v_mul_lo_u32 v8, v8, s59
	v_add3_u32 v1, v11, v1, v3
	s_delay_alu instid0(VALU_DEP_3) | instskip(NEXT) | instid1(VALU_DEP_2)
	v_add3_u32 v0, v12, v0, v13
	v_add3_u32 v1, v4, v1, v8
	s_cbranch_scc0 .LBB31_281
	s_branch .LBB31_284
.LBB31_282:
                                        ; implicit-def: $vgpr0
                                        ; implicit-def: $vgpr1
	s_branch .LBB31_287
.LBB31_283:
	v_dual_mov_b32 v2, v7 :: v_dual_mov_b32 v1, 0
.LBB31_284:
	s_and_b32 s40, s40, 3
	s_delay_alu instid0(SALU_CYCLE_1)
	s_cmp_eq_u32 s40, 0
	s_cbranch_scc1 .LBB31_287
; %bb.285:
	s_lshl_b32 s22, s39, 3
	s_mul_i32 s24, s39, 12
	s_add_u32 s22, s22, s16
	s_addc_u32 s23, s17, 0
	s_add_u32 s22, s22, 0xc4
	s_addc_u32 s23, s23, 0
	;; [unrolled: 2-line block ×3, first 2 shown]
	.p2align	6
.LBB31_286:                             ; =>This Inner Loop Header: Depth=1
	s_clause 0x1
	s_load_b64 s[42:43], s[24:25], 0x4
	s_load_b32 s39, s[24:25], 0xc
	s_load_b64 s[44:45], s[22:23], 0x0
	s_add_u32 s24, s24, 12
	s_addc_u32 s25, s25, 0
	s_add_u32 s22, s22, 8
	s_addc_u32 s23, s23, 0
	s_add_i32 s40, s40, -1
	s_delay_alu instid0(SALU_CYCLE_1) | instskip(SKIP_2) | instid1(VALU_DEP_1)
	s_cmp_lg_u32 s40, 0
	s_waitcnt vmcnt(0) lgkmcnt(0)
	v_mul_hi_u32 v3, s43, v2
	v_add_nc_u32_e32 v3, v2, v3
	s_delay_alu instid0(VALU_DEP_1) | instskip(NEXT) | instid1(VALU_DEP_1)
	v_lshrrev_b32_e32 v10, s39, v3
	v_mul_lo_u32 v3, v10, s42
	s_delay_alu instid0(VALU_DEP_1) | instskip(NEXT) | instid1(VALU_DEP_1)
	v_sub_nc_u32_e32 v2, v2, v3
	v_mad_u64_u32 v[3:4], null, v2, s44, v[0:1]
	v_mad_u64_u32 v[8:9], null, v2, s45, v[1:2]
	v_mov_b32_e32 v2, v10
	s_delay_alu instid0(VALU_DEP_2)
	v_dual_mov_b32 v0, v3 :: v_dual_mov_b32 v1, v8
	s_cbranch_scc1 .LBB31_286
.LBB31_287:
	s_and_not1_b32 vcc_lo, exec_lo, s2
	s_cbranch_vccnz .LBB31_290
; %bb.288:
	v_mul_hi_u32 v0, s13, v7
	s_and_not1_b32 vcc_lo, exec_lo, s31
	s_delay_alu instid0(VALU_DEP_1) | instskip(NEXT) | instid1(VALU_DEP_1)
	v_add_nc_u32_e32 v0, v7, v0
	v_lshrrev_b32_e32 v2, s14, v0
	s_delay_alu instid0(VALU_DEP_1) | instskip(NEXT) | instid1(VALU_DEP_1)
	v_mul_lo_u32 v0, v2, s12
	v_sub_nc_u32_e32 v1, v7, v0
	s_delay_alu instid0(VALU_DEP_1)
	v_mul_lo_u32 v0, v1, s8
	v_mul_lo_u32 v1, v1, s9
	s_cbranch_vccnz .LBB31_290
; %bb.289:
	s_waitcnt vmcnt(0)
	v_mul_hi_u32 v3, s18, v2
	s_delay_alu instid0(VALU_DEP_1) | instskip(NEXT) | instid1(VALU_DEP_1)
	v_add_nc_u32_e32 v3, v2, v3
	v_lshrrev_b32_e32 v3, s19, v3
	s_delay_alu instid0(VALU_DEP_1) | instskip(NEXT) | instid1(VALU_DEP_1)
	v_mul_lo_u32 v3, v3, s15
	v_sub_nc_u32_e32 v8, v2, v3
	s_delay_alu instid0(VALU_DEP_1) | instskip(NEXT) | instid1(VALU_DEP_1)
	v_mad_u64_u32 v[2:3], null, v8, s10, v[0:1]
	v_mad_u64_u32 v[3:4], null, v8, s11, v[1:2]
	s_delay_alu instid0(VALU_DEP_1)
	v_dual_mov_b32 v0, v2 :: v_dual_mov_b32 v1, v3
.LBB31_290:
	v_cmp_gt_i16_e32 vcc_lo, 11, v6
	s_delay_alu instid0(VALU_DEP_2) | instskip(NEXT) | instid1(VALU_DEP_1)
	v_add_co_u32 v1, s2, s6, v1
	v_add_co_ci_u32_e64 v2, null, s7, 0, s2
	s_mov_b32 s2, 0
	s_cbranch_vccnz .LBB31_297
; %bb.291:
	v_cmp_lt_i16_e32 vcc_lo, 25, v6
	s_cbranch_vccz .LBB31_358
; %bb.292:
	v_cmp_lt_i16_e32 vcc_lo, 28, v6
	s_cbranch_vccz .LBB31_359
	;; [unrolled: 3-line block ×4, first 2 shown]
; %bb.295:
	v_cmp_eq_u16_e32 vcc_lo, 46, v6
	s_mov_b32 s22, 0
	s_cbranch_vccz .LBB31_367
; %bb.296:
	global_load_b32 v3, v[1:2], off
	s_mov_b32 s2, -1
	s_mov_b32 s24, 0
	s_waitcnt vmcnt(0)
	v_lshlrev_b32_e32 v3, 16, v3
	s_branch .LBB31_369
.LBB31_297:
	s_mov_b32 s24, s37
                                        ; implicit-def: $vgpr3
	s_cbranch_execnz .LBB31_506
.LBB31_298:
	s_and_not1_b32 vcc_lo, exec_lo, s2
	s_cbranch_vccnz .LBB31_554
.LBB31_299:
	s_waitcnt vmcnt(0)
	s_delay_alu instid0(VALU_DEP_1) | instskip(SKIP_1) | instid1(VALU_DEP_1)
	v_trunc_f32_e32 v1, v3
	s_mov_b32 s2, exec_lo
	v_mul_f32_e64 v2, 0x2f800000, |v1|
	s_delay_alu instid0(VALU_DEP_1) | instskip(NEXT) | instid1(VALU_DEP_1)
	v_floor_f32_e32 v2, v2
	v_fma_f32 v4, 0xcf800000, v2, |v1|
	v_ashrrev_i32_e32 v1, 31, v1
	v_cvt_u32_f32_e32 v2, v2
	s_delay_alu instid0(VALU_DEP_3) | instskip(NEXT) | instid1(VALU_DEP_2)
	v_cvt_u32_f32_e32 v4, v4
	v_xor_b32_e32 v2, v2, v1
	s_delay_alu instid0(VALU_DEP_2) | instskip(NEXT) | instid1(VALU_DEP_1)
	v_xor_b32_e32 v4, v4, v1
	v_sub_co_u32 v4, vcc_lo, v4, v1
	s_delay_alu instid0(VALU_DEP_3) | instskip(SKIP_1) | instid1(VALU_DEP_2)
	v_sub_co_ci_u32_e32 v1, vcc_lo, v2, v1, vcc_lo
	v_cmp_class_f32_e64 vcc_lo, v3, 0x1f8
	v_dual_cndmask_b32 v3, -1, v1 :: v_dual_cndmask_b32 v2, -1, v4
	v_mov_b32_e32 v1, 0
	s_delay_alu instid0(VALU_DEP_2)
	v_cmpx_lt_i64_e32 -1, v[2:3]
	s_cbranch_execz .LBB31_311
; %bb.300:
	v_mov_b32_e32 v1, 1.0
	s_mov_b32 s25, exec_lo
	v_cmpx_lt_i64_e32 0, v[2:3]
	s_cbranch_execz .LBB31_310
; %bb.301:
                                        ; implicit-def: $vgpr1
	s_mov_b32 s22, exec_lo
	v_cmpx_ne_u64_e32 1, v[2:3]
	s_xor_b32 s39, exec_lo, s22
	s_cbranch_execz .LBB31_307
; %bb.302:
	v_mov_b32_e32 v1, 0x7fc00000
	s_mov_b32 s40, exec_lo
	v_cmpx_gt_u64_e32 0x81, v[2:3]
	s_cbranch_execz .LBB31_306
; %bb.303:
	v_lshlrev_b64 v[2:3], 1, v[2:3]
	v_dual_mov_b32 v4, 1.0 :: v_dual_mov_b32 v1, v5
	s_mov_b64 s[22:23], 2
	s_mov_b32 s42, 0
.LBB31_304:                             ; =>This Inner Loop Header: Depth=1
	s_clz_i32_u32 s43, s23
	s_delay_alu instid0(SALU_CYCLE_1) | instskip(NEXT) | instid1(SALU_CYCLE_1)
	s_min_u32 s43, s43, 32
	s_lshl_b64 s[44:45], s[22:23], s43
	s_sub_i32 s43, 32, s43
	s_min_u32 s44, s44, 1
	s_delay_alu instid0(SALU_CYCLE_1) | instskip(SKIP_3) | instid1(SALU_CYCLE_1)
	s_or_b32 s44, s45, s44
	s_add_u32 s22, s22, 2
	v_cvt_f32_u32_e32 v8, s44
	s_addc_u32 s23, s23, 0
	v_cmp_ge_u64_e32 vcc_lo, s[22:23], v[2:3]
	s_delay_alu instid0(VALU_DEP_2) | instskip(SKIP_1) | instid1(VALU_DEP_1)
	v_ldexp_f32 v8, v8, s43
	s_or_b32 s42, vcc_lo, s42
	v_mul_f32_e32 v8, v4, v8
	v_mov_b32_e32 v4, v1
	s_delay_alu instid0(VALU_DEP_2)
	v_fma_f32 v1, v5, v1, -v8
	s_and_not1_b32 exec_lo, exec_lo, s42
	s_cbranch_execnz .LBB31_304
; %bb.305:
	s_or_b32 exec_lo, exec_lo, s42
.LBB31_306:
	s_delay_alu instid0(SALU_CYCLE_1)
	s_or_b32 exec_lo, exec_lo, s40
.LBB31_307:
	s_and_not1_saveexec_b32 s22, s39
; %bb.308:
	v_mov_b32_e32 v1, v5
; %bb.309:
	s_or_b32 exec_lo, exec_lo, s22
.LBB31_310:
	s_delay_alu instid0(SALU_CYCLE_1)
	s_or_b32 exec_lo, exec_lo, s25
.LBB31_311:
	s_delay_alu instid0(SALU_CYCLE_1) | instskip(SKIP_2) | instid1(VALU_DEP_1)
	s_or_b32 exec_lo, exec_lo, s2
	v_and_b32_e64 v8, 0xff, s3
	v_add_co_u32 v3, s2, s4, v0
	v_add_co_ci_u32_e64 v4, null, s5, 0, s2
	s_delay_alu instid0(VALU_DEP_3)
	v_cmp_gt_i16_e32 vcc_lo, 11, v8
	s_mov_b32 s22, 0
	s_mov_b32 s23, -1
	s_mov_b32 s2, s36
	s_cbranch_vccnz .LBB31_318
; %bb.312:
	v_cmp_lt_i16_e32 vcc_lo, 25, v8
	s_cbranch_vccz .LBB31_360
; %bb.313:
	v_cmp_lt_i16_e32 vcc_lo, 28, v8
	s_cbranch_vccz .LBB31_362
	;; [unrolled: 3-line block ×4, first 2 shown]
; %bb.316:
	v_cmp_eq_u16_e32 vcc_lo, 46, v8
	s_mov_b32 s23, 0
	s_mov_b32 s2, -1
	s_cbranch_vccz .LBB31_373
; %bb.317:
	v_bfe_u32 v0, v1, 16, 1
	v_cmp_o_f32_e32 vcc_lo, v1, v1
	s_mov_b32 s22, -1
	s_mov_b32 s2, 0
	s_delay_alu instid0(VALU_DEP_2) | instskip(NEXT) | instid1(VALU_DEP_1)
	v_add3_u32 v0, v1, v0, 0x7fff
	v_lshrrev_b32_e32 v0, 16, v0
	s_delay_alu instid0(VALU_DEP_1)
	v_cndmask_b32_e32 v0, 0x7fc0, v0, vcc_lo
	global_store_b32 v[3:4], v0, off
	s_branch .LBB31_373
.LBB31_318:
	s_and_b32 vcc_lo, exec_lo, s23
	s_cbranch_vccz .LBB31_442
; %bb.319:
	v_cmp_gt_i16_e32 vcc_lo, 5, v8
	s_mov_b32 s22, -1
	s_cbranch_vccnz .LBB31_340
; %bb.320:
	v_cmp_gt_i16_e32 vcc_lo, 8, v8
	s_cbranch_vccnz .LBB31_330
; %bb.321:
	v_cmp_gt_i16_e32 vcc_lo, 9, v8
	s_cbranch_vccnz .LBB31_327
; %bb.322:
	v_cmp_lt_i16_e32 vcc_lo, 9, v8
	s_cbranch_vccz .LBB31_324
; %bb.323:
	v_cvt_f64_f32_e32 v[9:10], v1
	v_mov_b32_e32 v11, 0
	s_mov_b32 s22, 0
	s_delay_alu instid0(VALU_DEP_1)
	v_mov_b32_e32 v12, v11
	global_store_b128 v[3:4], v[9:12], off
.LBB31_324:
	s_and_not1_b32 vcc_lo, exec_lo, s22
	s_cbranch_vccnz .LBB31_326
; %bb.325:
	v_mov_b32_e32 v2, 0
	global_store_b64 v[3:4], v[1:2], off
.LBB31_326:
	s_mov_b32 s22, 0
.LBB31_327:
	s_delay_alu instid0(SALU_CYCLE_1)
	s_and_not1_b32 vcc_lo, exec_lo, s22
	s_cbranch_vccnz .LBB31_329
; %bb.328:
	v_cvt_f16_f32_e32 v0, v1
	s_delay_alu instid0(VALU_DEP_1)
	v_and_b32_e32 v0, 0xffff, v0
	global_store_b32 v[3:4], v0, off
.LBB31_329:
	s_mov_b32 s22, 0
.LBB31_330:
	s_delay_alu instid0(SALU_CYCLE_1)
	s_and_not1_b32 vcc_lo, exec_lo, s22
	s_cbranch_vccnz .LBB31_339
; %bb.331:
	v_cmp_gt_i16_e32 vcc_lo, 6, v8
	s_mov_b32 s22, -1
	s_cbranch_vccnz .LBB31_337
; %bb.332:
	v_cmp_lt_i16_e32 vcc_lo, 6, v8
	s_cbranch_vccz .LBB31_334
; %bb.333:
	v_cvt_f64_f32_e32 v[9:10], v1
	s_mov_b32 s22, 0
	global_store_b64 v[3:4], v[9:10], off
.LBB31_334:
	s_and_not1_b32 vcc_lo, exec_lo, s22
	s_cbranch_vccnz .LBB31_336
; %bb.335:
	global_store_b32 v[3:4], v1, off
.LBB31_336:
	s_mov_b32 s22, 0
.LBB31_337:
	s_delay_alu instid0(SALU_CYCLE_1)
	s_and_not1_b32 vcc_lo, exec_lo, s22
	s_cbranch_vccnz .LBB31_339
; %bb.338:
	v_cvt_f16_f32_e32 v0, v1
	global_store_b16 v[3:4], v0, off
.LBB31_339:
	s_mov_b32 s22, 0
.LBB31_340:
	s_delay_alu instid0(SALU_CYCLE_1)
	s_and_not1_b32 vcc_lo, exec_lo, s22
	s_cbranch_vccnz .LBB31_356
; %bb.341:
	v_cmp_gt_i16_e32 vcc_lo, 2, v8
	s_mov_b32 s22, -1
	s_cbranch_vccnz .LBB31_351
; %bb.342:
	v_cmp_gt_i16_e32 vcc_lo, 3, v8
	s_cbranch_vccnz .LBB31_348
; %bb.343:
	v_cmp_lt_i16_e32 vcc_lo, 3, v8
	s_cbranch_vccz .LBB31_345
; %bb.344:
	v_trunc_f32_e32 v0, v1
	s_mov_b32 s22, 0
	s_delay_alu instid0(VALU_DEP_1) | instskip(NEXT) | instid1(VALU_DEP_1)
	v_mul_f32_e64 v2, 0x2f800000, |v0|
	v_floor_f32_e32 v2, v2
	s_delay_alu instid0(VALU_DEP_1) | instskip(SKIP_2) | instid1(VALU_DEP_3)
	v_fma_f32 v9, 0xcf800000, v2, |v0|
	v_ashrrev_i32_e32 v0, 31, v0
	v_cvt_u32_f32_e32 v2, v2
	v_cvt_u32_f32_e32 v9, v9
	s_delay_alu instid0(VALU_DEP_2) | instskip(NEXT) | instid1(VALU_DEP_2)
	v_xor_b32_e32 v2, v2, v0
	v_xor_b32_e32 v9, v9, v0
	s_delay_alu instid0(VALU_DEP_1) | instskip(NEXT) | instid1(VALU_DEP_3)
	v_sub_co_u32 v9, vcc_lo, v9, v0
	v_sub_co_ci_u32_e32 v10, vcc_lo, v2, v0, vcc_lo
	global_store_b64 v[3:4], v[9:10], off
.LBB31_345:
	s_and_not1_b32 vcc_lo, exec_lo, s22
	s_cbranch_vccnz .LBB31_347
; %bb.346:
	v_cvt_i32_f32_e32 v0, v1
	global_store_b32 v[3:4], v0, off
.LBB31_347:
	s_mov_b32 s22, 0
.LBB31_348:
	s_delay_alu instid0(SALU_CYCLE_1)
	s_and_not1_b32 vcc_lo, exec_lo, s22
	s_cbranch_vccnz .LBB31_350
; %bb.349:
	v_cvt_i32_f32_e32 v0, v1
	global_store_b16 v[3:4], v0, off
.LBB31_350:
	s_mov_b32 s22, 0
.LBB31_351:
	s_delay_alu instid0(SALU_CYCLE_1)
	s_and_not1_b32 vcc_lo, exec_lo, s22
	s_cbranch_vccnz .LBB31_356
; %bb.352:
	v_cmp_lt_i16_e32 vcc_lo, 0, v8
	s_mov_b32 s22, -1
	s_cbranch_vccz .LBB31_354
; %bb.353:
	v_cvt_i32_f32_e32 v0, v1
	s_mov_b32 s22, 0
	global_store_b8 v[3:4], v0, off
.LBB31_354:
	s_and_not1_b32 vcc_lo, exec_lo, s22
	s_cbranch_vccnz .LBB31_356
; %bb.355:
	v_trunc_f32_e32 v0, v1
	s_delay_alu instid0(VALU_DEP_1) | instskip(NEXT) | instid1(VALU_DEP_1)
	v_mul_f32_e64 v1, 0x2f800000, |v0|
	v_floor_f32_e32 v1, v1
	s_delay_alu instid0(VALU_DEP_1) | instskip(SKIP_1) | instid1(VALU_DEP_2)
	v_fma_f32 v1, 0xcf800000, v1, |v0|
	v_ashrrev_i32_e32 v0, 31, v0
	v_cvt_u32_f32_e32 v1, v1
	s_delay_alu instid0(VALU_DEP_1) | instskip(NEXT) | instid1(VALU_DEP_1)
	v_xor_b32_e32 v1, v1, v0
	v_sub_nc_u32_e32 v0, v1, v0
	global_store_b8 v[3:4], v0, off
.LBB31_356:
	s_branch .LBB31_443
.LBB31_357:
	s_mov_b32 s22, 0
	s_branch .LBB31_555
.LBB31_358:
	s_mov_b32 s22, -1
	s_mov_b32 s24, s37
                                        ; implicit-def: $vgpr3
	s_branch .LBB31_470
.LBB31_359:
	s_mov_b32 s22, -1
	s_mov_b32 s24, s37
                                        ; implicit-def: $vgpr3
	s_branch .LBB31_451
.LBB31_360:
	s_mov_b32 s2, s36
	s_branch .LBB31_400
.LBB31_361:
	s_mov_b32 s22, -1
	s_mov_b32 s24, s37
                                        ; implicit-def: $vgpr3
	s_branch .LBB31_446
.LBB31_362:
	s_mov_b32 s2, s36
	s_branch .LBB31_383
.LBB31_363:
	s_mov_b32 s22, -1
	s_mov_b32 s24, s37
	s_branch .LBB31_368
.LBB31_364:
	s_mov_b32 s2, s36
	s_branch .LBB31_379
.LBB31_365:
	s_or_saveexec_b32 s25, s25
                                        ; implicit-def: $sgpr36
	s_delay_alu instid0(SALU_CYCLE_1)
	s_xor_b32 exec_lo, exec_lo, s25
	s_cbranch_execz .LBB31_77
.LBB31_366:
	v_add_f32_e64 v0, 0x42800000, |v1|
	s_and_not1_b32 s23, s23, exec_lo
	s_mov_b32 s36, 0
	s_delay_alu instid0(VALU_DEP_1) | instskip(NEXT) | instid1(VALU_DEP_1)
	v_and_b32_e32 v0, 0xff, v0
	v_cmp_ne_u32_e32 vcc_lo, 0, v0
	s_and_b32 s37, vcc_lo, exec_lo
	s_delay_alu instid0(SALU_CYCLE_1)
	s_or_b32 s23, s23, s37
	s_or_b32 exec_lo, exec_lo, s25
	v_mov_b32_e32 v2, s36
	s_and_saveexec_b32 s25, s23
	s_cbranch_execnz .LBB31_78
	s_branch .LBB31_79
.LBB31_367:
	s_mov_b32 s24, -1
.LBB31_368:
                                        ; implicit-def: $vgpr3
.LBB31_369:
	s_and_b32 vcc_lo, exec_lo, s22
	s_cbranch_vccz .LBB31_445
; %bb.370:
	v_cmp_eq_u16_e32 vcc_lo, 44, v6
	s_cbranch_vccz .LBB31_444
; %bb.371:
	global_load_u8 v3, v[1:2], off
	s_mov_b32 s24, 0
	s_mov_b32 s2, -1
	s_waitcnt vmcnt(0)
	v_lshlrev_b32_e32 v4, 23, v3
	v_cmp_ne_u32_e32 vcc_lo, 0xff, v3
	s_delay_alu instid0(VALU_DEP_2) | instskip(SKIP_1) | instid1(VALU_DEP_2)
	v_cndmask_b32_e32 v4, 0x7f800001, v4, vcc_lo
	v_cmp_ne_u32_e32 vcc_lo, 0, v3
	v_cndmask_b32_e32 v3, 0x400000, v4, vcc_lo
	s_branch .LBB31_445
.LBB31_372:
	s_mov_b32 s2, s36
.LBB31_373:
	s_and_b32 vcc_lo, exec_lo, s23
	s_cbranch_vccz .LBB31_378
; %bb.374:
	v_cmp_eq_u16_e32 vcc_lo, 44, v8
	s_mov_b32 s2, -1
	s_cbranch_vccz .LBB31_378
; %bb.375:
	v_bfe_u32 v2, v1, 23, 8
	v_mov_b32_e32 v0, 0xff
	s_mov_b32 s22, exec_lo
	s_delay_alu instid0(VALU_DEP_2)
	v_cmpx_ne_u32_e32 0xff, v2
; %bb.376:
	v_and_b32_e32 v0, 0x400000, v1
	v_and_or_b32 v2, 0x3fffff, v1, v2
	s_delay_alu instid0(VALU_DEP_2) | instskip(NEXT) | instid1(VALU_DEP_2)
	v_cmp_ne_u32_e32 vcc_lo, 0, v0
	v_cmp_ne_u32_e64 s2, 0, v2
	v_lshrrev_b32_e32 v0, 23, v1
	s_delay_alu instid0(VALU_DEP_2) | instskip(NEXT) | instid1(SALU_CYCLE_1)
	s_and_b32 s2, vcc_lo, s2
	v_cndmask_b32_e64 v2, 0, 1, s2
	s_delay_alu instid0(VALU_DEP_1)
	v_add_nc_u32_e32 v0, v0, v2
; %bb.377:
	s_or_b32 exec_lo, exec_lo, s22
	s_mov_b32 s22, -1
	s_mov_b32 s2, 0
	global_store_b8 v[3:4], v0, off
.LBB31_378:
	s_mov_b32 s23, 0
.LBB31_379:
	s_delay_alu instid0(SALU_CYCLE_1)
	s_and_b32 vcc_lo, exec_lo, s23
	s_cbranch_vccz .LBB31_382
; %bb.380:
	v_cmp_eq_u16_e32 vcc_lo, 29, v8
	s_mov_b32 s2, -1
	s_cbranch_vccz .LBB31_382
; %bb.381:
	v_trunc_f32_e32 v0, v1
	s_mov_b32 s22, -1
	s_mov_b32 s2, 0
	s_mov_b32 s23, 0
	s_delay_alu instid0(VALU_DEP_1) | instskip(NEXT) | instid1(VALU_DEP_1)
	v_mul_f32_e32 v2, 0x2f800000, v0
	v_floor_f32_e32 v2, v2
	s_delay_alu instid0(VALU_DEP_1) | instskip(SKIP_1) | instid1(VALU_DEP_2)
	v_fmamk_f32 v0, v2, 0xcf800000, v0
	v_cvt_u32_f32_e32 v10, v2
	v_cvt_u32_f32_e32 v9, v0
	global_store_b64 v[3:4], v[9:10], off
	s_branch .LBB31_383
.LBB31_382:
	s_mov_b32 s23, 0
.LBB31_383:
	s_delay_alu instid0(SALU_CYCLE_1)
	s_and_b32 vcc_lo, exec_lo, s23
	s_cbranch_vccz .LBB31_399
; %bb.384:
	v_cmp_gt_i16_e32 vcc_lo, 27, v8
	s_mov_b32 s22, -1
	s_cbranch_vccnz .LBB31_390
; %bb.385:
	v_cmp_lt_i16_e32 vcc_lo, 27, v8
	s_cbranch_vccz .LBB31_387
; %bb.386:
	v_cvt_u32_f32_e32 v0, v1
	s_mov_b32 s22, 0
	global_store_b32 v[3:4], v0, off
.LBB31_387:
	s_and_not1_b32 vcc_lo, exec_lo, s22
	s_cbranch_vccnz .LBB31_389
; %bb.388:
	v_cvt_u32_f32_e32 v0, v1
	global_store_b16 v[3:4], v0, off
.LBB31_389:
	s_mov_b32 s22, 0
.LBB31_390:
	s_delay_alu instid0(SALU_CYCLE_1)
	s_and_not1_b32 vcc_lo, exec_lo, s22
	s_cbranch_vccnz .LBB31_398
; %bb.391:
	v_and_b32_e32 v0, 0x7fffffff, v1
	v_mov_b32_e32 v2, 0x80
	s_mov_b32 s22, exec_lo
	s_delay_alu instid0(VALU_DEP_2)
	v_cmpx_gt_u32_e32 0x43800000, v0
	s_cbranch_execz .LBB31_397
; %bb.392:
	v_cmp_lt_u32_e32 vcc_lo, 0x3bffffff, v0
	s_mov_b32 s23, 0
                                        ; implicit-def: $vgpr0
	s_and_saveexec_b32 s25, vcc_lo
	s_delay_alu instid0(SALU_CYCLE_1)
	s_xor_b32 s25, exec_lo, s25
	s_cbranch_execz .LBB31_583
; %bb.393:
	v_bfe_u32 v0, v1, 20, 1
	s_mov_b32 s23, exec_lo
	s_delay_alu instid0(VALU_DEP_1) | instskip(NEXT) | instid1(VALU_DEP_1)
	v_add3_u32 v0, v1, v0, 0x487ffff
	v_lshrrev_b32_e32 v0, 20, v0
	s_or_saveexec_b32 s25, s25
                                        ; implicit-def: $sgpr39
	s_delay_alu instid0(SALU_CYCLE_1)
	s_xor_b32 exec_lo, exec_lo, s25
	s_cbranch_execnz .LBB31_584
.LBB31_394:
	s_or_b32 exec_lo, exec_lo, s25
	v_mov_b32_e32 v2, s39
	s_and_saveexec_b32 s25, s23
.LBB31_395:
	v_lshrrev_b32_e32 v2, 24, v1
	s_delay_alu instid0(VALU_DEP_1)
	v_and_or_b32 v2, 0x80, v2, v0
.LBB31_396:
	s_or_b32 exec_lo, exec_lo, s25
.LBB31_397:
	s_delay_alu instid0(SALU_CYCLE_1)
	s_or_b32 exec_lo, exec_lo, s22
	global_store_b8 v[3:4], v2, off
.LBB31_398:
	s_mov_b32 s22, -1
.LBB31_399:
	s_mov_b32 s23, 0
.LBB31_400:
	s_delay_alu instid0(SALU_CYCLE_1)
	s_and_b32 vcc_lo, exec_lo, s23
	s_cbranch_vccz .LBB31_441
; %bb.401:
	v_cmp_lt_i16_e32 vcc_lo, 22, v8
	s_mov_b32 s23, -1
	s_cbranch_vccz .LBB31_433
; %bb.402:
	v_cmp_gt_i16_e32 vcc_lo, 24, v8
	s_mov_b32 s22, -1
	s_cbranch_vccnz .LBB31_422
; %bb.403:
	v_cmp_lt_i16_e32 vcc_lo, 24, v8
	s_cbranch_vccz .LBB31_411
; %bb.404:
	v_and_b32_e32 v0, 0x7fffffff, v1
	v_mov_b32_e32 v2, 0x80
	s_mov_b32 s22, exec_lo
	s_delay_alu instid0(VALU_DEP_2)
	v_cmpx_gt_u32_e32 0x47800000, v0
	s_cbranch_execz .LBB31_410
; %bb.405:
	v_cmp_lt_u32_e32 vcc_lo, 0x37ffffff, v0
	s_mov_b32 s23, 0
                                        ; implicit-def: $vgpr0
	s_and_saveexec_b32 s25, vcc_lo
	s_delay_alu instid0(SALU_CYCLE_1)
	s_xor_b32 s25, exec_lo, s25
	s_cbranch_execz .LBB31_586
; %bb.406:
	v_bfe_u32 v0, v1, 21, 1
	s_mov_b32 s23, exec_lo
	s_delay_alu instid0(VALU_DEP_1) | instskip(NEXT) | instid1(VALU_DEP_1)
	v_add3_u32 v0, v1, v0, 0x88fffff
	v_lshrrev_b32_e32 v0, 21, v0
	s_or_saveexec_b32 s25, s25
                                        ; implicit-def: $sgpr39
	s_delay_alu instid0(SALU_CYCLE_1)
	s_xor_b32 exec_lo, exec_lo, s25
	s_cbranch_execnz .LBB31_587
.LBB31_407:
	s_or_b32 exec_lo, exec_lo, s25
	v_mov_b32_e32 v2, s39
	s_and_saveexec_b32 s25, s23
.LBB31_408:
	v_lshrrev_b32_e32 v2, 24, v1
	s_delay_alu instid0(VALU_DEP_1)
	v_and_or_b32 v2, 0x80, v2, v0
.LBB31_409:
	s_or_b32 exec_lo, exec_lo, s25
.LBB31_410:
	s_delay_alu instid0(SALU_CYCLE_1)
	s_or_b32 exec_lo, exec_lo, s22
	s_mov_b32 s22, 0
	global_store_b8 v[3:4], v2, off
.LBB31_411:
	s_and_b32 vcc_lo, exec_lo, s22
	s_cbranch_vccz .LBB31_421
; %bb.412:
	v_and_b32_e32 v2, 0x7fffffff, v1
	s_mov_b32 s22, exec_lo
                                        ; implicit-def: $vgpr0
	s_delay_alu instid0(VALU_DEP_1)
	v_cmpx_gt_u32_e32 0x43f00000, v2
	s_xor_b32 s22, exec_lo, s22
	s_cbranch_execz .LBB31_418
; %bb.413:
	s_mov_b32 s23, exec_lo
                                        ; implicit-def: $vgpr0
	v_cmpx_lt_u32_e32 0x3c7fffff, v2
	s_xor_b32 s23, exec_lo, s23
; %bb.414:
	v_bfe_u32 v0, v1, 20, 1
	s_delay_alu instid0(VALU_DEP_1) | instskip(NEXT) | instid1(VALU_DEP_1)
	v_add3_u32 v0, v1, v0, 0x407ffff
	v_and_b32_e32 v2, 0xff00000, v0
	v_lshrrev_b32_e32 v0, 20, v0
	s_delay_alu instid0(VALU_DEP_2) | instskip(NEXT) | instid1(VALU_DEP_2)
	v_cmp_ne_u32_e32 vcc_lo, 0x7f00000, v2
	v_cndmask_b32_e32 v0, 0x7e, v0, vcc_lo
; %bb.415:
	s_and_not1_saveexec_b32 s23, s23
; %bb.416:
	v_add_f32_e64 v0, 0x46800000, |v1|
; %bb.417:
	s_or_b32 exec_lo, exec_lo, s23
                                        ; implicit-def: $vgpr2
.LBB31_418:
	s_and_not1_saveexec_b32 s22, s22
; %bb.419:
	v_mov_b32_e32 v0, 0x7f
	v_cmp_lt_u32_e32 vcc_lo, 0x7f800000, v2
	s_delay_alu instid0(VALU_DEP_2)
	v_cndmask_b32_e32 v0, 0x7e, v0, vcc_lo
; %bb.420:
	s_or_b32 exec_lo, exec_lo, s22
	v_lshrrev_b32_e32 v2, 24, v1
	s_delay_alu instid0(VALU_DEP_1)
	v_and_or_b32 v0, 0x80, v2, v0
	global_store_b8 v[3:4], v0, off
.LBB31_421:
	s_mov_b32 s22, 0
.LBB31_422:
	s_delay_alu instid0(SALU_CYCLE_1)
	s_and_not1_b32 vcc_lo, exec_lo, s22
	s_cbranch_vccnz .LBB31_432
; %bb.423:
	v_and_b32_e32 v2, 0x7fffffff, v1
	s_mov_b32 s22, exec_lo
                                        ; implicit-def: $vgpr0
	s_delay_alu instid0(VALU_DEP_1)
	v_cmpx_gt_u32_e32 0x47800000, v2
	s_xor_b32 s22, exec_lo, s22
	s_cbranch_execz .LBB31_429
; %bb.424:
	s_mov_b32 s23, exec_lo
                                        ; implicit-def: $vgpr0
	v_cmpx_lt_u32_e32 0x387fffff, v2
	s_xor_b32 s23, exec_lo, s23
; %bb.425:
	v_bfe_u32 v0, v1, 21, 1
	s_delay_alu instid0(VALU_DEP_1) | instskip(NEXT) | instid1(VALU_DEP_1)
	v_add3_u32 v0, v1, v0, 0x80fffff
	v_lshrrev_b32_e32 v0, 21, v0
; %bb.426:
	s_and_not1_saveexec_b32 s23, s23
; %bb.427:
	v_add_f32_e64 v0, 0x43000000, |v1|
; %bb.428:
	s_or_b32 exec_lo, exec_lo, s23
                                        ; implicit-def: $vgpr2
.LBB31_429:
	s_and_not1_saveexec_b32 s22, s22
; %bb.430:
	v_mov_b32_e32 v0, 0x7f
	v_cmp_lt_u32_e32 vcc_lo, 0x7f800000, v2
	s_delay_alu instid0(VALU_DEP_2)
	v_cndmask_b32_e32 v0, 0x7c, v0, vcc_lo
; %bb.431:
	s_or_b32 exec_lo, exec_lo, s22
	v_lshrrev_b32_e32 v2, 24, v1
	s_delay_alu instid0(VALU_DEP_1)
	v_and_or_b32 v0, 0x80, v2, v0
	global_store_b8 v[3:4], v0, off
.LBB31_432:
	s_mov_b32 s23, 0
	s_mov_b32 s22, -1
.LBB31_433:
	s_and_not1_b32 vcc_lo, exec_lo, s23
	s_cbranch_vccnz .LBB31_441
; %bb.434:
	v_cmp_lt_i16_e32 vcc_lo, 14, v8
	s_mov_b32 s23, -1
	s_cbranch_vccz .LBB31_438
; %bb.435:
	v_cmp_eq_u16_e32 vcc_lo, 15, v8
	s_mov_b32 s2, -1
	s_cbranch_vccz .LBB31_437
; %bb.436:
	v_bfe_u32 v0, v1, 16, 1
	v_cmp_o_f32_e32 vcc_lo, v1, v1
	s_mov_b32 s22, -1
	s_mov_b32 s2, 0
	s_delay_alu instid0(VALU_DEP_2) | instskip(NEXT) | instid1(VALU_DEP_1)
	v_add3_u32 v0, v1, v0, 0x7fff
	v_lshrrev_b32_e32 v0, 16, v0
	s_delay_alu instid0(VALU_DEP_1)
	v_cndmask_b32_e32 v0, 0x7fc0, v0, vcc_lo
	global_store_b16 v[3:4], v0, off
.LBB31_437:
	s_mov_b32 s23, 0
.LBB31_438:
	s_delay_alu instid0(SALU_CYCLE_1)
	s_and_b32 vcc_lo, exec_lo, s23
	s_cbranch_vccz .LBB31_441
; %bb.439:
	v_cmp_eq_u16_e32 vcc_lo, 11, v8
	s_mov_b32 s2, -1
	s_cbranch_vccz .LBB31_441
; %bb.440:
	v_cmp_neq_f32_e32 vcc_lo, 0, v1
	s_mov_b32 s2, 0
	s_mov_b32 s22, -1
	v_cndmask_b32_e64 v0, 0, 1, vcc_lo
	global_store_b8 v[3:4], v0, off
.LBB31_441:
.LBB31_442:
	s_and_not1_b32 vcc_lo, exec_lo, s22
	s_cbranch_vccnz .LBB31_357
.LBB31_443:
	v_add_nc_u32_e32 v7, 0x80, v7
	s_mov_b32 s22, -1
	s_branch .LBB31_556
.LBB31_444:
	s_mov_b32 s24, -1
                                        ; implicit-def: $vgpr3
.LBB31_445:
	s_mov_b32 s22, 0
.LBB31_446:
	s_delay_alu instid0(SALU_CYCLE_1)
	s_and_b32 vcc_lo, exec_lo, s22
	s_cbranch_vccz .LBB31_450
; %bb.447:
	v_cmp_eq_u16_e32 vcc_lo, 29, v6
	s_cbranch_vccz .LBB31_449
; %bb.448:
	global_load_b64 v[3:4], v[1:2], off
	s_mov_b32 s2, -1
	s_mov_b32 s24, 0
	s_mov_b32 s22, 0
	s_waitcnt vmcnt(0)
	v_clz_i32_u32_e32 v8, v4
	s_delay_alu instid0(VALU_DEP_1) | instskip(NEXT) | instid1(VALU_DEP_1)
	v_min_u32_e32 v8, 32, v8
	v_lshlrev_b64 v[3:4], v8, v[3:4]
	s_delay_alu instid0(VALU_DEP_1) | instskip(NEXT) | instid1(VALU_DEP_1)
	v_min_u32_e32 v3, 1, v3
	v_or_b32_e32 v3, v4, v3
	v_sub_nc_u32_e32 v4, 32, v8
	s_delay_alu instid0(VALU_DEP_2) | instskip(NEXT) | instid1(VALU_DEP_1)
	v_cvt_f32_u32_e32 v3, v3
	v_ldexp_f32 v3, v3, v4
	s_branch .LBB31_451
.LBB31_449:
	s_mov_b32 s24, -1
                                        ; implicit-def: $vgpr3
.LBB31_450:
	s_mov_b32 s22, 0
.LBB31_451:
	s_delay_alu instid0(SALU_CYCLE_1)
	s_and_b32 vcc_lo, exec_lo, s22
	s_cbranch_vccz .LBB31_469
; %bb.452:
	v_cmp_gt_i16_e32 vcc_lo, 27, v6
	s_cbranch_vccnz .LBB31_455
; %bb.453:
	v_cmp_lt_i16_e32 vcc_lo, 27, v6
	s_cbranch_vccz .LBB31_456
; %bb.454:
	global_load_b32 v3, v[1:2], off
	s_mov_b32 s2, 0
	s_waitcnt vmcnt(0)
	v_cvt_f32_u32_e32 v3, v3
	s_branch .LBB31_457
.LBB31_455:
	s_mov_b32 s2, -1
                                        ; implicit-def: $vgpr3
	s_branch .LBB31_460
.LBB31_456:
	s_mov_b32 s2, -1
                                        ; implicit-def: $vgpr3
.LBB31_457:
	s_delay_alu instid0(SALU_CYCLE_1)
	s_and_not1_b32 vcc_lo, exec_lo, s2
	s_cbranch_vccnz .LBB31_459
; %bb.458:
	global_load_u16 v3, v[1:2], off
	s_waitcnt vmcnt(0)
	v_cvt_f32_u32_e32 v3, v3
.LBB31_459:
	s_mov_b32 s2, 0
.LBB31_460:
	s_delay_alu instid0(SALU_CYCLE_1)
	s_and_not1_b32 vcc_lo, exec_lo, s2
	s_cbranch_vccnz .LBB31_468
; %bb.461:
	global_load_u8 v4, v[1:2], off
	s_mov_b32 s2, 0
	s_mov_b32 s23, exec_lo
                                        ; implicit-def: $sgpr22
	s_waitcnt vmcnt(0)
	v_cmpx_lt_i16_e32 0x7f, v4
	s_xor_b32 s23, exec_lo, s23
	s_cbranch_execz .LBB31_482
; %bb.462:
	s_mov_b32 s2, -1
	s_mov_b32 s25, exec_lo
                                        ; implicit-def: $sgpr22
	v_cmpx_eq_u16_e32 0x80, v4
; %bb.463:
	s_mov_b32 s22, 0x7f800001
	s_xor_b32 s2, exec_lo, -1
; %bb.464:
	s_or_b32 exec_lo, exec_lo, s25
	s_delay_alu instid0(SALU_CYCLE_1)
	s_and_b32 s2, s2, exec_lo
	s_or_saveexec_b32 s23, s23
	v_mov_b32_e32 v3, s22
	s_xor_b32 exec_lo, exec_lo, s23
	s_cbranch_execnz .LBB31_483
.LBB31_465:
	s_or_b32 exec_lo, exec_lo, s23
	s_and_saveexec_b32 s22, s2
	s_cbranch_execz .LBB31_467
.LBB31_466:
	v_and_b32_e32 v3, 0xffff, v4
	v_lshlrev_b32_e32 v4, 24, v4
	s_delay_alu instid0(VALU_DEP_2) | instskip(NEXT) | instid1(VALU_DEP_2)
	v_and_b32_e32 v8, 7, v3
	v_and_b32_e32 v4, 0x80000000, v4
	s_delay_alu instid0(VALU_DEP_2) | instskip(NEXT) | instid1(VALU_DEP_1)
	v_clz_i32_u32_e32 v9, v8
	v_min_u32_e32 v9, 32, v9
	s_delay_alu instid0(VALU_DEP_1) | instskip(SKIP_1) | instid1(VALU_DEP_2)
	v_subrev_nc_u32_e32 v10, 28, v9
	v_sub_nc_u32_e32 v9, 29, v9
	v_lshlrev_b32_e32 v10, v10, v3
	v_bfe_u32 v3, v3, 3, 4
	s_delay_alu instid0(VALU_DEP_2) | instskip(NEXT) | instid1(VALU_DEP_2)
	v_and_b32_e32 v10, 7, v10
	v_cmp_eq_u32_e32 vcc_lo, 0, v3
	s_delay_alu instid0(VALU_DEP_2) | instskip(NEXT) | instid1(VALU_DEP_1)
	v_dual_cndmask_b32 v3, v3, v9 :: v_dual_cndmask_b32 v8, v8, v10
	v_lshl_add_u32 v3, v3, 23, 0x3b800000
	s_delay_alu instid0(VALU_DEP_2) | instskip(NEXT) | instid1(VALU_DEP_1)
	v_lshlrev_b32_e32 v8, 20, v8
	v_or3_b32 v3, v4, v3, v8
.LBB31_467:
	s_or_b32 exec_lo, exec_lo, s22
.LBB31_468:
	s_mov_b32 s2, -1
.LBB31_469:
	s_mov_b32 s22, 0
.LBB31_470:
	s_delay_alu instid0(SALU_CYCLE_1)
	s_and_b32 vcc_lo, exec_lo, s22
	s_cbranch_vccz .LBB31_505
; %bb.471:
	v_cmp_lt_i16_e32 vcc_lo, 22, v6
	s_cbranch_vccz .LBB31_481
; %bb.472:
	v_cmp_gt_i16_e32 vcc_lo, 24, v6
	s_cbranch_vccnz .LBB31_484
; %bb.473:
	v_cmp_lt_i16_e32 vcc_lo, 24, v6
	s_cbranch_vccz .LBB31_485
; %bb.474:
	global_load_u8 v4, v[1:2], off
	s_mov_b32 s2, 0
	s_mov_b32 s23, exec_lo
                                        ; implicit-def: $sgpr22
	s_waitcnt vmcnt(0)
	v_cmpx_lt_i16_e32 0x7f, v4
	s_xor_b32 s23, exec_lo, s23
	s_cbranch_execz .LBB31_497
; %bb.475:
	s_mov_b32 s2, -1
	s_mov_b32 s25, exec_lo
                                        ; implicit-def: $sgpr22
	v_cmpx_eq_u16_e32 0x80, v4
; %bb.476:
	s_mov_b32 s22, 0x7f800001
	s_xor_b32 s2, exec_lo, -1
; %bb.477:
	s_or_b32 exec_lo, exec_lo, s25
	s_delay_alu instid0(SALU_CYCLE_1)
	s_and_b32 s2, s2, exec_lo
	s_or_saveexec_b32 s23, s23
	v_mov_b32_e32 v3, s22
	s_xor_b32 exec_lo, exec_lo, s23
	s_cbranch_execnz .LBB31_498
.LBB31_478:
	s_or_b32 exec_lo, exec_lo, s23
	s_and_saveexec_b32 s22, s2
	s_cbranch_execz .LBB31_480
.LBB31_479:
	v_and_b32_e32 v3, 0xffff, v4
	v_lshlrev_b32_e32 v4, 24, v4
	s_delay_alu instid0(VALU_DEP_2) | instskip(NEXT) | instid1(VALU_DEP_2)
	v_and_b32_e32 v8, 3, v3
	v_and_b32_e32 v4, 0x80000000, v4
	s_delay_alu instid0(VALU_DEP_2) | instskip(NEXT) | instid1(VALU_DEP_1)
	v_clz_i32_u32_e32 v9, v8
	v_min_u32_e32 v9, 32, v9
	s_delay_alu instid0(VALU_DEP_1) | instskip(SKIP_1) | instid1(VALU_DEP_2)
	v_subrev_nc_u32_e32 v10, 29, v9
	v_sub_nc_u32_e32 v9, 30, v9
	v_lshlrev_b32_e32 v10, v10, v3
	v_bfe_u32 v3, v3, 2, 5
	s_delay_alu instid0(VALU_DEP_2) | instskip(NEXT) | instid1(VALU_DEP_2)
	v_and_b32_e32 v10, 3, v10
	v_cmp_eq_u32_e32 vcc_lo, 0, v3
	s_delay_alu instid0(VALU_DEP_2) | instskip(NEXT) | instid1(VALU_DEP_1)
	v_dual_cndmask_b32 v3, v3, v9 :: v_dual_cndmask_b32 v8, v8, v10
	v_lshl_add_u32 v3, v3, 23, 0x37800000
	s_delay_alu instid0(VALU_DEP_2) | instskip(NEXT) | instid1(VALU_DEP_1)
	v_lshlrev_b32_e32 v8, 21, v8
	v_or3_b32 v3, v4, v3, v8
.LBB31_480:
	s_or_b32 exec_lo, exec_lo, s22
	s_mov_b32 s2, 0
	s_branch .LBB31_486
.LBB31_481:
	s_mov_b32 s22, -1
                                        ; implicit-def: $vgpr3
	s_branch .LBB31_492
.LBB31_482:
	s_or_saveexec_b32 s23, s23
	v_mov_b32_e32 v3, s22
	s_xor_b32 exec_lo, exec_lo, s23
	s_cbranch_execz .LBB31_465
.LBB31_483:
	v_cmp_ne_u16_e32 vcc_lo, 0, v4
	v_mov_b32_e32 v3, 0
	s_and_not1_b32 s2, s2, exec_lo
	s_and_b32 s22, vcc_lo, exec_lo
	s_delay_alu instid0(SALU_CYCLE_1)
	s_or_b32 s2, s2, s22
	s_or_b32 exec_lo, exec_lo, s23
	s_and_saveexec_b32 s22, s2
	s_cbranch_execnz .LBB31_466
	s_branch .LBB31_467
.LBB31_484:
	s_mov_b32 s2, -1
                                        ; implicit-def: $vgpr3
	s_branch .LBB31_489
.LBB31_485:
	s_mov_b32 s2, -1
                                        ; implicit-def: $vgpr3
.LBB31_486:
	s_delay_alu instid0(SALU_CYCLE_1)
	s_and_b32 vcc_lo, exec_lo, s2
	s_cbranch_vccz .LBB31_488
; %bb.487:
	global_load_u8 v3, v[1:2], off
	s_waitcnt vmcnt(0)
	v_lshlrev_b32_e32 v3, 24, v3
	s_delay_alu instid0(VALU_DEP_1) | instskip(NEXT) | instid1(VALU_DEP_1)
	v_and_b32_e32 v4, 0x7f000000, v3
	v_clz_i32_u32_e32 v8, v4
	v_add_nc_u32_e32 v10, 0x1000000, v4
	v_cmp_ne_u32_e32 vcc_lo, 0, v4
	s_delay_alu instid0(VALU_DEP_3) | instskip(NEXT) | instid1(VALU_DEP_1)
	v_min_u32_e32 v8, 32, v8
	v_sub_nc_u32_e64 v8, v8, 4 clamp
	s_delay_alu instid0(VALU_DEP_1) | instskip(SKIP_1) | instid1(VALU_DEP_2)
	v_lshlrev_b32_e32 v9, v8, v4
	v_lshlrev_b32_e32 v8, 23, v8
	v_lshrrev_b32_e32 v9, 4, v9
	s_delay_alu instid0(VALU_DEP_1) | instskip(SKIP_1) | instid1(VALU_DEP_2)
	v_sub_nc_u32_e32 v8, v9, v8
	v_ashrrev_i32_e32 v9, 8, v10
	v_add_nc_u32_e32 v8, 0x3c000000, v8
	s_delay_alu instid0(VALU_DEP_1) | instskip(NEXT) | instid1(VALU_DEP_1)
	v_and_or_b32 v8, 0x7f800000, v9, v8
	v_cndmask_b32_e32 v4, 0, v8, vcc_lo
	s_delay_alu instid0(VALU_DEP_1)
	v_and_or_b32 v3, 0x80000000, v3, v4
.LBB31_488:
	s_mov_b32 s2, 0
.LBB31_489:
	s_delay_alu instid0(SALU_CYCLE_1)
	s_and_not1_b32 vcc_lo, exec_lo, s2
	s_cbranch_vccnz .LBB31_491
; %bb.490:
	global_load_u8 v3, v[1:2], off
	s_waitcnt vmcnt(0)
	v_lshlrev_b32_e32 v4, 25, v3
	v_lshlrev_b16 v3, 8, v3
	s_delay_alu instid0(VALU_DEP_1) | instskip(SKIP_1) | instid1(VALU_DEP_2)
	v_and_or_b32 v9, 0x7f00, v3, 0.5
	v_bfe_i32 v3, v3, 0, 16
	v_add_f32_e32 v9, -0.5, v9
	v_lshrrev_b32_e32 v8, 4, v4
	v_cmp_gt_u32_e32 vcc_lo, 0x8000000, v4
	s_delay_alu instid0(VALU_DEP_2) | instskip(NEXT) | instid1(VALU_DEP_1)
	v_or_b32_e32 v8, 0x70000000, v8
	v_mul_f32_e32 v8, 0x7800000, v8
	s_delay_alu instid0(VALU_DEP_1) | instskip(NEXT) | instid1(VALU_DEP_1)
	v_cndmask_b32_e32 v4, v8, v9, vcc_lo
	v_and_or_b32 v3, 0x80000000, v3, v4
.LBB31_491:
	s_mov_b32 s22, 0
	s_mov_b32 s2, -1
.LBB31_492:
	s_and_not1_b32 vcc_lo, exec_lo, s22
	s_cbranch_vccnz .LBB31_505
; %bb.493:
	v_cmp_lt_i16_e32 vcc_lo, 14, v6
	s_cbranch_vccz .LBB31_496
; %bb.494:
	v_cmp_eq_u16_e32 vcc_lo, 15, v6
	s_cbranch_vccz .LBB31_499
; %bb.495:
	global_load_u16 v3, v[1:2], off
	s_mov_b32 s2, -1
	s_mov_b32 s24, 0
	s_waitcnt vmcnt(0)
	v_lshlrev_b32_e32 v3, 16, v3
	s_branch .LBB31_500
.LBB31_496:
	s_mov_b32 s22, -1
                                        ; implicit-def: $vgpr3
	s_branch .LBB31_501
.LBB31_497:
	s_or_saveexec_b32 s23, s23
	v_mov_b32_e32 v3, s22
	s_xor_b32 exec_lo, exec_lo, s23
	s_cbranch_execz .LBB31_478
.LBB31_498:
	v_cmp_ne_u16_e32 vcc_lo, 0, v4
	v_mov_b32_e32 v3, 0
	s_and_not1_b32 s2, s2, exec_lo
	s_and_b32 s22, vcc_lo, exec_lo
	s_delay_alu instid0(SALU_CYCLE_1)
	s_or_b32 s2, s2, s22
	s_or_b32 exec_lo, exec_lo, s23
	s_and_saveexec_b32 s22, s2
	s_cbranch_execnz .LBB31_479
	s_branch .LBB31_480
.LBB31_499:
	s_mov_b32 s24, -1
                                        ; implicit-def: $vgpr3
.LBB31_500:
	s_mov_b32 s22, 0
.LBB31_501:
	s_delay_alu instid0(SALU_CYCLE_1)
	s_and_b32 vcc_lo, exec_lo, s22
	s_cbranch_vccz .LBB31_505
; %bb.502:
	v_cmp_eq_u16_e32 vcc_lo, 11, v6
	s_cbranch_vccz .LBB31_504
; %bb.503:
	global_load_u8 v3, v[1:2], off
	s_mov_b32 s24, 0
	s_mov_b32 s2, -1
	s_waitcnt vmcnt(0)
	v_cmp_ne_u16_e32 vcc_lo, 0, v3
	v_cndmask_b32_e64 v3, 0, 1.0, vcc_lo
	s_branch .LBB31_505
.LBB31_504:
	s_mov_b32 s24, -1
                                        ; implicit-def: $vgpr3
.LBB31_505:
	s_branch .LBB31_298
.LBB31_506:
	v_cmp_gt_i16_e32 vcc_lo, 5, v6
	s_cbranch_vccnz .LBB31_511
; %bb.507:
	v_cmp_gt_i16_e32 vcc_lo, 8, v6
	s_cbranch_vccnz .LBB31_512
; %bb.508:
	;; [unrolled: 3-line block ×3, first 2 shown]
	v_cmp_lt_i16_e32 vcc_lo, 9, v6
	s_cbranch_vccz .LBB31_514
; %bb.510:
	global_load_b64 v[3:4], v[1:2], off
	s_mov_b32 s2, 0
	s_waitcnt vmcnt(0)
	v_cvt_f32_f64_e32 v3, v[3:4]
	s_branch .LBB31_515
.LBB31_511:
	s_mov_b32 s2, -1
                                        ; implicit-def: $vgpr3
	s_branch .LBB31_533
.LBB31_512:
	s_mov_b32 s2, -1
                                        ; implicit-def: $vgpr3
	s_branch .LBB31_521
.LBB31_513:
	s_mov_b32 s2, -1
                                        ; implicit-def: $vgpr3
	s_branch .LBB31_518
.LBB31_514:
	s_mov_b32 s2, -1
                                        ; implicit-def: $vgpr3
.LBB31_515:
	s_delay_alu instid0(SALU_CYCLE_1)
	s_and_not1_b32 vcc_lo, exec_lo, s2
	s_cbranch_vccnz .LBB31_517
; %bb.516:
	global_load_b32 v3, v[1:2], off
.LBB31_517:
	s_mov_b32 s2, 0
.LBB31_518:
	s_delay_alu instid0(SALU_CYCLE_1)
	s_and_not1_b32 vcc_lo, exec_lo, s2
	s_cbranch_vccnz .LBB31_520
; %bb.519:
	global_load_b32 v3, v[1:2], off
	s_waitcnt vmcnt(0)
	v_cvt_f32_f16_e32 v3, v3
.LBB31_520:
	s_mov_b32 s2, 0
.LBB31_521:
	s_delay_alu instid0(SALU_CYCLE_1)
	s_and_not1_b32 vcc_lo, exec_lo, s2
	s_cbranch_vccnz .LBB31_532
; %bb.522:
	v_cmp_gt_i16_e32 vcc_lo, 6, v6
	s_cbranch_vccnz .LBB31_525
; %bb.523:
	v_cmp_lt_i16_e32 vcc_lo, 6, v6
	s_cbranch_vccz .LBB31_526
; %bb.524:
	global_load_b64 v[3:4], v[1:2], off
	s_mov_b32 s2, 0
	s_waitcnt vmcnt(0)
	v_cvt_f32_f64_e32 v3, v[3:4]
	s_branch .LBB31_527
.LBB31_525:
	s_mov_b32 s2, -1
                                        ; implicit-def: $vgpr3
	s_branch .LBB31_530
.LBB31_526:
	s_mov_b32 s2, -1
                                        ; implicit-def: $vgpr3
.LBB31_527:
	s_delay_alu instid0(SALU_CYCLE_1)
	s_and_not1_b32 vcc_lo, exec_lo, s2
	s_cbranch_vccnz .LBB31_529
; %bb.528:
	global_load_b32 v3, v[1:2], off
.LBB31_529:
	s_mov_b32 s2, 0
.LBB31_530:
	s_delay_alu instid0(SALU_CYCLE_1)
	s_and_not1_b32 vcc_lo, exec_lo, s2
	s_cbranch_vccnz .LBB31_532
; %bb.531:
	global_load_u16 v3, v[1:2], off
	s_waitcnt vmcnt(0)
	v_cvt_f32_f16_e32 v3, v3
.LBB31_532:
	s_mov_b32 s2, 0
.LBB31_533:
	s_delay_alu instid0(SALU_CYCLE_1)
	s_and_not1_b32 vcc_lo, exec_lo, s2
	s_cbranch_vccnz .LBB31_553
; %bb.534:
	v_cmp_gt_i16_e32 vcc_lo, 2, v6
	s_cbranch_vccnz .LBB31_538
; %bb.535:
	v_cmp_gt_i16_e32 vcc_lo, 3, v6
	s_cbranch_vccnz .LBB31_539
; %bb.536:
	v_cmp_lt_i16_e32 vcc_lo, 3, v6
	s_cbranch_vccz .LBB31_540
; %bb.537:
	global_load_b64 v[3:4], v[1:2], off
	s_mov_b32 s2, 0
	s_waitcnt vmcnt(0)
	v_xor_b32_e32 v8, v3, v4
	v_cls_i32_e32 v9, v4
	s_delay_alu instid0(VALU_DEP_2) | instskip(NEXT) | instid1(VALU_DEP_2)
	v_ashrrev_i32_e32 v8, 31, v8
	v_add_nc_u32_e32 v9, -1, v9
	s_delay_alu instid0(VALU_DEP_2) | instskip(NEXT) | instid1(VALU_DEP_1)
	v_add_nc_u32_e32 v8, 32, v8
	v_min_u32_e32 v8, v9, v8
	s_delay_alu instid0(VALU_DEP_1) | instskip(NEXT) | instid1(VALU_DEP_1)
	v_lshlrev_b64 v[3:4], v8, v[3:4]
	v_min_u32_e32 v3, 1, v3
	s_delay_alu instid0(VALU_DEP_1) | instskip(SKIP_1) | instid1(VALU_DEP_2)
	v_or_b32_e32 v3, v4, v3
	v_sub_nc_u32_e32 v4, 32, v8
	v_cvt_f32_i32_e32 v3, v3
	s_delay_alu instid0(VALU_DEP_1)
	v_ldexp_f32 v3, v3, v4
	s_branch .LBB31_541
.LBB31_538:
	s_mov_b32 s2, -1
                                        ; implicit-def: $vgpr3
	s_branch .LBB31_547
.LBB31_539:
	s_mov_b32 s2, -1
                                        ; implicit-def: $vgpr3
	s_branch .LBB31_544
.LBB31_540:
	s_mov_b32 s2, -1
                                        ; implicit-def: $vgpr3
.LBB31_541:
	s_delay_alu instid0(SALU_CYCLE_1)
	s_and_not1_b32 vcc_lo, exec_lo, s2
	s_cbranch_vccnz .LBB31_543
; %bb.542:
	global_load_b32 v3, v[1:2], off
	s_waitcnt vmcnt(0)
	v_cvt_f32_i32_e32 v3, v3
.LBB31_543:
	s_mov_b32 s2, 0
.LBB31_544:
	s_delay_alu instid0(SALU_CYCLE_1)
	s_and_not1_b32 vcc_lo, exec_lo, s2
	s_cbranch_vccnz .LBB31_546
; %bb.545:
	global_load_i16 v3, v[1:2], off
	s_waitcnt vmcnt(0)
	v_cvt_f32_i32_e32 v3, v3
.LBB31_546:
	s_mov_b32 s2, 0
.LBB31_547:
	s_delay_alu instid0(SALU_CYCLE_1)
	s_and_not1_b32 vcc_lo, exec_lo, s2
	s_cbranch_vccnz .LBB31_553
; %bb.548:
	v_cmp_lt_i16_e32 vcc_lo, 0, v6
	s_mov_b32 s2, 0
	s_cbranch_vccz .LBB31_550
; %bb.549:
	global_load_i8 v3, v[1:2], off
	s_waitcnt vmcnt(0)
	v_cvt_f32_i32_e32 v3, v3
	s_branch .LBB31_551
.LBB31_550:
	s_mov_b32 s2, -1
                                        ; implicit-def: $vgpr3
.LBB31_551:
	s_delay_alu instid0(SALU_CYCLE_1)
	s_and_not1_b32 vcc_lo, exec_lo, s2
	s_cbranch_vccnz .LBB31_553
; %bb.552:
	global_load_u8 v1, v[1:2], off
	s_waitcnt vmcnt(0)
	v_cvt_f32_ubyte0_e32 v3, v1
.LBB31_553:
	s_branch .LBB31_299
.LBB31_554:
	s_mov_b32 s22, 0
	s_mov_b32 s2, s36
.LBB31_555:
                                        ; implicit-def: $vgpr7
.LBB31_556:
	s_and_not1_b32 s23, s36, exec_lo
	s_and_b32 s2, s2, exec_lo
	s_and_not1_b32 s25, s37, exec_lo
	s_and_b32 s24, s24, exec_lo
	s_or_b32 s40, s23, s2
	s_or_b32 s39, s25, s24
	s_or_not1_b32 s2, s22, exec_lo
.LBB31_557:
	s_or_b32 exec_lo, exec_lo, s41
	s_mov_b32 s23, 0
	s_mov_b32 s22, 0
	;; [unrolled: 1-line block ×3, first 2 shown]
                                        ; implicit-def: $vgpr1_vgpr2
                                        ; implicit-def: $vgpr0
                                        ; implicit-def: $vgpr8
	s_and_saveexec_b32 s41, s2
	s_cbranch_execz .LBB31_941
; %bb.558:
	s_mov_b32 s43, -1
	s_mov_b32 s2, s39
	s_mov_b32 s24, s40
	s_mov_b32 s42, exec_lo
	v_cmpx_gt_i32_e64 s33, v7
	s_cbranch_execz .LBB31_842
; %bb.559:
	s_and_not1_b32 vcc_lo, exec_lo, s29
	s_cbranch_vccnz .LBB31_564
; %bb.560:
	v_dual_mov_b32 v0, 0 :: v_dual_mov_b32 v1, 0
	s_and_not1_b32 vcc_lo, exec_lo, s35
	s_mov_b32 s2, 0
	s_cbranch_vccnz .LBB31_569
; %bb.561:
	v_mov_b32_e32 v0, 0
	s_add_i32 s44, s34, 1
	s_cmp_eq_u32 s27, 2
	s_mov_b32 s43, 0
	s_cbranch_scc1 .LBB31_565
; %bb.562:
	v_dual_mov_b32 v1, 0 :: v_dual_mov_b32 v0, 0
	v_mov_b32_e32 v2, v7
	s_and_b32 s43, s44, 28
	s_mov_b32 s45, 0
	s_mov_b64 s[22:23], s[20:21]
	s_mov_b64 s[24:25], s[16:17]
.LBB31_563:                             ; =>This Inner Loop Header: Depth=1
	s_clause 0x1
	s_load_b256 s[48:55], s[24:25], 0x4
	s_load_b128 s[64:67], s[24:25], 0x24
	s_load_b256 s[56:63], s[22:23], 0x0
	s_add_u32 s24, s24, 48
	s_addc_u32 s25, s25, 0
	s_add_i32 s45, s45, 4
	s_add_u32 s22, s22, 32
	s_addc_u32 s23, s23, 0
	s_cmp_eq_u32 s43, s45
	s_waitcnt vmcnt(0) lgkmcnt(0)
	v_mul_hi_u32 v3, s49, v2
	s_delay_alu instid0(VALU_DEP_1) | instskip(NEXT) | instid1(VALU_DEP_1)
	v_add_nc_u32_e32 v3, v2, v3
	v_lshrrev_b32_e32 v3, s50, v3
	s_delay_alu instid0(VALU_DEP_1) | instskip(SKIP_1) | instid1(VALU_DEP_2)
	v_mul_hi_u32 v4, s52, v3
	v_mul_lo_u32 v9, v3, s48
	v_add_nc_u32_e32 v4, v3, v4
	s_delay_alu instid0(VALU_DEP_2) | instskip(NEXT) | instid1(VALU_DEP_2)
	v_sub_nc_u32_e32 v2, v2, v9
	v_lshrrev_b32_e32 v4, s53, v4
	s_delay_alu instid0(VALU_DEP_2) | instskip(SKIP_1) | instid1(VALU_DEP_3)
	v_mul_lo_u32 v9, v2, s56
	v_mul_lo_u32 v11, v2, s57
	v_mul_hi_u32 v8, s55, v4
	s_delay_alu instid0(VALU_DEP_1) | instskip(NEXT) | instid1(VALU_DEP_1)
	v_add_nc_u32_e32 v8, v4, v8
	v_lshrrev_b32_e32 v8, s64, v8
	s_delay_alu instid0(VALU_DEP_1) | instskip(SKIP_1) | instid1(VALU_DEP_2)
	v_mul_hi_u32 v10, s66, v8
	v_mul_lo_u32 v12, v8, s54
	v_add_nc_u32_e32 v2, v8, v10
	v_mul_lo_u32 v10, v4, s51
	s_delay_alu instid0(VALU_DEP_3) | instskip(NEXT) | instid1(VALU_DEP_3)
	v_sub_nc_u32_e32 v4, v4, v12
	v_lshrrev_b32_e32 v2, s67, v2
	s_delay_alu instid0(VALU_DEP_2) | instskip(SKIP_2) | instid1(VALU_DEP_4)
	v_mul_lo_u32 v12, v4, s60
	v_mul_lo_u32 v4, v4, s61
	v_sub_nc_u32_e32 v3, v3, v10
	v_mul_lo_u32 v13, v2, s65
	s_delay_alu instid0(VALU_DEP_2) | instskip(SKIP_1) | instid1(VALU_DEP_3)
	v_mul_lo_u32 v10, v3, s58
	v_mul_lo_u32 v3, v3, s59
	v_sub_nc_u32_e32 v8, v8, v13
	s_delay_alu instid0(VALU_DEP_3) | instskip(NEXT) | instid1(VALU_DEP_2)
	v_add3_u32 v0, v9, v0, v10
	v_mul_lo_u32 v13, v8, s62
	v_mul_lo_u32 v8, v8, s63
	v_add3_u32 v1, v11, v1, v3
	s_delay_alu instid0(VALU_DEP_3) | instskip(NEXT) | instid1(VALU_DEP_2)
	v_add3_u32 v0, v12, v0, v13
	v_add3_u32 v1, v4, v1, v8
	s_cbranch_scc0 .LBB31_563
	s_branch .LBB31_566
.LBB31_564:
	s_mov_b32 s2, -1
                                        ; implicit-def: $vgpr0
                                        ; implicit-def: $vgpr1
	s_branch .LBB31_569
.LBB31_565:
	v_dual_mov_b32 v2, v7 :: v_dual_mov_b32 v1, 0
.LBB31_566:
	s_and_b32 s44, s44, 3
	s_delay_alu instid0(SALU_CYCLE_1)
	s_cmp_eq_u32 s44, 0
	s_cbranch_scc1 .LBB31_569
; %bb.567:
	s_lshl_b32 s22, s43, 3
	s_mul_i32 s24, s43, 12
	s_add_u32 s22, s22, s16
	s_addc_u32 s23, s17, 0
	s_add_u32 s22, s22, 0xc4
	s_addc_u32 s23, s23, 0
	;; [unrolled: 2-line block ×3, first 2 shown]
	.p2align	6
.LBB31_568:                             ; =>This Inner Loop Header: Depth=1
	s_clause 0x1
	s_load_b64 s[46:47], s[24:25], 0x4
	s_load_b32 s43, s[24:25], 0xc
	s_load_b64 s[48:49], s[22:23], 0x0
	s_add_u32 s24, s24, 12
	s_addc_u32 s25, s25, 0
	s_add_u32 s22, s22, 8
	s_addc_u32 s23, s23, 0
	s_add_i32 s44, s44, -1
	s_delay_alu instid0(SALU_CYCLE_1) | instskip(SKIP_2) | instid1(VALU_DEP_1)
	s_cmp_lg_u32 s44, 0
	s_waitcnt vmcnt(0) lgkmcnt(0)
	v_mul_hi_u32 v3, s47, v2
	v_add_nc_u32_e32 v3, v2, v3
	s_delay_alu instid0(VALU_DEP_1) | instskip(NEXT) | instid1(VALU_DEP_1)
	v_lshrrev_b32_e32 v10, s43, v3
	v_mul_lo_u32 v3, v10, s46
	s_delay_alu instid0(VALU_DEP_1) | instskip(NEXT) | instid1(VALU_DEP_1)
	v_sub_nc_u32_e32 v2, v2, v3
	v_mad_u64_u32 v[3:4], null, v2, s48, v[0:1]
	v_mad_u64_u32 v[8:9], null, v2, s49, v[1:2]
	v_mov_b32_e32 v2, v10
	s_delay_alu instid0(VALU_DEP_2)
	v_dual_mov_b32 v0, v3 :: v_dual_mov_b32 v1, v8
	s_cbranch_scc1 .LBB31_568
.LBB31_569:
	s_and_not1_b32 vcc_lo, exec_lo, s2
	s_cbranch_vccnz .LBB31_572
; %bb.570:
	v_mul_hi_u32 v0, s13, v7
	s_and_not1_b32 vcc_lo, exec_lo, s31
	s_delay_alu instid0(VALU_DEP_1) | instskip(NEXT) | instid1(VALU_DEP_1)
	v_add_nc_u32_e32 v0, v7, v0
	v_lshrrev_b32_e32 v2, s14, v0
	s_delay_alu instid0(VALU_DEP_1) | instskip(NEXT) | instid1(VALU_DEP_1)
	v_mul_lo_u32 v0, v2, s12
	v_sub_nc_u32_e32 v1, v7, v0
	s_delay_alu instid0(VALU_DEP_1)
	v_mul_lo_u32 v0, v1, s8
	v_mul_lo_u32 v1, v1, s9
	s_cbranch_vccnz .LBB31_572
; %bb.571:
	s_waitcnt vmcnt(0)
	v_mul_hi_u32 v3, s18, v2
	s_delay_alu instid0(VALU_DEP_1) | instskip(NEXT) | instid1(VALU_DEP_1)
	v_add_nc_u32_e32 v3, v2, v3
	v_lshrrev_b32_e32 v3, s19, v3
	s_delay_alu instid0(VALU_DEP_1) | instskip(NEXT) | instid1(VALU_DEP_1)
	v_mul_lo_u32 v3, v3, s15
	v_sub_nc_u32_e32 v8, v2, v3
	s_delay_alu instid0(VALU_DEP_1) | instskip(NEXT) | instid1(VALU_DEP_1)
	v_mad_u64_u32 v[2:3], null, v8, s10, v[0:1]
	v_mad_u64_u32 v[3:4], null, v8, s11, v[1:2]
	s_delay_alu instid0(VALU_DEP_1)
	v_dual_mov_b32 v0, v2 :: v_dual_mov_b32 v1, v3
.LBB31_572:
	v_cmp_gt_i16_e32 vcc_lo, 11, v6
	s_delay_alu instid0(VALU_DEP_2) | instskip(NEXT) | instid1(VALU_DEP_1)
	v_add_co_u32 v1, s2, s6, v1
	v_add_co_ci_u32_e64 v2, null, s7, 0, s2
	s_mov_b32 s2, 0
	s_cbranch_vccnz .LBB31_579
; %bb.573:
	v_cmp_lt_i16_e32 vcc_lo, 25, v6
	s_cbranch_vccz .LBB31_580
; %bb.574:
	v_cmp_lt_i16_e32 vcc_lo, 28, v6
	s_cbranch_vccz .LBB31_581
	;; [unrolled: 3-line block ×4, first 2 shown]
; %bb.577:
	v_cmp_eq_u16_e32 vcc_lo, 46, v6
	s_mov_b32 s22, 0
	s_cbranch_vccz .LBB31_588
; %bb.578:
	global_load_b32 v3, v[1:2], off
	s_mov_b32 s2, -1
	s_mov_b32 s24, 0
	s_waitcnt vmcnt(0)
	v_lshlrev_b32_e32 v3, 16, v3
	s_branch .LBB31_590
.LBB31_579:
	s_mov_b32 s22, -1
	s_mov_b32 s24, s39
                                        ; implicit-def: $vgpr3
	s_branch .LBB31_655
.LBB31_580:
	s_mov_b32 s22, -1
	s_mov_b32 s24, s39
                                        ; implicit-def: $vgpr3
	s_branch .LBB31_619
.LBB31_581:
	s_mov_b32 s22, -1
	s_mov_b32 s24, s39
                                        ; implicit-def: $vgpr3
	s_branch .LBB31_600
.LBB31_582:
	s_mov_b32 s22, -1
	s_mov_b32 s24, s39
                                        ; implicit-def: $vgpr3
	s_branch .LBB31_595
.LBB31_583:
	s_or_saveexec_b32 s25, s25
                                        ; implicit-def: $sgpr39
	s_delay_alu instid0(SALU_CYCLE_1)
	s_xor_b32 exec_lo, exec_lo, s25
	s_cbranch_execz .LBB31_394
.LBB31_584:
	v_add_f32_e64 v0, 0x46000000, |v1|
	s_and_not1_b32 s23, s23, exec_lo
	s_mov_b32 s39, 0
	s_delay_alu instid0(VALU_DEP_1) | instskip(NEXT) | instid1(VALU_DEP_1)
	v_and_b32_e32 v0, 0xff, v0
	v_cmp_ne_u32_e32 vcc_lo, 0, v0
	s_and_b32 s40, vcc_lo, exec_lo
	s_delay_alu instid0(SALU_CYCLE_1)
	s_or_b32 s23, s23, s40
	s_or_b32 exec_lo, exec_lo, s25
	v_mov_b32_e32 v2, s39
	s_and_saveexec_b32 s25, s23
	s_cbranch_execnz .LBB31_395
	s_branch .LBB31_396
.LBB31_585:
	s_mov_b32 s22, -1
	s_mov_b32 s24, s39
	s_branch .LBB31_589
.LBB31_586:
	s_or_saveexec_b32 s25, s25
                                        ; implicit-def: $sgpr39
	s_delay_alu instid0(SALU_CYCLE_1)
	s_xor_b32 exec_lo, exec_lo, s25
	s_cbranch_execz .LBB31_407
.LBB31_587:
	v_add_f32_e64 v0, 0x42800000, |v1|
	s_and_not1_b32 s23, s23, exec_lo
	s_mov_b32 s39, 0
	s_delay_alu instid0(VALU_DEP_1) | instskip(NEXT) | instid1(VALU_DEP_1)
	v_and_b32_e32 v0, 0xff, v0
	v_cmp_ne_u32_e32 vcc_lo, 0, v0
	s_and_b32 s40, vcc_lo, exec_lo
	s_delay_alu instid0(SALU_CYCLE_1)
	s_or_b32 s23, s23, s40
	s_or_b32 exec_lo, exec_lo, s25
	v_mov_b32_e32 v2, s39
	s_and_saveexec_b32 s25, s23
	s_cbranch_execnz .LBB31_408
	s_branch .LBB31_409
.LBB31_588:
	s_mov_b32 s24, -1
.LBB31_589:
                                        ; implicit-def: $vgpr3
.LBB31_590:
	s_and_b32 vcc_lo, exec_lo, s22
	s_cbranch_vccz .LBB31_594
; %bb.591:
	v_cmp_eq_u16_e32 vcc_lo, 44, v6
	s_cbranch_vccz .LBB31_593
; %bb.592:
	global_load_u8 v3, v[1:2], off
	s_mov_b32 s24, 0
	s_mov_b32 s2, -1
	s_waitcnt vmcnt(0)
	v_lshlrev_b32_e32 v4, 23, v3
	v_cmp_ne_u32_e32 vcc_lo, 0xff, v3
	s_delay_alu instid0(VALU_DEP_2) | instskip(SKIP_1) | instid1(VALU_DEP_2)
	v_cndmask_b32_e32 v4, 0x7f800001, v4, vcc_lo
	v_cmp_ne_u32_e32 vcc_lo, 0, v3
	v_cndmask_b32_e32 v3, 0x400000, v4, vcc_lo
	s_branch .LBB31_594
.LBB31_593:
	s_mov_b32 s24, -1
                                        ; implicit-def: $vgpr3
.LBB31_594:
	s_mov_b32 s22, 0
.LBB31_595:
	s_delay_alu instid0(SALU_CYCLE_1)
	s_and_b32 vcc_lo, exec_lo, s22
	s_cbranch_vccz .LBB31_599
; %bb.596:
	v_cmp_eq_u16_e32 vcc_lo, 29, v6
	s_cbranch_vccz .LBB31_598
; %bb.597:
	global_load_b64 v[3:4], v[1:2], off
	s_mov_b32 s2, -1
	s_mov_b32 s24, 0
	s_mov_b32 s22, 0
	s_waitcnt vmcnt(0)
	v_clz_i32_u32_e32 v8, v4
	s_delay_alu instid0(VALU_DEP_1) | instskip(NEXT) | instid1(VALU_DEP_1)
	v_min_u32_e32 v8, 32, v8
	v_lshlrev_b64 v[3:4], v8, v[3:4]
	s_delay_alu instid0(VALU_DEP_1) | instskip(NEXT) | instid1(VALU_DEP_1)
	v_min_u32_e32 v3, 1, v3
	v_or_b32_e32 v3, v4, v3
	v_sub_nc_u32_e32 v4, 32, v8
	s_delay_alu instid0(VALU_DEP_2) | instskip(NEXT) | instid1(VALU_DEP_1)
	v_cvt_f32_u32_e32 v3, v3
	v_ldexp_f32 v3, v3, v4
	s_branch .LBB31_600
.LBB31_598:
	s_mov_b32 s24, -1
                                        ; implicit-def: $vgpr3
.LBB31_599:
	s_mov_b32 s22, 0
.LBB31_600:
	s_delay_alu instid0(SALU_CYCLE_1)
	s_and_b32 vcc_lo, exec_lo, s22
	s_cbranch_vccz .LBB31_618
; %bb.601:
	v_cmp_gt_i16_e32 vcc_lo, 27, v6
	s_cbranch_vccnz .LBB31_604
; %bb.602:
	v_cmp_lt_i16_e32 vcc_lo, 27, v6
	s_cbranch_vccz .LBB31_605
; %bb.603:
	global_load_b32 v3, v[1:2], off
	s_mov_b32 s2, 0
	s_waitcnt vmcnt(0)
	v_cvt_f32_u32_e32 v3, v3
	s_branch .LBB31_606
.LBB31_604:
	s_mov_b32 s2, -1
                                        ; implicit-def: $vgpr3
	s_branch .LBB31_609
.LBB31_605:
	s_mov_b32 s2, -1
                                        ; implicit-def: $vgpr3
.LBB31_606:
	s_delay_alu instid0(SALU_CYCLE_1)
	s_and_not1_b32 vcc_lo, exec_lo, s2
	s_cbranch_vccnz .LBB31_608
; %bb.607:
	global_load_u16 v3, v[1:2], off
	s_waitcnt vmcnt(0)
	v_cvt_f32_u32_e32 v3, v3
.LBB31_608:
	s_mov_b32 s2, 0
.LBB31_609:
	s_delay_alu instid0(SALU_CYCLE_1)
	s_and_not1_b32 vcc_lo, exec_lo, s2
	s_cbranch_vccnz .LBB31_617
; %bb.610:
	global_load_u8 v4, v[1:2], off
	s_mov_b32 s2, 0
	s_mov_b32 s23, exec_lo
                                        ; implicit-def: $sgpr22
	s_waitcnt vmcnt(0)
	v_cmpx_lt_i16_e32 0x7f, v4
	s_xor_b32 s23, exec_lo, s23
	s_cbranch_execz .LBB31_631
; %bb.611:
	s_mov_b32 s2, -1
	s_mov_b32 s25, exec_lo
                                        ; implicit-def: $sgpr22
	v_cmpx_eq_u16_e32 0x80, v4
; %bb.612:
	s_mov_b32 s22, 0x7f800001
	s_xor_b32 s2, exec_lo, -1
; %bb.613:
	s_or_b32 exec_lo, exec_lo, s25
	s_delay_alu instid0(SALU_CYCLE_1)
	s_and_b32 s2, s2, exec_lo
	s_or_saveexec_b32 s23, s23
	v_mov_b32_e32 v3, s22
	s_xor_b32 exec_lo, exec_lo, s23
	s_cbranch_execnz .LBB31_632
.LBB31_614:
	s_or_b32 exec_lo, exec_lo, s23
	s_and_saveexec_b32 s22, s2
	s_cbranch_execz .LBB31_616
.LBB31_615:
	v_and_b32_e32 v3, 0xffff, v4
	v_lshlrev_b32_e32 v4, 24, v4
	s_delay_alu instid0(VALU_DEP_2) | instskip(NEXT) | instid1(VALU_DEP_2)
	v_and_b32_e32 v8, 7, v3
	v_and_b32_e32 v4, 0x80000000, v4
	s_delay_alu instid0(VALU_DEP_2) | instskip(NEXT) | instid1(VALU_DEP_1)
	v_clz_i32_u32_e32 v9, v8
	v_min_u32_e32 v9, 32, v9
	s_delay_alu instid0(VALU_DEP_1) | instskip(SKIP_1) | instid1(VALU_DEP_2)
	v_subrev_nc_u32_e32 v10, 28, v9
	v_sub_nc_u32_e32 v9, 29, v9
	v_lshlrev_b32_e32 v10, v10, v3
	v_bfe_u32 v3, v3, 3, 4
	s_delay_alu instid0(VALU_DEP_2) | instskip(NEXT) | instid1(VALU_DEP_2)
	v_and_b32_e32 v10, 7, v10
	v_cmp_eq_u32_e32 vcc_lo, 0, v3
	s_delay_alu instid0(VALU_DEP_2) | instskip(NEXT) | instid1(VALU_DEP_1)
	v_dual_cndmask_b32 v3, v3, v9 :: v_dual_cndmask_b32 v8, v8, v10
	v_lshl_add_u32 v3, v3, 23, 0x3b800000
	s_delay_alu instid0(VALU_DEP_2) | instskip(NEXT) | instid1(VALU_DEP_1)
	v_lshlrev_b32_e32 v8, 20, v8
	v_or3_b32 v3, v4, v3, v8
.LBB31_616:
	s_or_b32 exec_lo, exec_lo, s22
.LBB31_617:
	s_mov_b32 s2, -1
.LBB31_618:
	s_mov_b32 s22, 0
.LBB31_619:
	s_delay_alu instid0(SALU_CYCLE_1)
	s_and_b32 vcc_lo, exec_lo, s22
	s_cbranch_vccz .LBB31_654
; %bb.620:
	v_cmp_lt_i16_e32 vcc_lo, 22, v6
	s_cbranch_vccz .LBB31_630
; %bb.621:
	v_cmp_gt_i16_e32 vcc_lo, 24, v6
	s_cbranch_vccnz .LBB31_633
; %bb.622:
	v_cmp_lt_i16_e32 vcc_lo, 24, v6
	s_cbranch_vccz .LBB31_634
; %bb.623:
	global_load_u8 v4, v[1:2], off
	s_mov_b32 s2, 0
	s_mov_b32 s23, exec_lo
                                        ; implicit-def: $sgpr22
	s_waitcnt vmcnt(0)
	v_cmpx_lt_i16_e32 0x7f, v4
	s_xor_b32 s23, exec_lo, s23
	s_cbranch_execz .LBB31_646
; %bb.624:
	s_mov_b32 s2, -1
	s_mov_b32 s25, exec_lo
                                        ; implicit-def: $sgpr22
	v_cmpx_eq_u16_e32 0x80, v4
; %bb.625:
	s_mov_b32 s22, 0x7f800001
	s_xor_b32 s2, exec_lo, -1
; %bb.626:
	s_or_b32 exec_lo, exec_lo, s25
	s_delay_alu instid0(SALU_CYCLE_1)
	s_and_b32 s2, s2, exec_lo
	s_or_saveexec_b32 s23, s23
	v_mov_b32_e32 v3, s22
	s_xor_b32 exec_lo, exec_lo, s23
	s_cbranch_execnz .LBB31_647
.LBB31_627:
	s_or_b32 exec_lo, exec_lo, s23
	s_and_saveexec_b32 s22, s2
	s_cbranch_execz .LBB31_629
.LBB31_628:
	v_and_b32_e32 v3, 0xffff, v4
	v_lshlrev_b32_e32 v4, 24, v4
	s_delay_alu instid0(VALU_DEP_2) | instskip(NEXT) | instid1(VALU_DEP_2)
	v_and_b32_e32 v8, 3, v3
	v_and_b32_e32 v4, 0x80000000, v4
	s_delay_alu instid0(VALU_DEP_2) | instskip(NEXT) | instid1(VALU_DEP_1)
	v_clz_i32_u32_e32 v9, v8
	v_min_u32_e32 v9, 32, v9
	s_delay_alu instid0(VALU_DEP_1) | instskip(SKIP_1) | instid1(VALU_DEP_2)
	v_subrev_nc_u32_e32 v10, 29, v9
	v_sub_nc_u32_e32 v9, 30, v9
	v_lshlrev_b32_e32 v10, v10, v3
	v_bfe_u32 v3, v3, 2, 5
	s_delay_alu instid0(VALU_DEP_2) | instskip(NEXT) | instid1(VALU_DEP_2)
	v_and_b32_e32 v10, 3, v10
	v_cmp_eq_u32_e32 vcc_lo, 0, v3
	s_delay_alu instid0(VALU_DEP_2) | instskip(NEXT) | instid1(VALU_DEP_1)
	v_dual_cndmask_b32 v3, v3, v9 :: v_dual_cndmask_b32 v8, v8, v10
	v_lshl_add_u32 v3, v3, 23, 0x37800000
	s_delay_alu instid0(VALU_DEP_2) | instskip(NEXT) | instid1(VALU_DEP_1)
	v_lshlrev_b32_e32 v8, 21, v8
	v_or3_b32 v3, v4, v3, v8
.LBB31_629:
	s_or_b32 exec_lo, exec_lo, s22
	s_mov_b32 s2, 0
	s_branch .LBB31_635
.LBB31_630:
	s_mov_b32 s22, -1
                                        ; implicit-def: $vgpr3
	s_branch .LBB31_641
.LBB31_631:
	s_or_saveexec_b32 s23, s23
	v_mov_b32_e32 v3, s22
	s_xor_b32 exec_lo, exec_lo, s23
	s_cbranch_execz .LBB31_614
.LBB31_632:
	v_cmp_ne_u16_e32 vcc_lo, 0, v4
	v_mov_b32_e32 v3, 0
	s_and_not1_b32 s2, s2, exec_lo
	s_and_b32 s22, vcc_lo, exec_lo
	s_delay_alu instid0(SALU_CYCLE_1)
	s_or_b32 s2, s2, s22
	s_or_b32 exec_lo, exec_lo, s23
	s_and_saveexec_b32 s22, s2
	s_cbranch_execnz .LBB31_615
	s_branch .LBB31_616
.LBB31_633:
	s_mov_b32 s2, -1
                                        ; implicit-def: $vgpr3
	s_branch .LBB31_638
.LBB31_634:
	s_mov_b32 s2, -1
                                        ; implicit-def: $vgpr3
.LBB31_635:
	s_delay_alu instid0(SALU_CYCLE_1)
	s_and_b32 vcc_lo, exec_lo, s2
	s_cbranch_vccz .LBB31_637
; %bb.636:
	global_load_u8 v3, v[1:2], off
	s_waitcnt vmcnt(0)
	v_lshlrev_b32_e32 v3, 24, v3
	s_delay_alu instid0(VALU_DEP_1) | instskip(NEXT) | instid1(VALU_DEP_1)
	v_and_b32_e32 v4, 0x7f000000, v3
	v_clz_i32_u32_e32 v8, v4
	v_add_nc_u32_e32 v10, 0x1000000, v4
	v_cmp_ne_u32_e32 vcc_lo, 0, v4
	s_delay_alu instid0(VALU_DEP_3) | instskip(NEXT) | instid1(VALU_DEP_1)
	v_min_u32_e32 v8, 32, v8
	v_sub_nc_u32_e64 v8, v8, 4 clamp
	s_delay_alu instid0(VALU_DEP_1) | instskip(SKIP_1) | instid1(VALU_DEP_2)
	v_lshlrev_b32_e32 v9, v8, v4
	v_lshlrev_b32_e32 v8, 23, v8
	v_lshrrev_b32_e32 v9, 4, v9
	s_delay_alu instid0(VALU_DEP_1) | instskip(SKIP_1) | instid1(VALU_DEP_2)
	v_sub_nc_u32_e32 v8, v9, v8
	v_ashrrev_i32_e32 v9, 8, v10
	v_add_nc_u32_e32 v8, 0x3c000000, v8
	s_delay_alu instid0(VALU_DEP_1) | instskip(NEXT) | instid1(VALU_DEP_1)
	v_and_or_b32 v8, 0x7f800000, v9, v8
	v_cndmask_b32_e32 v4, 0, v8, vcc_lo
	s_delay_alu instid0(VALU_DEP_1)
	v_and_or_b32 v3, 0x80000000, v3, v4
.LBB31_637:
	s_mov_b32 s2, 0
.LBB31_638:
	s_delay_alu instid0(SALU_CYCLE_1)
	s_and_not1_b32 vcc_lo, exec_lo, s2
	s_cbranch_vccnz .LBB31_640
; %bb.639:
	global_load_u8 v3, v[1:2], off
	s_waitcnt vmcnt(0)
	v_lshlrev_b32_e32 v4, 25, v3
	v_lshlrev_b16 v3, 8, v3
	s_delay_alu instid0(VALU_DEP_1) | instskip(SKIP_1) | instid1(VALU_DEP_2)
	v_and_or_b32 v9, 0x7f00, v3, 0.5
	v_bfe_i32 v3, v3, 0, 16
	v_add_f32_e32 v9, -0.5, v9
	v_lshrrev_b32_e32 v8, 4, v4
	v_cmp_gt_u32_e32 vcc_lo, 0x8000000, v4
	s_delay_alu instid0(VALU_DEP_2) | instskip(NEXT) | instid1(VALU_DEP_1)
	v_or_b32_e32 v8, 0x70000000, v8
	v_mul_f32_e32 v8, 0x7800000, v8
	s_delay_alu instid0(VALU_DEP_1) | instskip(NEXT) | instid1(VALU_DEP_1)
	v_cndmask_b32_e32 v4, v8, v9, vcc_lo
	v_and_or_b32 v3, 0x80000000, v3, v4
.LBB31_640:
	s_mov_b32 s22, 0
	s_mov_b32 s2, -1
.LBB31_641:
	s_and_not1_b32 vcc_lo, exec_lo, s22
	s_cbranch_vccnz .LBB31_654
; %bb.642:
	v_cmp_lt_i16_e32 vcc_lo, 14, v6
	s_cbranch_vccz .LBB31_645
; %bb.643:
	v_cmp_eq_u16_e32 vcc_lo, 15, v6
	s_cbranch_vccz .LBB31_648
; %bb.644:
	global_load_u16 v3, v[1:2], off
	s_mov_b32 s2, -1
	s_mov_b32 s24, 0
	s_waitcnt vmcnt(0)
	v_lshlrev_b32_e32 v3, 16, v3
	s_branch .LBB31_649
.LBB31_645:
	s_mov_b32 s22, -1
                                        ; implicit-def: $vgpr3
	s_branch .LBB31_650
.LBB31_646:
	s_or_saveexec_b32 s23, s23
	v_mov_b32_e32 v3, s22
	s_xor_b32 exec_lo, exec_lo, s23
	s_cbranch_execz .LBB31_627
.LBB31_647:
	v_cmp_ne_u16_e32 vcc_lo, 0, v4
	v_mov_b32_e32 v3, 0
	s_and_not1_b32 s2, s2, exec_lo
	s_and_b32 s22, vcc_lo, exec_lo
	s_delay_alu instid0(SALU_CYCLE_1)
	s_or_b32 s2, s2, s22
	s_or_b32 exec_lo, exec_lo, s23
	s_and_saveexec_b32 s22, s2
	s_cbranch_execnz .LBB31_628
	s_branch .LBB31_629
.LBB31_648:
	s_mov_b32 s24, -1
                                        ; implicit-def: $vgpr3
.LBB31_649:
	s_mov_b32 s22, 0
.LBB31_650:
	s_delay_alu instid0(SALU_CYCLE_1)
	s_and_b32 vcc_lo, exec_lo, s22
	s_cbranch_vccz .LBB31_654
; %bb.651:
	v_cmp_eq_u16_e32 vcc_lo, 11, v6
	s_cbranch_vccz .LBB31_653
; %bb.652:
	global_load_u8 v3, v[1:2], off
	s_mov_b32 s24, 0
	s_mov_b32 s2, -1
	s_waitcnt vmcnt(0)
	v_cmp_ne_u16_e32 vcc_lo, 0, v3
	v_cndmask_b32_e64 v3, 0, 1.0, vcc_lo
	s_branch .LBB31_654
.LBB31_653:
	s_mov_b32 s24, -1
                                        ; implicit-def: $vgpr3
.LBB31_654:
	s_mov_b32 s22, 0
.LBB31_655:
	s_delay_alu instid0(SALU_CYCLE_1)
	s_and_b32 vcc_lo, exec_lo, s22
	s_cbranch_vccz .LBB31_704
; %bb.656:
	v_cmp_gt_i16_e32 vcc_lo, 5, v6
	s_cbranch_vccnz .LBB31_661
; %bb.657:
	v_cmp_gt_i16_e32 vcc_lo, 8, v6
	s_cbranch_vccnz .LBB31_662
	;; [unrolled: 3-line block ×3, first 2 shown]
; %bb.659:
	v_cmp_lt_i16_e32 vcc_lo, 9, v6
	s_cbranch_vccz .LBB31_664
; %bb.660:
	global_load_b64 v[3:4], v[1:2], off
	s_mov_b32 s2, 0
	s_waitcnt vmcnt(0)
	v_cvt_f32_f64_e32 v3, v[3:4]
	s_branch .LBB31_665
.LBB31_661:
	s_mov_b32 s2, -1
                                        ; implicit-def: $vgpr3
	s_branch .LBB31_683
.LBB31_662:
	s_mov_b32 s2, -1
                                        ; implicit-def: $vgpr3
	s_branch .LBB31_671
.LBB31_663:
	s_mov_b32 s2, -1
                                        ; implicit-def: $vgpr3
	s_branch .LBB31_668
.LBB31_664:
	s_mov_b32 s2, -1
                                        ; implicit-def: $vgpr3
.LBB31_665:
	s_delay_alu instid0(SALU_CYCLE_1)
	s_and_not1_b32 vcc_lo, exec_lo, s2
	s_cbranch_vccnz .LBB31_667
; %bb.666:
	global_load_b32 v3, v[1:2], off
.LBB31_667:
	s_mov_b32 s2, 0
.LBB31_668:
	s_delay_alu instid0(SALU_CYCLE_1)
	s_and_not1_b32 vcc_lo, exec_lo, s2
	s_cbranch_vccnz .LBB31_670
; %bb.669:
	global_load_b32 v3, v[1:2], off
	s_waitcnt vmcnt(0)
	v_cvt_f32_f16_e32 v3, v3
.LBB31_670:
	s_mov_b32 s2, 0
.LBB31_671:
	s_delay_alu instid0(SALU_CYCLE_1)
	s_and_not1_b32 vcc_lo, exec_lo, s2
	s_cbranch_vccnz .LBB31_682
; %bb.672:
	v_cmp_gt_i16_e32 vcc_lo, 6, v6
	s_cbranch_vccnz .LBB31_675
; %bb.673:
	v_cmp_lt_i16_e32 vcc_lo, 6, v6
	s_cbranch_vccz .LBB31_676
; %bb.674:
	global_load_b64 v[3:4], v[1:2], off
	s_mov_b32 s2, 0
	s_waitcnt vmcnt(0)
	v_cvt_f32_f64_e32 v3, v[3:4]
	s_branch .LBB31_677
.LBB31_675:
	s_mov_b32 s2, -1
                                        ; implicit-def: $vgpr3
	s_branch .LBB31_680
.LBB31_676:
	s_mov_b32 s2, -1
                                        ; implicit-def: $vgpr3
.LBB31_677:
	s_delay_alu instid0(SALU_CYCLE_1)
	s_and_not1_b32 vcc_lo, exec_lo, s2
	s_cbranch_vccnz .LBB31_679
; %bb.678:
	global_load_b32 v3, v[1:2], off
.LBB31_679:
	s_mov_b32 s2, 0
.LBB31_680:
	s_delay_alu instid0(SALU_CYCLE_1)
	s_and_not1_b32 vcc_lo, exec_lo, s2
	s_cbranch_vccnz .LBB31_682
; %bb.681:
	global_load_u16 v3, v[1:2], off
	s_waitcnt vmcnt(0)
	v_cvt_f32_f16_e32 v3, v3
.LBB31_682:
	s_mov_b32 s2, 0
.LBB31_683:
	s_delay_alu instid0(SALU_CYCLE_1)
	s_and_not1_b32 vcc_lo, exec_lo, s2
	s_cbranch_vccnz .LBB31_703
; %bb.684:
	v_cmp_gt_i16_e32 vcc_lo, 2, v6
	s_cbranch_vccnz .LBB31_688
; %bb.685:
	v_cmp_gt_i16_e32 vcc_lo, 3, v6
	s_cbranch_vccnz .LBB31_689
; %bb.686:
	v_cmp_lt_i16_e32 vcc_lo, 3, v6
	s_cbranch_vccz .LBB31_690
; %bb.687:
	global_load_b64 v[3:4], v[1:2], off
	s_mov_b32 s2, 0
	s_waitcnt vmcnt(0)
	v_xor_b32_e32 v8, v3, v4
	v_cls_i32_e32 v9, v4
	s_delay_alu instid0(VALU_DEP_2) | instskip(NEXT) | instid1(VALU_DEP_2)
	v_ashrrev_i32_e32 v8, 31, v8
	v_add_nc_u32_e32 v9, -1, v9
	s_delay_alu instid0(VALU_DEP_2) | instskip(NEXT) | instid1(VALU_DEP_1)
	v_add_nc_u32_e32 v8, 32, v8
	v_min_u32_e32 v8, v9, v8
	s_delay_alu instid0(VALU_DEP_1) | instskip(NEXT) | instid1(VALU_DEP_1)
	v_lshlrev_b64 v[3:4], v8, v[3:4]
	v_min_u32_e32 v3, 1, v3
	s_delay_alu instid0(VALU_DEP_1) | instskip(SKIP_1) | instid1(VALU_DEP_2)
	v_or_b32_e32 v3, v4, v3
	v_sub_nc_u32_e32 v4, 32, v8
	v_cvt_f32_i32_e32 v3, v3
	s_delay_alu instid0(VALU_DEP_1)
	v_ldexp_f32 v3, v3, v4
	s_branch .LBB31_691
.LBB31_688:
	s_mov_b32 s2, -1
                                        ; implicit-def: $vgpr3
	s_branch .LBB31_697
.LBB31_689:
	s_mov_b32 s2, -1
                                        ; implicit-def: $vgpr3
	s_branch .LBB31_694
.LBB31_690:
	s_mov_b32 s2, -1
                                        ; implicit-def: $vgpr3
.LBB31_691:
	s_delay_alu instid0(SALU_CYCLE_1)
	s_and_not1_b32 vcc_lo, exec_lo, s2
	s_cbranch_vccnz .LBB31_693
; %bb.692:
	global_load_b32 v3, v[1:2], off
	s_waitcnt vmcnt(0)
	v_cvt_f32_i32_e32 v3, v3
.LBB31_693:
	s_mov_b32 s2, 0
.LBB31_694:
	s_delay_alu instid0(SALU_CYCLE_1)
	s_and_not1_b32 vcc_lo, exec_lo, s2
	s_cbranch_vccnz .LBB31_696
; %bb.695:
	global_load_i16 v3, v[1:2], off
	s_waitcnt vmcnt(0)
	v_cvt_f32_i32_e32 v3, v3
.LBB31_696:
	s_mov_b32 s2, 0
.LBB31_697:
	s_delay_alu instid0(SALU_CYCLE_1)
	s_and_not1_b32 vcc_lo, exec_lo, s2
	s_cbranch_vccnz .LBB31_703
; %bb.698:
	v_cmp_lt_i16_e32 vcc_lo, 0, v6
	s_mov_b32 s2, 0
	s_cbranch_vccz .LBB31_700
; %bb.699:
	global_load_i8 v3, v[1:2], off
	s_waitcnt vmcnt(0)
	v_cvt_f32_i32_e32 v3, v3
	s_branch .LBB31_701
.LBB31_700:
	s_mov_b32 s2, -1
                                        ; implicit-def: $vgpr3
.LBB31_701:
	s_delay_alu instid0(SALU_CYCLE_1)
	s_and_not1_b32 vcc_lo, exec_lo, s2
	s_cbranch_vccnz .LBB31_703
; %bb.702:
	global_load_u8 v1, v[1:2], off
	s_waitcnt vmcnt(0)
	v_cvt_f32_ubyte0_e32 v3, v1
.LBB31_703:
	s_mov_b32 s2, -1
.LBB31_704:
	s_delay_alu instid0(SALU_CYCLE_1)
	s_and_not1_b32 vcc_lo, exec_lo, s2
	s_cbranch_vccnz .LBB31_724
; %bb.705:
	s_waitcnt vmcnt(0)
	s_delay_alu instid0(VALU_DEP_1) | instskip(SKIP_1) | instid1(VALU_DEP_1)
	v_trunc_f32_e32 v1, v3
	s_mov_b32 s2, exec_lo
	v_mul_f32_e64 v2, 0x2f800000, |v1|
	s_delay_alu instid0(VALU_DEP_1) | instskip(NEXT) | instid1(VALU_DEP_1)
	v_floor_f32_e32 v2, v2
	v_fma_f32 v4, 0xcf800000, v2, |v1|
	v_ashrrev_i32_e32 v1, 31, v1
	v_cvt_u32_f32_e32 v2, v2
	s_delay_alu instid0(VALU_DEP_3) | instskip(NEXT) | instid1(VALU_DEP_2)
	v_cvt_u32_f32_e32 v4, v4
	v_xor_b32_e32 v2, v2, v1
	s_delay_alu instid0(VALU_DEP_2) | instskip(NEXT) | instid1(VALU_DEP_1)
	v_xor_b32_e32 v4, v4, v1
	v_sub_co_u32 v4, vcc_lo, v4, v1
	s_delay_alu instid0(VALU_DEP_3) | instskip(SKIP_1) | instid1(VALU_DEP_2)
	v_sub_co_ci_u32_e32 v1, vcc_lo, v2, v1, vcc_lo
	v_cmp_class_f32_e64 vcc_lo, v3, 0x1f8
	v_dual_cndmask_b32 v3, -1, v1 :: v_dual_cndmask_b32 v2, -1, v4
	v_mov_b32_e32 v1, 0
	s_delay_alu instid0(VALU_DEP_2)
	v_cmpx_lt_i64_e32 -1, v[2:3]
	s_cbranch_execz .LBB31_717
; %bb.706:
	v_mov_b32_e32 v1, 1.0
	s_mov_b32 s25, exec_lo
	v_cmpx_lt_i64_e32 0, v[2:3]
	s_cbranch_execz .LBB31_716
; %bb.707:
                                        ; implicit-def: $vgpr1
	s_mov_b32 s22, exec_lo
	v_cmpx_ne_u64_e32 1, v[2:3]
	s_xor_b32 s43, exec_lo, s22
	s_cbranch_execz .LBB31_713
; %bb.708:
	v_mov_b32_e32 v1, 0x7fc00000
	s_mov_b32 s44, exec_lo
	v_cmpx_gt_u64_e32 0x81, v[2:3]
	s_cbranch_execz .LBB31_712
; %bb.709:
	v_lshlrev_b64 v[2:3], 1, v[2:3]
	v_dual_mov_b32 v4, 1.0 :: v_dual_mov_b32 v1, v5
	s_mov_b64 s[22:23], 2
	s_mov_b32 s45, 0
.LBB31_710:                             ; =>This Inner Loop Header: Depth=1
	s_clz_i32_u32 s46, s23
	s_delay_alu instid0(SALU_CYCLE_1) | instskip(NEXT) | instid1(SALU_CYCLE_1)
	s_min_u32 s48, s46, 32
	s_lshl_b64 s[46:47], s[22:23], s48
	s_delay_alu instid0(SALU_CYCLE_1) | instskip(NEXT) | instid1(SALU_CYCLE_1)
	s_min_u32 s46, s46, 1
	s_or_b32 s46, s47, s46
	s_delay_alu instid0(SALU_CYCLE_1) | instskip(SKIP_3) | instid1(SALU_CYCLE_1)
	v_cvt_f32_u32_e32 v8, s46
	s_sub_i32 s46, 32, s48
	s_add_u32 s22, s22, 2
	s_addc_u32 s23, s23, 0
	v_cmp_ge_u64_e32 vcc_lo, s[22:23], v[2:3]
	v_ldexp_f32 v8, v8, s46
	s_delay_alu instid0(VALU_DEP_1) | instskip(SKIP_2) | instid1(VALU_DEP_2)
	v_mul_f32_e32 v8, v4, v8
	v_mov_b32_e32 v4, v1
	s_or_b32 s45, vcc_lo, s45
	v_fma_f32 v1, v5, v1, -v8
	s_and_not1_b32 exec_lo, exec_lo, s45
	s_cbranch_execnz .LBB31_710
; %bb.711:
	s_or_b32 exec_lo, exec_lo, s45
.LBB31_712:
	s_delay_alu instid0(SALU_CYCLE_1)
	s_or_b32 exec_lo, exec_lo, s44
.LBB31_713:
	s_and_not1_saveexec_b32 s22, s43
; %bb.714:
	v_mov_b32_e32 v1, v5
; %bb.715:
	s_or_b32 exec_lo, exec_lo, s22
.LBB31_716:
	s_delay_alu instid0(SALU_CYCLE_1)
	s_or_b32 exec_lo, exec_lo, s25
.LBB31_717:
	s_delay_alu instid0(SALU_CYCLE_1) | instskip(SKIP_2) | instid1(VALU_DEP_1)
	s_or_b32 exec_lo, exec_lo, s2
	v_and_b32_e64 v8, 0xff, s3
	v_add_co_u32 v3, s2, s4, v0
	v_add_co_ci_u32_e64 v4, null, s5, 0, s2
	s_delay_alu instid0(VALU_DEP_3)
	v_cmp_gt_i16_e32 vcc_lo, 11, v8
	s_mov_b32 s22, 0
	s_mov_b32 s23, -1
	s_mov_b32 s2, s40
	s_cbranch_vccnz .LBB31_725
; %bb.718:
	v_cmp_lt_i16_e32 vcc_lo, 25, v8
	s_cbranch_vccz .LBB31_766
; %bb.719:
	v_cmp_lt_i16_e32 vcc_lo, 28, v8
	s_cbranch_vccz .LBB31_767
	;; [unrolled: 3-line block ×4, first 2 shown]
; %bb.722:
	v_cmp_eq_u16_e32 vcc_lo, 46, v8
	s_mov_b32 s23, 0
	s_mov_b32 s2, -1
	s_cbranch_vccz .LBB31_770
; %bb.723:
	v_bfe_u32 v0, v1, 16, 1
	v_cmp_o_f32_e32 vcc_lo, v1, v1
	s_mov_b32 s22, -1
	s_mov_b32 s2, 0
	s_delay_alu instid0(VALU_DEP_2) | instskip(NEXT) | instid1(VALU_DEP_1)
	v_add3_u32 v0, v1, v0, 0x7fff
	v_lshrrev_b32_e32 v0, 16, v0
	s_delay_alu instid0(VALU_DEP_1)
	v_cndmask_b32_e32 v0, 0x7fc0, v0, vcc_lo
	global_store_b32 v[3:4], v0, off
	s_branch .LBB31_770
.LBB31_724:
	s_mov_b32 s22, 0
	s_mov_b32 s2, s40
	s_branch .LBB31_765
.LBB31_725:
	s_and_b32 vcc_lo, exec_lo, s23
	s_cbranch_vccz .LBB31_839
; %bb.726:
	v_cmp_gt_i16_e32 vcc_lo, 5, v8
	s_mov_b32 s22, -1
	s_cbranch_vccnz .LBB31_747
; %bb.727:
	v_cmp_gt_i16_e32 vcc_lo, 8, v8
	s_cbranch_vccnz .LBB31_737
; %bb.728:
	v_cmp_gt_i16_e32 vcc_lo, 9, v8
	s_cbranch_vccnz .LBB31_734
; %bb.729:
	v_cmp_lt_i16_e32 vcc_lo, 9, v8
	s_cbranch_vccz .LBB31_731
; %bb.730:
	v_cvt_f64_f32_e32 v[9:10], v1
	v_mov_b32_e32 v11, 0
	s_mov_b32 s22, 0
	s_delay_alu instid0(VALU_DEP_1)
	v_mov_b32_e32 v12, v11
	global_store_b128 v[3:4], v[9:12], off
.LBB31_731:
	s_and_not1_b32 vcc_lo, exec_lo, s22
	s_cbranch_vccnz .LBB31_733
; %bb.732:
	v_mov_b32_e32 v2, 0
	global_store_b64 v[3:4], v[1:2], off
.LBB31_733:
	s_mov_b32 s22, 0
.LBB31_734:
	s_delay_alu instid0(SALU_CYCLE_1)
	s_and_not1_b32 vcc_lo, exec_lo, s22
	s_cbranch_vccnz .LBB31_736
; %bb.735:
	v_cvt_f16_f32_e32 v0, v1
	s_delay_alu instid0(VALU_DEP_1)
	v_and_b32_e32 v0, 0xffff, v0
	global_store_b32 v[3:4], v0, off
.LBB31_736:
	s_mov_b32 s22, 0
.LBB31_737:
	s_delay_alu instid0(SALU_CYCLE_1)
	s_and_not1_b32 vcc_lo, exec_lo, s22
	s_cbranch_vccnz .LBB31_746
; %bb.738:
	v_cmp_gt_i16_e32 vcc_lo, 6, v8
	s_mov_b32 s22, -1
	s_cbranch_vccnz .LBB31_744
; %bb.739:
	v_cmp_lt_i16_e32 vcc_lo, 6, v8
	s_cbranch_vccz .LBB31_741
; %bb.740:
	v_cvt_f64_f32_e32 v[9:10], v1
	s_mov_b32 s22, 0
	global_store_b64 v[3:4], v[9:10], off
.LBB31_741:
	s_and_not1_b32 vcc_lo, exec_lo, s22
	s_cbranch_vccnz .LBB31_743
; %bb.742:
	global_store_b32 v[3:4], v1, off
.LBB31_743:
	s_mov_b32 s22, 0
.LBB31_744:
	s_delay_alu instid0(SALU_CYCLE_1)
	s_and_not1_b32 vcc_lo, exec_lo, s22
	s_cbranch_vccnz .LBB31_746
; %bb.745:
	v_cvt_f16_f32_e32 v0, v1
	global_store_b16 v[3:4], v0, off
.LBB31_746:
	s_mov_b32 s22, 0
.LBB31_747:
	s_delay_alu instid0(SALU_CYCLE_1)
	s_and_not1_b32 vcc_lo, exec_lo, s22
	s_cbranch_vccnz .LBB31_763
; %bb.748:
	v_cmp_gt_i16_e32 vcc_lo, 2, v8
	s_mov_b32 s22, -1
	s_cbranch_vccnz .LBB31_758
; %bb.749:
	v_cmp_gt_i16_e32 vcc_lo, 3, v8
	s_cbranch_vccnz .LBB31_755
; %bb.750:
	v_cmp_lt_i16_e32 vcc_lo, 3, v8
	s_cbranch_vccz .LBB31_752
; %bb.751:
	v_trunc_f32_e32 v0, v1
	s_mov_b32 s22, 0
	s_delay_alu instid0(VALU_DEP_1) | instskip(NEXT) | instid1(VALU_DEP_1)
	v_mul_f32_e64 v2, 0x2f800000, |v0|
	v_floor_f32_e32 v2, v2
	s_delay_alu instid0(VALU_DEP_1) | instskip(SKIP_2) | instid1(VALU_DEP_3)
	v_fma_f32 v9, 0xcf800000, v2, |v0|
	v_ashrrev_i32_e32 v0, 31, v0
	v_cvt_u32_f32_e32 v2, v2
	v_cvt_u32_f32_e32 v9, v9
	s_delay_alu instid0(VALU_DEP_2) | instskip(NEXT) | instid1(VALU_DEP_2)
	v_xor_b32_e32 v2, v2, v0
	v_xor_b32_e32 v9, v9, v0
	s_delay_alu instid0(VALU_DEP_1) | instskip(NEXT) | instid1(VALU_DEP_3)
	v_sub_co_u32 v9, vcc_lo, v9, v0
	v_sub_co_ci_u32_e32 v10, vcc_lo, v2, v0, vcc_lo
	global_store_b64 v[3:4], v[9:10], off
.LBB31_752:
	s_and_not1_b32 vcc_lo, exec_lo, s22
	s_cbranch_vccnz .LBB31_754
; %bb.753:
	v_cvt_i32_f32_e32 v0, v1
	global_store_b32 v[3:4], v0, off
.LBB31_754:
	s_mov_b32 s22, 0
.LBB31_755:
	s_delay_alu instid0(SALU_CYCLE_1)
	s_and_not1_b32 vcc_lo, exec_lo, s22
	s_cbranch_vccnz .LBB31_757
; %bb.756:
	v_cvt_i32_f32_e32 v0, v1
	global_store_b16 v[3:4], v0, off
.LBB31_757:
	s_mov_b32 s22, 0
.LBB31_758:
	s_delay_alu instid0(SALU_CYCLE_1)
	s_and_not1_b32 vcc_lo, exec_lo, s22
	s_cbranch_vccnz .LBB31_763
; %bb.759:
	v_cmp_lt_i16_e32 vcc_lo, 0, v8
	s_mov_b32 s22, -1
	s_cbranch_vccz .LBB31_761
; %bb.760:
	v_cvt_i32_f32_e32 v0, v1
	s_mov_b32 s22, 0
	global_store_b8 v[3:4], v0, off
.LBB31_761:
	s_and_not1_b32 vcc_lo, exec_lo, s22
	s_cbranch_vccnz .LBB31_763
; %bb.762:
	v_trunc_f32_e32 v0, v1
	s_delay_alu instid0(VALU_DEP_1) | instskip(NEXT) | instid1(VALU_DEP_1)
	v_mul_f32_e64 v1, 0x2f800000, |v0|
	v_floor_f32_e32 v1, v1
	s_delay_alu instid0(VALU_DEP_1) | instskip(SKIP_1) | instid1(VALU_DEP_2)
	v_fma_f32 v1, 0xcf800000, v1, |v0|
	v_ashrrev_i32_e32 v0, 31, v0
	v_cvt_u32_f32_e32 v1, v1
	s_delay_alu instid0(VALU_DEP_1) | instskip(NEXT) | instid1(VALU_DEP_1)
	v_xor_b32_e32 v1, v1, v0
	v_sub_nc_u32_e32 v0, v1, v0
	global_store_b8 v[3:4], v0, off
.LBB31_763:
	s_branch .LBB31_840
.LBB31_764:
	s_mov_b32 s22, 0
.LBB31_765:
                                        ; implicit-def: $vgpr7
	s_branch .LBB31_841
.LBB31_766:
	s_mov_b32 s2, s40
	s_branch .LBB31_797
.LBB31_767:
	s_mov_b32 s2, s40
	s_branch .LBB31_780
.LBB31_768:
	s_mov_b32 s2, s40
	s_branch .LBB31_776
.LBB31_769:
	s_mov_b32 s2, s40
.LBB31_770:
	s_and_b32 vcc_lo, exec_lo, s23
	s_cbranch_vccz .LBB31_775
; %bb.771:
	v_cmp_eq_u16_e32 vcc_lo, 44, v8
	s_mov_b32 s2, -1
	s_cbranch_vccz .LBB31_775
; %bb.772:
	v_bfe_u32 v2, v1, 23, 8
	v_mov_b32_e32 v0, 0xff
	s_mov_b32 s22, exec_lo
	s_delay_alu instid0(VALU_DEP_2)
	v_cmpx_ne_u32_e32 0xff, v2
; %bb.773:
	v_and_b32_e32 v0, 0x400000, v1
	v_and_or_b32 v2, 0x3fffff, v1, v2
	s_delay_alu instid0(VALU_DEP_2) | instskip(NEXT) | instid1(VALU_DEP_2)
	v_cmp_ne_u32_e32 vcc_lo, 0, v0
	v_cmp_ne_u32_e64 s2, 0, v2
	v_lshrrev_b32_e32 v0, 23, v1
	s_delay_alu instid0(VALU_DEP_2) | instskip(NEXT) | instid1(SALU_CYCLE_1)
	s_and_b32 s2, vcc_lo, s2
	v_cndmask_b32_e64 v2, 0, 1, s2
	s_delay_alu instid0(VALU_DEP_1)
	v_add_nc_u32_e32 v0, v0, v2
; %bb.774:
	s_or_b32 exec_lo, exec_lo, s22
	s_mov_b32 s22, -1
	s_mov_b32 s2, 0
	global_store_b8 v[3:4], v0, off
.LBB31_775:
	s_mov_b32 s23, 0
.LBB31_776:
	s_delay_alu instid0(SALU_CYCLE_1)
	s_and_b32 vcc_lo, exec_lo, s23
	s_cbranch_vccz .LBB31_779
; %bb.777:
	v_cmp_eq_u16_e32 vcc_lo, 29, v8
	s_mov_b32 s2, -1
	s_cbranch_vccz .LBB31_779
; %bb.778:
	v_trunc_f32_e32 v0, v1
	s_mov_b32 s22, -1
	s_mov_b32 s2, 0
	s_mov_b32 s23, 0
	s_delay_alu instid0(VALU_DEP_1) | instskip(NEXT) | instid1(VALU_DEP_1)
	v_mul_f32_e32 v2, 0x2f800000, v0
	v_floor_f32_e32 v2, v2
	s_delay_alu instid0(VALU_DEP_1) | instskip(SKIP_1) | instid1(VALU_DEP_2)
	v_fmamk_f32 v0, v2, 0xcf800000, v0
	v_cvt_u32_f32_e32 v10, v2
	v_cvt_u32_f32_e32 v9, v0
	global_store_b64 v[3:4], v[9:10], off
	s_branch .LBB31_780
.LBB31_779:
	s_mov_b32 s23, 0
.LBB31_780:
	s_delay_alu instid0(SALU_CYCLE_1)
	s_and_b32 vcc_lo, exec_lo, s23
	s_cbranch_vccz .LBB31_796
; %bb.781:
	v_cmp_gt_i16_e32 vcc_lo, 27, v8
	s_mov_b32 s22, -1
	s_cbranch_vccnz .LBB31_787
; %bb.782:
	v_cmp_lt_i16_e32 vcc_lo, 27, v8
	s_cbranch_vccz .LBB31_784
; %bb.783:
	v_cvt_u32_f32_e32 v0, v1
	s_mov_b32 s22, 0
	global_store_b32 v[3:4], v0, off
.LBB31_784:
	s_and_not1_b32 vcc_lo, exec_lo, s22
	s_cbranch_vccnz .LBB31_786
; %bb.785:
	v_cvt_u32_f32_e32 v0, v1
	global_store_b16 v[3:4], v0, off
.LBB31_786:
	s_mov_b32 s22, 0
.LBB31_787:
	s_delay_alu instid0(SALU_CYCLE_1)
	s_and_not1_b32 vcc_lo, exec_lo, s22
	s_cbranch_vccnz .LBB31_795
; %bb.788:
	v_and_b32_e32 v0, 0x7fffffff, v1
	v_mov_b32_e32 v2, 0x80
	s_mov_b32 s22, exec_lo
	s_delay_alu instid0(VALU_DEP_2)
	v_cmpx_gt_u32_e32 0x43800000, v0
	s_cbranch_execz .LBB31_794
; %bb.789:
	v_cmp_lt_u32_e32 vcc_lo, 0x3bffffff, v0
	s_mov_b32 s23, 0
                                        ; implicit-def: $vgpr0
	s_and_saveexec_b32 s25, vcc_lo
	s_delay_alu instid0(SALU_CYCLE_1)
	s_xor_b32 s25, exec_lo, s25
	s_cbranch_execz .LBB31_868
; %bb.790:
	v_bfe_u32 v0, v1, 20, 1
	s_mov_b32 s23, exec_lo
	s_delay_alu instid0(VALU_DEP_1) | instskip(NEXT) | instid1(VALU_DEP_1)
	v_add3_u32 v0, v1, v0, 0x487ffff
	v_lshrrev_b32_e32 v0, 20, v0
	s_or_saveexec_b32 s25, s25
                                        ; implicit-def: $sgpr43
	s_delay_alu instid0(SALU_CYCLE_1)
	s_xor_b32 exec_lo, exec_lo, s25
	s_cbranch_execnz .LBB31_869
.LBB31_791:
	s_or_b32 exec_lo, exec_lo, s25
	v_mov_b32_e32 v2, s43
	s_and_saveexec_b32 s25, s23
.LBB31_792:
	v_lshrrev_b32_e32 v2, 24, v1
	s_delay_alu instid0(VALU_DEP_1)
	v_and_or_b32 v2, 0x80, v2, v0
.LBB31_793:
	s_or_b32 exec_lo, exec_lo, s25
.LBB31_794:
	s_delay_alu instid0(SALU_CYCLE_1)
	s_or_b32 exec_lo, exec_lo, s22
	global_store_b8 v[3:4], v2, off
.LBB31_795:
	s_mov_b32 s22, -1
.LBB31_796:
	s_mov_b32 s23, 0
.LBB31_797:
	s_delay_alu instid0(SALU_CYCLE_1)
	s_and_b32 vcc_lo, exec_lo, s23
	s_cbranch_vccz .LBB31_838
; %bb.798:
	v_cmp_lt_i16_e32 vcc_lo, 22, v8
	s_mov_b32 s23, -1
	s_cbranch_vccz .LBB31_830
; %bb.799:
	v_cmp_gt_i16_e32 vcc_lo, 24, v8
	s_mov_b32 s22, -1
	s_cbranch_vccnz .LBB31_819
; %bb.800:
	v_cmp_lt_i16_e32 vcc_lo, 24, v8
	s_cbranch_vccz .LBB31_808
; %bb.801:
	v_and_b32_e32 v0, 0x7fffffff, v1
	v_mov_b32_e32 v2, 0x80
	s_mov_b32 s22, exec_lo
	s_delay_alu instid0(VALU_DEP_2)
	v_cmpx_gt_u32_e32 0x47800000, v0
	s_cbranch_execz .LBB31_807
; %bb.802:
	v_cmp_lt_u32_e32 vcc_lo, 0x37ffffff, v0
	s_mov_b32 s23, 0
                                        ; implicit-def: $vgpr0
	s_and_saveexec_b32 s25, vcc_lo
	s_delay_alu instid0(SALU_CYCLE_1)
	s_xor_b32 s25, exec_lo, s25
	s_cbranch_execz .LBB31_871
; %bb.803:
	v_bfe_u32 v0, v1, 21, 1
	s_mov_b32 s23, exec_lo
	s_delay_alu instid0(VALU_DEP_1) | instskip(NEXT) | instid1(VALU_DEP_1)
	v_add3_u32 v0, v1, v0, 0x88fffff
	v_lshrrev_b32_e32 v0, 21, v0
	s_or_saveexec_b32 s25, s25
                                        ; implicit-def: $sgpr43
	s_delay_alu instid0(SALU_CYCLE_1)
	s_xor_b32 exec_lo, exec_lo, s25
	s_cbranch_execnz .LBB31_872
.LBB31_804:
	s_or_b32 exec_lo, exec_lo, s25
	v_mov_b32_e32 v2, s43
	s_and_saveexec_b32 s25, s23
.LBB31_805:
	v_lshrrev_b32_e32 v2, 24, v1
	s_delay_alu instid0(VALU_DEP_1)
	v_and_or_b32 v2, 0x80, v2, v0
.LBB31_806:
	s_or_b32 exec_lo, exec_lo, s25
.LBB31_807:
	s_delay_alu instid0(SALU_CYCLE_1)
	s_or_b32 exec_lo, exec_lo, s22
	s_mov_b32 s22, 0
	global_store_b8 v[3:4], v2, off
.LBB31_808:
	s_and_b32 vcc_lo, exec_lo, s22
	s_cbranch_vccz .LBB31_818
; %bb.809:
	v_and_b32_e32 v2, 0x7fffffff, v1
	s_mov_b32 s22, exec_lo
                                        ; implicit-def: $vgpr0
	s_delay_alu instid0(VALU_DEP_1)
	v_cmpx_gt_u32_e32 0x43f00000, v2
	s_xor_b32 s22, exec_lo, s22
	s_cbranch_execz .LBB31_815
; %bb.810:
	s_mov_b32 s23, exec_lo
                                        ; implicit-def: $vgpr0
	v_cmpx_lt_u32_e32 0x3c7fffff, v2
	s_xor_b32 s23, exec_lo, s23
; %bb.811:
	v_bfe_u32 v0, v1, 20, 1
	s_delay_alu instid0(VALU_DEP_1) | instskip(NEXT) | instid1(VALU_DEP_1)
	v_add3_u32 v0, v1, v0, 0x407ffff
	v_and_b32_e32 v2, 0xff00000, v0
	v_lshrrev_b32_e32 v0, 20, v0
	s_delay_alu instid0(VALU_DEP_2) | instskip(NEXT) | instid1(VALU_DEP_2)
	v_cmp_ne_u32_e32 vcc_lo, 0x7f00000, v2
	v_cndmask_b32_e32 v0, 0x7e, v0, vcc_lo
; %bb.812:
	s_and_not1_saveexec_b32 s23, s23
; %bb.813:
	v_add_f32_e64 v0, 0x46800000, |v1|
; %bb.814:
	s_or_b32 exec_lo, exec_lo, s23
                                        ; implicit-def: $vgpr2
.LBB31_815:
	s_and_not1_saveexec_b32 s22, s22
; %bb.816:
	v_mov_b32_e32 v0, 0x7f
	v_cmp_lt_u32_e32 vcc_lo, 0x7f800000, v2
	s_delay_alu instid0(VALU_DEP_2)
	v_cndmask_b32_e32 v0, 0x7e, v0, vcc_lo
; %bb.817:
	s_or_b32 exec_lo, exec_lo, s22
	v_lshrrev_b32_e32 v2, 24, v1
	s_delay_alu instid0(VALU_DEP_1)
	v_and_or_b32 v0, 0x80, v2, v0
	global_store_b8 v[3:4], v0, off
.LBB31_818:
	s_mov_b32 s22, 0
.LBB31_819:
	s_delay_alu instid0(SALU_CYCLE_1)
	s_and_not1_b32 vcc_lo, exec_lo, s22
	s_cbranch_vccnz .LBB31_829
; %bb.820:
	v_and_b32_e32 v2, 0x7fffffff, v1
	s_mov_b32 s22, exec_lo
                                        ; implicit-def: $vgpr0
	s_delay_alu instid0(VALU_DEP_1)
	v_cmpx_gt_u32_e32 0x47800000, v2
	s_xor_b32 s22, exec_lo, s22
	s_cbranch_execz .LBB31_826
; %bb.821:
	s_mov_b32 s23, exec_lo
                                        ; implicit-def: $vgpr0
	v_cmpx_lt_u32_e32 0x387fffff, v2
	s_xor_b32 s23, exec_lo, s23
; %bb.822:
	v_bfe_u32 v0, v1, 21, 1
	s_delay_alu instid0(VALU_DEP_1) | instskip(NEXT) | instid1(VALU_DEP_1)
	v_add3_u32 v0, v1, v0, 0x80fffff
	v_lshrrev_b32_e32 v0, 21, v0
; %bb.823:
	s_and_not1_saveexec_b32 s23, s23
; %bb.824:
	v_add_f32_e64 v0, 0x43000000, |v1|
; %bb.825:
	s_or_b32 exec_lo, exec_lo, s23
                                        ; implicit-def: $vgpr2
.LBB31_826:
	s_and_not1_saveexec_b32 s22, s22
; %bb.827:
	v_mov_b32_e32 v0, 0x7f
	v_cmp_lt_u32_e32 vcc_lo, 0x7f800000, v2
	s_delay_alu instid0(VALU_DEP_2)
	v_cndmask_b32_e32 v0, 0x7c, v0, vcc_lo
; %bb.828:
	s_or_b32 exec_lo, exec_lo, s22
	v_lshrrev_b32_e32 v2, 24, v1
	s_delay_alu instid0(VALU_DEP_1)
	v_and_or_b32 v0, 0x80, v2, v0
	global_store_b8 v[3:4], v0, off
.LBB31_829:
	s_mov_b32 s23, 0
	s_mov_b32 s22, -1
.LBB31_830:
	s_and_not1_b32 vcc_lo, exec_lo, s23
	s_cbranch_vccnz .LBB31_838
; %bb.831:
	v_cmp_lt_i16_e32 vcc_lo, 14, v8
	s_mov_b32 s23, -1
	s_cbranch_vccz .LBB31_835
; %bb.832:
	v_cmp_eq_u16_e32 vcc_lo, 15, v8
	s_mov_b32 s2, -1
	s_cbranch_vccz .LBB31_834
; %bb.833:
	v_bfe_u32 v0, v1, 16, 1
	v_cmp_o_f32_e32 vcc_lo, v1, v1
	s_mov_b32 s22, -1
	s_mov_b32 s2, 0
	s_delay_alu instid0(VALU_DEP_2) | instskip(NEXT) | instid1(VALU_DEP_1)
	v_add3_u32 v0, v1, v0, 0x7fff
	v_lshrrev_b32_e32 v0, 16, v0
	s_delay_alu instid0(VALU_DEP_1)
	v_cndmask_b32_e32 v0, 0x7fc0, v0, vcc_lo
	global_store_b16 v[3:4], v0, off
.LBB31_834:
	s_mov_b32 s23, 0
.LBB31_835:
	s_delay_alu instid0(SALU_CYCLE_1)
	s_and_b32 vcc_lo, exec_lo, s23
	s_cbranch_vccz .LBB31_838
; %bb.836:
	v_cmp_eq_u16_e32 vcc_lo, 11, v8
	s_mov_b32 s2, -1
	s_cbranch_vccz .LBB31_838
; %bb.837:
	v_cmp_neq_f32_e32 vcc_lo, 0, v1
	s_mov_b32 s2, 0
	s_mov_b32 s22, -1
	v_cndmask_b32_e64 v0, 0, 1, vcc_lo
	global_store_b8 v[3:4], v0, off
.LBB31_838:
.LBB31_839:
	s_and_not1_b32 vcc_lo, exec_lo, s22
	s_cbranch_vccnz .LBB31_764
.LBB31_840:
	v_add_nc_u32_e32 v7, 0x80, v7
	s_mov_b32 s22, -1
.LBB31_841:
	s_and_not1_b32 s23, s40, exec_lo
	s_and_b32 s2, s2, exec_lo
	s_and_not1_b32 s25, s39, exec_lo
	s_and_b32 s43, s24, exec_lo
	s_or_b32 s24, s23, s2
	s_or_b32 s2, s25, s43
	s_or_not1_b32 s43, s22, exec_lo
.LBB31_842:
	s_or_b32 exec_lo, exec_lo, s42
	s_mov_b32 s23, 0
	s_mov_b32 s22, 0
	;; [unrolled: 1-line block ×3, first 2 shown]
                                        ; implicit-def: $vgpr1_vgpr2
                                        ; implicit-def: $vgpr0
                                        ; implicit-def: $vgpr8
	s_and_saveexec_b32 s25, s43
	s_cbranch_execz .LBB31_940
; %bb.843:
	v_cmp_gt_i32_e32 vcc_lo, s33, v7
	s_mov_b32 s43, s2
                                        ; implicit-def: $vgpr1_vgpr2
                                        ; implicit-def: $vgpr0
                                        ; implicit-def: $vgpr8
	s_and_saveexec_b32 s33, vcc_lo
	s_cbranch_execz .LBB31_939
; %bb.844:
	s_and_not1_b32 vcc_lo, exec_lo, s29
	s_cbranch_vccnz .LBB31_849
; %bb.845:
	v_dual_mov_b32 v0, 0 :: v_dual_mov_b32 v1, 0
	s_and_not1_b32 vcc_lo, exec_lo, s35
	s_mov_b32 s35, 0
	s_cbranch_vccnz .LBB31_854
; %bb.846:
	v_mov_b32_e32 v0, 0
	s_add_i32 s42, s34, 1
	s_cmp_eq_u32 s27, 2
	s_mov_b32 s34, 0
	s_cbranch_scc1 .LBB31_850
; %bb.847:
	v_dual_mov_b32 v1, 0 :: v_dual_mov_b32 v0, 0
	v_mov_b32_e32 v2, v7
	s_and_b32 s34, s42, 28
	s_mov_b32 s43, 0
	s_mov_b64 s[22:23], s[16:17]
.LBB31_848:                             ; =>This Inner Loop Header: Depth=1
	s_clause 0x1
	s_load_b256 s[44:51], s[22:23], 0x4
	s_load_b128 s[60:63], s[22:23], 0x24
	s_load_b256 s[52:59], s[20:21], 0x0
	s_add_u32 s22, s22, 48
	s_addc_u32 s23, s23, 0
	s_add_i32 s43, s43, 4
	s_add_u32 s20, s20, 32
	s_addc_u32 s21, s21, 0
	s_cmp_eq_u32 s34, s43
	s_waitcnt vmcnt(0) lgkmcnt(0)
	v_mul_hi_u32 v3, s45, v2
	s_delay_alu instid0(VALU_DEP_1) | instskip(NEXT) | instid1(VALU_DEP_1)
	v_add_nc_u32_e32 v3, v2, v3
	v_lshrrev_b32_e32 v3, s46, v3
	s_delay_alu instid0(VALU_DEP_1) | instskip(SKIP_1) | instid1(VALU_DEP_2)
	v_mul_hi_u32 v4, s48, v3
	v_mul_lo_u32 v9, v3, s44
	v_add_nc_u32_e32 v4, v3, v4
	s_delay_alu instid0(VALU_DEP_2) | instskip(NEXT) | instid1(VALU_DEP_2)
	v_sub_nc_u32_e32 v2, v2, v9
	v_lshrrev_b32_e32 v4, s49, v4
	s_delay_alu instid0(VALU_DEP_2) | instskip(SKIP_1) | instid1(VALU_DEP_3)
	v_mul_lo_u32 v9, v2, s52
	v_mul_lo_u32 v11, v2, s53
	v_mul_hi_u32 v8, s51, v4
	s_delay_alu instid0(VALU_DEP_1) | instskip(NEXT) | instid1(VALU_DEP_1)
	v_add_nc_u32_e32 v8, v4, v8
	v_lshrrev_b32_e32 v8, s60, v8
	s_delay_alu instid0(VALU_DEP_1) | instskip(SKIP_1) | instid1(VALU_DEP_2)
	v_mul_hi_u32 v10, s62, v8
	v_mul_lo_u32 v12, v8, s50
	v_add_nc_u32_e32 v2, v8, v10
	v_mul_lo_u32 v10, v4, s47
	s_delay_alu instid0(VALU_DEP_3) | instskip(NEXT) | instid1(VALU_DEP_3)
	v_sub_nc_u32_e32 v4, v4, v12
	v_lshrrev_b32_e32 v2, s63, v2
	s_delay_alu instid0(VALU_DEP_2) | instskip(SKIP_2) | instid1(VALU_DEP_4)
	v_mul_lo_u32 v12, v4, s56
	v_mul_lo_u32 v4, v4, s57
	v_sub_nc_u32_e32 v3, v3, v10
	v_mul_lo_u32 v13, v2, s61
	s_delay_alu instid0(VALU_DEP_2) | instskip(SKIP_1) | instid1(VALU_DEP_3)
	v_mul_lo_u32 v10, v3, s54
	v_mul_lo_u32 v3, v3, s55
	v_sub_nc_u32_e32 v8, v8, v13
	s_delay_alu instid0(VALU_DEP_3) | instskip(NEXT) | instid1(VALU_DEP_2)
	v_add3_u32 v0, v9, v0, v10
	v_mul_lo_u32 v13, v8, s58
	v_mul_lo_u32 v8, v8, s59
	v_add3_u32 v1, v11, v1, v3
	s_delay_alu instid0(VALU_DEP_3) | instskip(NEXT) | instid1(VALU_DEP_2)
	v_add3_u32 v0, v12, v0, v13
	v_add3_u32 v1, v4, v1, v8
	s_cbranch_scc0 .LBB31_848
	s_branch .LBB31_851
.LBB31_849:
	s_mov_b32 s35, -1
                                        ; implicit-def: $vgpr0
                                        ; implicit-def: $vgpr1
	s_branch .LBB31_854
.LBB31_850:
	v_dual_mov_b32 v2, v7 :: v_dual_mov_b32 v1, 0
.LBB31_851:
	s_and_b32 s42, s42, 3
	s_delay_alu instid0(SALU_CYCLE_1)
	s_cmp_eq_u32 s42, 0
	s_cbranch_scc1 .LBB31_854
; %bb.852:
	s_lshl_b32 s20, s34, 3
	s_mul_i32 s22, s34, 12
	s_add_u32 s20, s20, s16
	s_addc_u32 s21, s17, 0
	s_add_u32 s20, s20, 0xc4
	s_addc_u32 s21, s21, 0
	;; [unrolled: 2-line block ×3, first 2 shown]
.LBB31_853:                             ; =>This Inner Loop Header: Depth=1
	s_clause 0x1
	s_load_b64 s[44:45], s[22:23], 0x4
	s_load_b32 s34, s[22:23], 0xc
	s_load_b64 s[46:47], s[20:21], 0x0
	s_add_u32 s22, s22, 12
	s_addc_u32 s23, s23, 0
	s_add_u32 s20, s20, 8
	s_addc_u32 s21, s21, 0
	s_add_i32 s42, s42, -1
	s_delay_alu instid0(SALU_CYCLE_1) | instskip(SKIP_2) | instid1(VALU_DEP_1)
	s_cmp_lg_u32 s42, 0
	s_waitcnt vmcnt(0) lgkmcnt(0)
	v_mul_hi_u32 v3, s45, v2
	v_add_nc_u32_e32 v3, v2, v3
	s_delay_alu instid0(VALU_DEP_1) | instskip(NEXT) | instid1(VALU_DEP_1)
	v_lshrrev_b32_e32 v10, s34, v3
	v_mul_lo_u32 v3, v10, s44
	s_delay_alu instid0(VALU_DEP_1) | instskip(NEXT) | instid1(VALU_DEP_1)
	v_sub_nc_u32_e32 v2, v2, v3
	v_mad_u64_u32 v[3:4], null, v2, s46, v[0:1]
	v_mad_u64_u32 v[8:9], null, v2, s47, v[1:2]
	v_mov_b32_e32 v2, v10
	s_delay_alu instid0(VALU_DEP_2)
	v_dual_mov_b32 v0, v3 :: v_dual_mov_b32 v1, v8
	s_cbranch_scc1 .LBB31_853
.LBB31_854:
	s_and_not1_b32 vcc_lo, exec_lo, s35
	s_cbranch_vccnz .LBB31_857
; %bb.855:
	v_mul_hi_u32 v0, s13, v7
	s_and_not1_b32 vcc_lo, exec_lo, s31
	s_delay_alu instid0(VALU_DEP_1) | instskip(NEXT) | instid1(VALU_DEP_1)
	v_add_nc_u32_e32 v0, v7, v0
	v_lshrrev_b32_e32 v2, s14, v0
	s_delay_alu instid0(VALU_DEP_1) | instskip(NEXT) | instid1(VALU_DEP_1)
	v_mul_lo_u32 v0, v2, s12
	v_sub_nc_u32_e32 v1, v7, v0
	s_delay_alu instid0(VALU_DEP_1)
	v_mul_lo_u32 v0, v1, s8
	v_mul_lo_u32 v1, v1, s9
	s_cbranch_vccnz .LBB31_857
; %bb.856:
	s_waitcnt vmcnt(0)
	v_mul_hi_u32 v3, s18, v2
	s_delay_alu instid0(VALU_DEP_1) | instskip(NEXT) | instid1(VALU_DEP_1)
	v_add_nc_u32_e32 v3, v2, v3
	v_lshrrev_b32_e32 v3, s19, v3
	s_delay_alu instid0(VALU_DEP_1) | instskip(NEXT) | instid1(VALU_DEP_1)
	v_mul_lo_u32 v3, v3, s15
	v_sub_nc_u32_e32 v7, v2, v3
	s_delay_alu instid0(VALU_DEP_1) | instskip(NEXT) | instid1(VALU_DEP_1)
	v_mad_u64_u32 v[2:3], null, v7, s10, v[0:1]
	v_mad_u64_u32 v[3:4], null, v7, s11, v[1:2]
	s_delay_alu instid0(VALU_DEP_1)
	v_dual_mov_b32 v0, v2 :: v_dual_mov_b32 v1, v3
.LBB31_857:
	v_cmp_gt_i16_e32 vcc_lo, 11, v6
	s_delay_alu instid0(VALU_DEP_2) | instskip(NEXT) | instid1(VALU_DEP_1)
	v_add_co_u32 v1, s6, s6, v1
	v_add_co_ci_u32_e64 v2, null, s7, 0, s6
	s_mov_b32 s8, 0
	s_cbranch_vccnz .LBB31_864
; %bb.858:
	v_cmp_lt_i16_e32 vcc_lo, 25, v6
	s_mov_b32 s7, 0
	s_cbranch_vccz .LBB31_865
; %bb.859:
	v_cmp_lt_i16_e32 vcc_lo, 28, v6
	s_cbranch_vccz .LBB31_866
; %bb.860:
	v_cmp_lt_i16_e32 vcc_lo, 43, v6
	;; [unrolled: 3-line block ×3, first 2 shown]
	s_cbranch_vccz .LBB31_870
; %bb.862:
	v_cmp_eq_u16_e32 vcc_lo, 46, v6
	s_mov_b32 s9, 0
	s_cbranch_vccz .LBB31_873
; %bb.863:
	global_load_b32 v3, v[1:2], off
	s_mov_b32 s6, 0
	s_mov_b32 s8, -1
	s_waitcnt vmcnt(0)
	v_lshlrev_b32_e32 v8, 16, v3
	s_branch .LBB31_875
.LBB31_864:
	s_mov_b32 s9, -1
	s_mov_b32 s7, 0
	s_mov_b32 s6, s2
                                        ; implicit-def: $vgpr8
	s_branch .LBB31_938
.LBB31_865:
	s_mov_b32 s9, -1
	s_mov_b32 s6, s2
                                        ; implicit-def: $vgpr8
	s_branch .LBB31_904
.LBB31_866:
	s_mov_b32 s9, -1
	s_mov_b32 s6, s2
                                        ; implicit-def: $vgpr8
	s_branch .LBB31_885
.LBB31_867:
	s_mov_b32 s9, -1
	s_mov_b32 s6, s2
                                        ; implicit-def: $vgpr8
	s_branch .LBB31_880
.LBB31_868:
	s_or_saveexec_b32 s25, s25
                                        ; implicit-def: $sgpr43
	s_delay_alu instid0(SALU_CYCLE_1)
	s_xor_b32 exec_lo, exec_lo, s25
	s_cbranch_execz .LBB31_791
.LBB31_869:
	v_add_f32_e64 v0, 0x46000000, |v1|
	s_and_not1_b32 s23, s23, exec_lo
	s_mov_b32 s43, 0
	s_delay_alu instid0(VALU_DEP_1) | instskip(NEXT) | instid1(VALU_DEP_1)
	v_and_b32_e32 v0, 0xff, v0
	v_cmp_ne_u32_e32 vcc_lo, 0, v0
	s_and_b32 s44, vcc_lo, exec_lo
	s_delay_alu instid0(SALU_CYCLE_1)
	s_or_b32 s23, s23, s44
	s_or_b32 exec_lo, exec_lo, s25
	v_mov_b32_e32 v2, s43
	s_and_saveexec_b32 s25, s23
	s_cbranch_execnz .LBB31_792
	s_branch .LBB31_793
.LBB31_870:
	s_mov_b32 s9, -1
	s_mov_b32 s6, s2
	s_branch .LBB31_874
.LBB31_871:
	s_or_saveexec_b32 s25, s25
                                        ; implicit-def: $sgpr43
	s_delay_alu instid0(SALU_CYCLE_1)
	s_xor_b32 exec_lo, exec_lo, s25
	s_cbranch_execz .LBB31_804
.LBB31_872:
	v_add_f32_e64 v0, 0x42800000, |v1|
	s_and_not1_b32 s23, s23, exec_lo
	s_mov_b32 s43, 0
	s_delay_alu instid0(VALU_DEP_1) | instskip(NEXT) | instid1(VALU_DEP_1)
	v_and_b32_e32 v0, 0xff, v0
	v_cmp_ne_u32_e32 vcc_lo, 0, v0
	s_and_b32 s44, vcc_lo, exec_lo
	s_delay_alu instid0(SALU_CYCLE_1)
	s_or_b32 s23, s23, s44
	s_or_b32 exec_lo, exec_lo, s25
	v_mov_b32_e32 v2, s43
	s_and_saveexec_b32 s25, s23
	s_cbranch_execnz .LBB31_805
	s_branch .LBB31_806
.LBB31_873:
	s_mov_b32 s6, -1
.LBB31_874:
                                        ; implicit-def: $vgpr8
.LBB31_875:
	s_and_b32 vcc_lo, exec_lo, s9
	s_cbranch_vccz .LBB31_879
; %bb.876:
	v_cmp_eq_u16_e32 vcc_lo, 44, v6
	s_cbranch_vccz .LBB31_878
; %bb.877:
	global_load_u8 v3, v[1:2], off
	s_mov_b32 s6, 0
	s_mov_b32 s8, -1
	s_waitcnt vmcnt(0)
	v_lshlrev_b32_e32 v4, 23, v3
	v_cmp_ne_u32_e32 vcc_lo, 0xff, v3
	s_delay_alu instid0(VALU_DEP_2) | instskip(SKIP_1) | instid1(VALU_DEP_2)
	v_cndmask_b32_e32 v4, 0x7f800001, v4, vcc_lo
	v_cmp_ne_u32_e32 vcc_lo, 0, v3
	v_cndmask_b32_e32 v8, 0x400000, v4, vcc_lo
	s_branch .LBB31_879
.LBB31_878:
	s_mov_b32 s6, -1
                                        ; implicit-def: $vgpr8
.LBB31_879:
	s_mov_b32 s9, 0
.LBB31_880:
	s_delay_alu instid0(SALU_CYCLE_1)
	s_and_b32 vcc_lo, exec_lo, s9
	s_cbranch_vccz .LBB31_884
; %bb.881:
	v_cmp_eq_u16_e32 vcc_lo, 29, v6
	s_cbranch_vccz .LBB31_883
; %bb.882:
	global_load_b64 v[3:4], v[1:2], off
	s_mov_b32 s6, 0
	s_mov_b32 s8, -1
	s_mov_b32 s9, 0
	s_waitcnt vmcnt(0)
	v_clz_i32_u32_e32 v7, v4
	s_delay_alu instid0(VALU_DEP_1) | instskip(NEXT) | instid1(VALU_DEP_1)
	v_min_u32_e32 v7, 32, v7
	v_lshlrev_b64 v[3:4], v7, v[3:4]
	s_delay_alu instid0(VALU_DEP_1) | instskip(NEXT) | instid1(VALU_DEP_1)
	v_min_u32_e32 v3, 1, v3
	v_or_b32_e32 v3, v4, v3
	v_sub_nc_u32_e32 v4, 32, v7
	s_delay_alu instid0(VALU_DEP_2) | instskip(NEXT) | instid1(VALU_DEP_1)
	v_cvt_f32_u32_e32 v3, v3
	v_ldexp_f32 v8, v3, v4
	s_branch .LBB31_885
.LBB31_883:
	s_mov_b32 s6, -1
                                        ; implicit-def: $vgpr8
.LBB31_884:
	s_mov_b32 s9, 0
.LBB31_885:
	s_delay_alu instid0(SALU_CYCLE_1)
	s_and_b32 vcc_lo, exec_lo, s9
	s_cbranch_vccz .LBB31_903
; %bb.886:
	v_cmp_gt_i16_e32 vcc_lo, 27, v6
	s_cbranch_vccnz .LBB31_889
; %bb.887:
	v_cmp_lt_i16_e32 vcc_lo, 27, v6
	s_cbranch_vccz .LBB31_890
; %bb.888:
	global_load_b32 v3, v[1:2], off
	s_mov_b32 s8, 0
	s_waitcnt vmcnt(0)
	v_cvt_f32_u32_e32 v8, v3
	s_branch .LBB31_891
.LBB31_889:
	s_mov_b32 s8, -1
                                        ; implicit-def: $vgpr8
	s_branch .LBB31_894
.LBB31_890:
	s_mov_b32 s8, -1
                                        ; implicit-def: $vgpr8
.LBB31_891:
	s_delay_alu instid0(SALU_CYCLE_1)
	s_and_not1_b32 vcc_lo, exec_lo, s8
	s_cbranch_vccnz .LBB31_893
; %bb.892:
	global_load_u16 v3, v[1:2], off
	s_waitcnt vmcnt(0)
	v_cvt_f32_u32_e32 v8, v3
.LBB31_893:
	s_mov_b32 s8, 0
.LBB31_894:
	s_delay_alu instid0(SALU_CYCLE_1)
	s_and_not1_b32 vcc_lo, exec_lo, s8
	s_cbranch_vccnz .LBB31_902
; %bb.895:
	global_load_u8 v3, v[1:2], off
	s_mov_b32 s8, 0
	s_mov_b32 s10, exec_lo
                                        ; implicit-def: $sgpr9
	s_waitcnt vmcnt(0)
	v_cmpx_lt_i16_e32 0x7f, v3
	s_xor_b32 s10, exec_lo, s10
	s_cbranch_execz .LBB31_916
; %bb.896:
	s_mov_b32 s8, -1
	s_mov_b32 s11, exec_lo
                                        ; implicit-def: $sgpr9
	v_cmpx_eq_u16_e32 0x80, v3
; %bb.897:
	s_mov_b32 s9, 0x7f800001
	s_xor_b32 s8, exec_lo, -1
; %bb.898:
	s_or_b32 exec_lo, exec_lo, s11
	s_delay_alu instid0(SALU_CYCLE_1)
	s_and_b32 s8, s8, exec_lo
	s_or_saveexec_b32 s10, s10
	v_mov_b32_e32 v8, s9
	s_xor_b32 exec_lo, exec_lo, s10
	s_cbranch_execnz .LBB31_917
.LBB31_899:
	s_or_b32 exec_lo, exec_lo, s10
	s_and_saveexec_b32 s9, s8
	s_cbranch_execz .LBB31_901
.LBB31_900:
	v_and_b32_e32 v4, 0xffff, v3
	v_lshlrev_b32_e32 v3, 24, v3
	s_delay_alu instid0(VALU_DEP_2) | instskip(NEXT) | instid1(VALU_DEP_2)
	v_and_b32_e32 v7, 7, v4
	v_and_b32_e32 v3, 0x80000000, v3
	s_delay_alu instid0(VALU_DEP_2) | instskip(NEXT) | instid1(VALU_DEP_1)
	v_clz_i32_u32_e32 v8, v7
	v_min_u32_e32 v8, 32, v8
	s_delay_alu instid0(VALU_DEP_1) | instskip(SKIP_1) | instid1(VALU_DEP_2)
	v_subrev_nc_u32_e32 v9, 28, v8
	v_sub_nc_u32_e32 v8, 29, v8
	v_lshlrev_b32_e32 v9, v9, v4
	v_bfe_u32 v4, v4, 3, 4
	s_delay_alu instid0(VALU_DEP_1) | instskip(NEXT) | instid1(VALU_DEP_3)
	v_cmp_eq_u32_e32 vcc_lo, 0, v4
	v_dual_cndmask_b32 v4, v4, v8 :: v_dual_and_b32 v9, 7, v9
	s_delay_alu instid0(VALU_DEP_1) | instskip(NEXT) | instid1(VALU_DEP_2)
	v_cndmask_b32_e32 v7, v7, v9, vcc_lo
	v_lshl_add_u32 v4, v4, 23, 0x3b800000
	s_delay_alu instid0(VALU_DEP_2) | instskip(NEXT) | instid1(VALU_DEP_1)
	v_lshlrev_b32_e32 v7, 20, v7
	v_or3_b32 v8, v3, v4, v7
.LBB31_901:
	s_or_b32 exec_lo, exec_lo, s9
.LBB31_902:
	s_mov_b32 s8, -1
.LBB31_903:
	s_mov_b32 s9, 0
.LBB31_904:
	s_delay_alu instid0(SALU_CYCLE_1)
	s_and_b32 vcc_lo, exec_lo, s9
	s_cbranch_vccz .LBB31_937
; %bb.905:
	v_cmp_lt_i16_e32 vcc_lo, 22, v6
	s_cbranch_vccz .LBB31_915
; %bb.906:
	v_cmp_gt_i16_e32 vcc_lo, 24, v6
	s_cbranch_vccnz .LBB31_918
; %bb.907:
	v_cmp_lt_i16_e32 vcc_lo, 24, v6
	s_cbranch_vccz .LBB31_919
; %bb.908:
	global_load_u8 v3, v[1:2], off
	s_mov_b32 s9, exec_lo
                                        ; implicit-def: $sgpr8
	s_waitcnt vmcnt(0)
	v_cmpx_lt_i16_e32 0x7f, v3
	s_xor_b32 s9, exec_lo, s9
	s_cbranch_execz .LBB31_931
; %bb.909:
	s_mov_b32 s7, -1
	s_mov_b32 s10, exec_lo
                                        ; implicit-def: $sgpr8
	v_cmpx_eq_u16_e32 0x80, v3
; %bb.910:
	s_mov_b32 s8, 0x7f800001
	s_xor_b32 s7, exec_lo, -1
; %bb.911:
	s_or_b32 exec_lo, exec_lo, s10
	s_delay_alu instid0(SALU_CYCLE_1)
	s_and_b32 s7, s7, exec_lo
	s_or_saveexec_b32 s9, s9
	v_mov_b32_e32 v8, s8
	s_xor_b32 exec_lo, exec_lo, s9
	s_cbranch_execnz .LBB31_932
.LBB31_912:
	s_or_b32 exec_lo, exec_lo, s9
	s_and_saveexec_b32 s8, s7
	s_cbranch_execz .LBB31_914
.LBB31_913:
	v_and_b32_e32 v4, 0xffff, v3
	v_lshlrev_b32_e32 v3, 24, v3
	s_delay_alu instid0(VALU_DEP_2) | instskip(NEXT) | instid1(VALU_DEP_2)
	v_and_b32_e32 v7, 3, v4
	v_and_b32_e32 v3, 0x80000000, v3
	s_delay_alu instid0(VALU_DEP_2) | instskip(NEXT) | instid1(VALU_DEP_1)
	v_clz_i32_u32_e32 v8, v7
	v_min_u32_e32 v8, 32, v8
	s_delay_alu instid0(VALU_DEP_1) | instskip(SKIP_1) | instid1(VALU_DEP_2)
	v_subrev_nc_u32_e32 v9, 29, v8
	v_sub_nc_u32_e32 v8, 30, v8
	v_lshlrev_b32_e32 v9, v9, v4
	v_bfe_u32 v4, v4, 2, 5
	s_delay_alu instid0(VALU_DEP_1) | instskip(NEXT) | instid1(VALU_DEP_3)
	v_cmp_eq_u32_e32 vcc_lo, 0, v4
	v_dual_cndmask_b32 v4, v4, v8 :: v_dual_and_b32 v9, 3, v9
	s_delay_alu instid0(VALU_DEP_1) | instskip(NEXT) | instid1(VALU_DEP_2)
	v_cndmask_b32_e32 v7, v7, v9, vcc_lo
	v_lshl_add_u32 v4, v4, 23, 0x37800000
	s_delay_alu instid0(VALU_DEP_2) | instskip(NEXT) | instid1(VALU_DEP_1)
	v_lshlrev_b32_e32 v7, 21, v7
	v_or3_b32 v8, v3, v4, v7
.LBB31_914:
	s_or_b32 exec_lo, exec_lo, s8
	s_mov_b32 s7, 0
	s_branch .LBB31_920
.LBB31_915:
	s_mov_b32 s7, -1
                                        ; implicit-def: $vgpr8
	s_branch .LBB31_926
.LBB31_916:
	s_or_saveexec_b32 s10, s10
	v_mov_b32_e32 v8, s9
	s_xor_b32 exec_lo, exec_lo, s10
	s_cbranch_execz .LBB31_899
.LBB31_917:
	v_cmp_ne_u16_e32 vcc_lo, 0, v3
	v_mov_b32_e32 v8, 0
	s_and_not1_b32 s8, s8, exec_lo
	s_and_b32 s9, vcc_lo, exec_lo
	s_delay_alu instid0(SALU_CYCLE_1)
	s_or_b32 s8, s8, s9
	s_or_b32 exec_lo, exec_lo, s10
	s_and_saveexec_b32 s9, s8
	s_cbranch_execnz .LBB31_900
	s_branch .LBB31_901
.LBB31_918:
	s_mov_b32 s7, -1
                                        ; implicit-def: $vgpr8
	s_branch .LBB31_923
.LBB31_919:
	s_mov_b32 s7, -1
                                        ; implicit-def: $vgpr8
.LBB31_920:
	s_delay_alu instid0(SALU_CYCLE_1)
	s_and_b32 vcc_lo, exec_lo, s7
	s_cbranch_vccz .LBB31_922
; %bb.921:
	global_load_u8 v3, v[1:2], off
	s_waitcnt vmcnt(0)
	v_lshlrev_b32_e32 v3, 24, v3
	s_delay_alu instid0(VALU_DEP_1) | instskip(NEXT) | instid1(VALU_DEP_1)
	v_and_b32_e32 v4, 0x7f000000, v3
	v_clz_i32_u32_e32 v7, v4
	v_cmp_ne_u32_e32 vcc_lo, 0, v4
	v_add_nc_u32_e32 v9, 0x1000000, v4
	s_delay_alu instid0(VALU_DEP_3) | instskip(NEXT) | instid1(VALU_DEP_1)
	v_min_u32_e32 v7, 32, v7
	v_sub_nc_u32_e64 v7, v7, 4 clamp
	s_delay_alu instid0(VALU_DEP_1) | instskip(SKIP_1) | instid1(VALU_DEP_2)
	v_lshlrev_b32_e32 v8, v7, v4
	v_lshlrev_b32_e32 v7, 23, v7
	v_lshrrev_b32_e32 v8, 4, v8
	s_delay_alu instid0(VALU_DEP_1) | instskip(SKIP_1) | instid1(VALU_DEP_2)
	v_sub_nc_u32_e32 v7, v8, v7
	v_ashrrev_i32_e32 v8, 8, v9
	v_add_nc_u32_e32 v7, 0x3c000000, v7
	s_delay_alu instid0(VALU_DEP_1) | instskip(NEXT) | instid1(VALU_DEP_1)
	v_and_or_b32 v7, 0x7f800000, v8, v7
	v_cndmask_b32_e32 v4, 0, v7, vcc_lo
	s_delay_alu instid0(VALU_DEP_1)
	v_and_or_b32 v8, 0x80000000, v3, v4
.LBB31_922:
	s_mov_b32 s7, 0
.LBB31_923:
	s_delay_alu instid0(SALU_CYCLE_1)
	s_and_not1_b32 vcc_lo, exec_lo, s7
	s_cbranch_vccnz .LBB31_925
; %bb.924:
	global_load_u8 v3, v[1:2], off
	s_waitcnt vmcnt(0)
	v_lshlrev_b32_e32 v4, 25, v3
	v_lshlrev_b16 v3, 8, v3
	s_delay_alu instid0(VALU_DEP_2) | instskip(NEXT) | instid1(VALU_DEP_2)
	v_lshrrev_b32_e32 v7, 4, v4
	v_and_or_b32 v8, 0x7f00, v3, 0.5
	v_cmp_gt_u32_e32 vcc_lo, 0x8000000, v4
	v_bfe_i32 v3, v3, 0, 16
	s_delay_alu instid0(VALU_DEP_4) | instskip(NEXT) | instid1(VALU_DEP_1)
	v_or_b32_e32 v7, 0x70000000, v7
	v_dual_add_f32 v8, -0.5, v8 :: v_dual_mul_f32 v7, 0x7800000, v7
	s_delay_alu instid0(VALU_DEP_1) | instskip(NEXT) | instid1(VALU_DEP_1)
	v_cndmask_b32_e32 v4, v7, v8, vcc_lo
	v_and_or_b32 v8, 0x80000000, v3, v4
.LBB31_925:
	s_mov_b32 s7, 0
	s_mov_b32 s8, -1
.LBB31_926:
	s_and_not1_b32 vcc_lo, exec_lo, s7
	s_mov_b32 s7, 0
	s_cbranch_vccnz .LBB31_937
; %bb.927:
	v_cmp_lt_i16_e32 vcc_lo, 14, v6
	s_cbranch_vccz .LBB31_930
; %bb.928:
	v_cmp_eq_u16_e32 vcc_lo, 15, v6
	s_cbranch_vccz .LBB31_933
; %bb.929:
	global_load_u16 v3, v[1:2], off
	s_mov_b32 s6, 0
	s_mov_b32 s8, -1
	s_waitcnt vmcnt(0)
	v_lshlrev_b32_e32 v8, 16, v3
	s_branch .LBB31_935
.LBB31_930:
	s_mov_b32 s7, -1
	s_branch .LBB31_934
.LBB31_931:
	s_or_saveexec_b32 s9, s9
	v_mov_b32_e32 v8, s8
	s_xor_b32 exec_lo, exec_lo, s9
	s_cbranch_execz .LBB31_912
.LBB31_932:
	v_cmp_ne_u16_e32 vcc_lo, 0, v3
	v_mov_b32_e32 v8, 0
	s_and_not1_b32 s7, s7, exec_lo
	s_and_b32 s8, vcc_lo, exec_lo
	s_delay_alu instid0(SALU_CYCLE_1)
	s_or_b32 s7, s7, s8
	s_or_b32 exec_lo, exec_lo, s9
	s_and_saveexec_b32 s8, s7
	s_cbranch_execnz .LBB31_913
	s_branch .LBB31_914
.LBB31_933:
	s_mov_b32 s6, -1
.LBB31_934:
                                        ; implicit-def: $vgpr8
.LBB31_935:
	s_and_b32 vcc_lo, exec_lo, s7
	s_mov_b32 s7, 0
	s_cbranch_vccz .LBB31_937
; %bb.936:
	v_cmp_ne_u16_e32 vcc_lo, 11, v6
	s_and_not1_b32 s6, s6, exec_lo
	s_mov_b32 s7, -1
                                        ; implicit-def: $vgpr8
	s_and_b32 s9, vcc_lo, exec_lo
	s_delay_alu instid0(SALU_CYCLE_1)
	s_or_b32 s6, s6, s9
.LBB31_937:
	s_mov_b32 s9, 0
.LBB31_938:
	s_and_b32 s42, s8, exec_lo
	s_and_not1_b32 s8, s2, exec_lo
	s_and_b32 s6, s6, exec_lo
	s_and_b32 s22, s9, exec_lo
	;; [unrolled: 1-line block ×3, first 2 shown]
	s_or_b32 s43, s8, s6
.LBB31_939:
	s_or_b32 exec_lo, exec_lo, s33
	s_delay_alu instid0(SALU_CYCLE_1)
	s_and_not1_b32 s2, s2, exec_lo
	s_and_b32 s6, s43, exec_lo
	s_and_b32 s42, s42, exec_lo
	;; [unrolled: 1-line block ×4, first 2 shown]
	s_or_b32 s2, s2, s6
.LBB31_940:
	s_or_b32 exec_lo, exec_lo, s25
	s_delay_alu instid0(SALU_CYCLE_1)
	s_and_not1_b32 s6, s40, exec_lo
	s_and_b32 s7, s24, exec_lo
	s_and_b32 s2, s2, exec_lo
	s_or_b32 s40, s6, s7
	s_and_not1_b32 s6, s39, exec_lo
	s_and_b32 s24, s42, exec_lo
	s_and_b32 s22, s22, exec_lo
	;; [unrolled: 1-line block ×3, first 2 shown]
	s_or_b32 s39, s6, s2
.LBB31_941:
	s_or_b32 exec_lo, exec_lo, s41
	s_delay_alu instid0(SALU_CYCLE_1)
	s_and_not1_b32 s2, s36, exec_lo
	s_and_b32 s6, s40, exec_lo
	s_and_b32 s7, s39, exec_lo
	s_or_b32 s36, s2, s6
	s_and_not1_b32 s6, s37, exec_lo
	s_and_b32 s2, s24, exec_lo
	s_and_b32 s22, s22, exec_lo
	;; [unrolled: 1-line block ×3, first 2 shown]
	s_or_b32 s37, s6, s7
.LBB31_942:
	s_or_b32 exec_lo, exec_lo, s38
	s_mov_b32 s8, 0
	s_and_saveexec_b32 s6, s37
	s_cbranch_execnz .LBB31_954
; %bb.943:
	s_or_b32 exec_lo, exec_lo, s6
	s_and_saveexec_b32 s6, s39
	s_delay_alu instid0(SALU_CYCLE_1)
	s_xor_b32 s6, exec_lo, s6
	s_cbranch_execz .LBB31_945
.LBB31_944:
	global_load_u8 v3, v[1:2], off
	s_or_b32 s2, s2, exec_lo
	s_waitcnt vmcnt(0)
	v_cmp_ne_u16_e32 vcc_lo, 0, v3
	v_cndmask_b32_e64 v8, 0, 1.0, vcc_lo
.LBB31_945:
	s_or_b32 exec_lo, exec_lo, s6
	s_and_saveexec_b32 s6, s22
	s_cbranch_execz .LBB31_993
; %bb.946:
	v_cmp_gt_i16_e32 vcc_lo, 5, v6
	s_cbranch_vccnz .LBB31_951
; %bb.947:
	v_cmp_gt_i16_e32 vcc_lo, 8, v6
	s_cbranch_vccnz .LBB31_952
	;; [unrolled: 3-line block ×3, first 2 shown]
; %bb.949:
	v_cmp_lt_i16_e32 vcc_lo, 9, v6
	s_cbranch_vccz .LBB31_956
; %bb.950:
	global_load_b64 v[3:4], v[1:2], off
	s_mov_b32 s7, 0
	s_waitcnt vmcnt(0)
	v_cvt_f32_f64_e32 v8, v[3:4]
	s_branch .LBB31_957
.LBB31_951:
                                        ; implicit-def: $vgpr8
	s_branch .LBB31_974
.LBB31_952:
                                        ; implicit-def: $vgpr8
	s_branch .LBB31_963
.LBB31_953:
	s_mov_b32 s7, -1
                                        ; implicit-def: $vgpr8
	s_branch .LBB31_960
.LBB31_954:
	s_cbranch_execnz .LBB31_1236
; %bb.955:
	s_mov_b32 s8, exec_lo
	s_and_not1_b32 s39, s39, exec_lo
                                        ; implicit-def: $vgpr8
	s_or_b32 exec_lo, exec_lo, s6
	s_and_saveexec_b32 s6, s39
	s_delay_alu instid0(SALU_CYCLE_1)
	s_xor_b32 s6, exec_lo, s6
	s_cbranch_execnz .LBB31_944
	s_branch .LBB31_945
.LBB31_956:
	s_mov_b32 s7, -1
                                        ; implicit-def: $vgpr8
.LBB31_957:
	s_delay_alu instid0(SALU_CYCLE_1)
	s_and_not1_b32 vcc_lo, exec_lo, s7
	s_cbranch_vccnz .LBB31_959
; %bb.958:
	global_load_b32 v8, v[1:2], off
.LBB31_959:
	s_mov_b32 s7, 0
.LBB31_960:
	s_delay_alu instid0(SALU_CYCLE_1)
	s_and_not1_b32 vcc_lo, exec_lo, s7
	s_cbranch_vccnz .LBB31_962
; %bb.961:
	global_load_b32 v3, v[1:2], off
	s_waitcnt vmcnt(0)
	v_cvt_f32_f16_e32 v8, v3
.LBB31_962:
	s_cbranch_execnz .LBB31_973
.LBB31_963:
	v_cmp_gt_i16_e32 vcc_lo, 6, v6
	s_cbranch_vccnz .LBB31_966
; %bb.964:
	v_cmp_lt_i16_e32 vcc_lo, 6, v6
	s_cbranch_vccz .LBB31_967
; %bb.965:
	global_load_b64 v[3:4], v[1:2], off
	s_mov_b32 s7, 0
	s_waitcnt vmcnt(0)
	v_cvt_f32_f64_e32 v8, v[3:4]
	s_branch .LBB31_968
.LBB31_966:
	s_mov_b32 s7, -1
                                        ; implicit-def: $vgpr8
	s_branch .LBB31_971
.LBB31_967:
	s_mov_b32 s7, -1
                                        ; implicit-def: $vgpr8
.LBB31_968:
	s_delay_alu instid0(SALU_CYCLE_1)
	s_and_not1_b32 vcc_lo, exec_lo, s7
	s_cbranch_vccnz .LBB31_970
; %bb.969:
	global_load_b32 v8, v[1:2], off
.LBB31_970:
	s_mov_b32 s7, 0
.LBB31_971:
	s_delay_alu instid0(SALU_CYCLE_1)
	s_and_not1_b32 vcc_lo, exec_lo, s7
	s_cbranch_vccnz .LBB31_973
; %bb.972:
	global_load_u16 v3, v[1:2], off
	s_waitcnt vmcnt(0)
	v_cvt_f32_f16_e32 v8, v3
.LBB31_973:
	s_cbranch_execnz .LBB31_992
.LBB31_974:
	v_cmp_gt_i16_e32 vcc_lo, 2, v6
	s_cbranch_vccnz .LBB31_978
; %bb.975:
	v_cmp_gt_i16_e32 vcc_lo, 3, v6
	s_cbranch_vccnz .LBB31_979
; %bb.976:
	v_cmp_lt_i16_e32 vcc_lo, 3, v6
	s_cbranch_vccz .LBB31_980
; %bb.977:
	global_load_b64 v[3:4], v[1:2], off
	s_mov_b32 s7, 0
	s_waitcnt vmcnt(0)
	v_xor_b32_e32 v7, v3, v4
	v_cls_i32_e32 v8, v4
	s_delay_alu instid0(VALU_DEP_2) | instskip(NEXT) | instid1(VALU_DEP_2)
	v_ashrrev_i32_e32 v7, 31, v7
	v_add_nc_u32_e32 v8, -1, v8
	s_delay_alu instid0(VALU_DEP_2) | instskip(NEXT) | instid1(VALU_DEP_1)
	v_add_nc_u32_e32 v7, 32, v7
	v_min_u32_e32 v7, v8, v7
	s_delay_alu instid0(VALU_DEP_1) | instskip(NEXT) | instid1(VALU_DEP_1)
	v_lshlrev_b64 v[3:4], v7, v[3:4]
	v_min_u32_e32 v3, 1, v3
	s_delay_alu instid0(VALU_DEP_1) | instskip(SKIP_1) | instid1(VALU_DEP_2)
	v_or_b32_e32 v3, v4, v3
	v_sub_nc_u32_e32 v4, 32, v7
	v_cvt_f32_i32_e32 v3, v3
	s_delay_alu instid0(VALU_DEP_1)
	v_ldexp_f32 v8, v3, v4
	s_branch .LBB31_981
.LBB31_978:
                                        ; implicit-def: $vgpr8
	s_branch .LBB31_987
.LBB31_979:
	s_mov_b32 s7, -1
                                        ; implicit-def: $vgpr8
	s_branch .LBB31_984
.LBB31_980:
	s_mov_b32 s7, -1
                                        ; implicit-def: $vgpr8
.LBB31_981:
	s_delay_alu instid0(SALU_CYCLE_1)
	s_and_not1_b32 vcc_lo, exec_lo, s7
	s_cbranch_vccnz .LBB31_983
; %bb.982:
	global_load_b32 v3, v[1:2], off
	s_waitcnt vmcnt(0)
	v_cvt_f32_i32_e32 v8, v3
.LBB31_983:
	s_mov_b32 s7, 0
.LBB31_984:
	s_delay_alu instid0(SALU_CYCLE_1)
	s_and_not1_b32 vcc_lo, exec_lo, s7
	s_cbranch_vccnz .LBB31_986
; %bb.985:
	global_load_i16 v3, v[1:2], off
	s_waitcnt vmcnt(0)
	v_cvt_f32_i32_e32 v8, v3
.LBB31_986:
	s_cbranch_execnz .LBB31_992
.LBB31_987:
	v_cmp_lt_i16_e32 vcc_lo, 0, v6
	s_mov_b32 s7, 0
	s_cbranch_vccz .LBB31_989
; %bb.988:
	global_load_i8 v3, v[1:2], off
	s_waitcnt vmcnt(0)
	v_cvt_f32_i32_e32 v8, v3
	s_branch .LBB31_990
.LBB31_989:
	s_mov_b32 s7, -1
                                        ; implicit-def: $vgpr8
.LBB31_990:
	s_delay_alu instid0(SALU_CYCLE_1)
	s_and_not1_b32 vcc_lo, exec_lo, s7
	s_cbranch_vccnz .LBB31_992
; %bb.991:
	global_load_u8 v1, v[1:2], off
	s_waitcnt vmcnt(0)
	v_cvt_f32_ubyte0_e32 v8, v1
.LBB31_992:
	s_or_b32 s2, s2, exec_lo
.LBB31_993:
	s_or_b32 exec_lo, exec_lo, s6
	s_mov_b32 s7, 0
	s_mov_b32 s6, 0
                                        ; implicit-def: $vgpr6
                                        ; implicit-def: $vgpr3_vgpr4
                                        ; implicit-def: $vgpr1
	s_and_saveexec_b32 s9, s2
	s_cbranch_execz .LBB31_1082
; %bb.994:
	s_waitcnt vmcnt(0)
	s_delay_alu instid0(VALU_DEP_1) | instskip(SKIP_1) | instid1(VALU_DEP_1)
	v_trunc_f32_e32 v1, v8
	s_mov_b32 s2, exec_lo
	v_mul_f32_e64 v2, 0x2f800000, |v1|
	s_delay_alu instid0(VALU_DEP_1) | instskip(NEXT) | instid1(VALU_DEP_1)
	v_floor_f32_e32 v2, v2
	v_fma_f32 v3, 0xcf800000, v2, |v1|
	v_ashrrev_i32_e32 v1, 31, v1
	v_cvt_u32_f32_e32 v2, v2
	s_delay_alu instid0(VALU_DEP_3) | instskip(NEXT) | instid1(VALU_DEP_2)
	v_cvt_u32_f32_e32 v3, v3
	v_xor_b32_e32 v2, v2, v1
	s_delay_alu instid0(VALU_DEP_2) | instskip(NEXT) | instid1(VALU_DEP_1)
	v_xor_b32_e32 v3, v3, v1
	v_sub_co_u32 v4, vcc_lo, v3, v1
	s_delay_alu instid0(VALU_DEP_3) | instskip(SKIP_1) | instid1(VALU_DEP_2)
	v_sub_co_ci_u32_e32 v1, vcc_lo, v2, v1, vcc_lo
	v_cmp_class_f32_e64 vcc_lo, v8, 0x1f8
	v_dual_cndmask_b32 v3, -1, v1 :: v_dual_cndmask_b32 v2, -1, v4
	v_mov_b32_e32 v1, 0
	s_delay_alu instid0(VALU_DEP_2)
	v_cmpx_lt_i64_e32 -1, v[2:3]
	s_cbranch_execz .LBB31_1006
; %bb.995:
	v_mov_b32_e32 v1, 1.0
	s_mov_b32 s10, exec_lo
	v_cmpx_lt_i64_e32 0, v[2:3]
	s_cbranch_execz .LBB31_1005
; %bb.996:
                                        ; implicit-def: $vgpr1
	s_mov_b32 s6, exec_lo
	v_cmpx_ne_u64_e32 1, v[2:3]
	s_xor_b32 s11, exec_lo, s6
	s_cbranch_execz .LBB31_1002
; %bb.997:
	v_mov_b32_e32 v1, 0x7fc00000
	s_mov_b32 s12, exec_lo
	v_cmpx_gt_u64_e32 0x81, v[2:3]
	s_cbranch_execz .LBB31_1001
; %bb.998:
	v_lshlrev_b64 v[2:3], 1, v[2:3]
	v_dual_mov_b32 v4, 1.0 :: v_dual_mov_b32 v1, v5
	s_mov_b64 s[6:7], 2
	s_mov_b32 s13, 0
	.p2align	6
.LBB31_999:                             ; =>This Inner Loop Header: Depth=1
	s_clz_i32_u32 s14, s7
	s_delay_alu instid0(SALU_CYCLE_1) | instskip(NEXT) | instid1(SALU_CYCLE_1)
	s_min_u32 s18, s14, 32
	s_lshl_b64 s[14:15], s[6:7], s18
	s_delay_alu instid0(SALU_CYCLE_1) | instskip(NEXT) | instid1(SALU_CYCLE_1)
	s_min_u32 s14, s14, 1
	s_or_b32 s14, s15, s14
	s_delay_alu instid0(SALU_CYCLE_1) | instskip(SKIP_3) | instid1(SALU_CYCLE_1)
	v_cvt_f32_u32_e32 v6, s14
	s_sub_i32 s14, 32, s18
	s_add_u32 s6, s6, 2
	s_addc_u32 s7, s7, 0
	v_cmp_ge_u64_e32 vcc_lo, s[6:7], v[2:3]
	v_ldexp_f32 v6, v6, s14
	s_delay_alu instid0(VALU_DEP_1) | instskip(SKIP_2) | instid1(VALU_DEP_2)
	v_mul_f32_e32 v6, v4, v6
	v_mov_b32_e32 v4, v1
	s_or_b32 s13, vcc_lo, s13
	v_fma_f32 v1, v5, v1, -v6
	s_and_not1_b32 exec_lo, exec_lo, s13
	s_cbranch_execnz .LBB31_999
; %bb.1000:
	s_or_b32 exec_lo, exec_lo, s13
.LBB31_1001:
	s_delay_alu instid0(SALU_CYCLE_1)
	s_or_b32 exec_lo, exec_lo, s12
                                        ; implicit-def: $vgpr5
.LBB31_1002:
	s_and_not1_saveexec_b32 s6, s11
; %bb.1003:
	v_mov_b32_e32 v1, v5
; %bb.1004:
	s_or_b32 exec_lo, exec_lo, s6
.LBB31_1005:
	s_delay_alu instid0(SALU_CYCLE_1)
	s_or_b32 exec_lo, exec_lo, s10
.LBB31_1006:
	s_delay_alu instid0(SALU_CYCLE_1) | instskip(SKIP_2) | instid1(VALU_DEP_1)
	s_or_b32 exec_lo, exec_lo, s2
	v_and_b32_e64 v6, 0xff, s3
	v_add_co_u32 v3, s2, s4, v0
	v_add_co_ci_u32_e64 v4, null, s5, 0, s2
	s_delay_alu instid0(VALU_DEP_3)
	v_cmp_gt_i16_e32 vcc_lo, 11, v6
	s_mov_b32 s7, 0
	s_mov_b32 s3, -1
	s_mov_b32 s2, s36
	s_cbranch_vccnz .LBB31_1081
; %bb.1007:
	v_cmp_lt_i16_e32 vcc_lo, 25, v6
	s_mov_b32 s2, s36
	s_cbranch_vccz .LBB31_1040
; %bb.1008:
	v_cmp_lt_i16_e32 vcc_lo, 28, v6
	s_mov_b32 s2, s36
	s_cbranch_vccz .LBB31_1024
	;; [unrolled: 4-line block ×4, first 2 shown]
; %bb.1011:
	v_cmp_eq_u16_e32 vcc_lo, 46, v6
	s_mov_b32 s2, -1
	s_cbranch_vccz .LBB31_1013
; %bb.1012:
	v_bfe_u32 v0, v1, 16, 1
	v_cmp_o_f32_e32 vcc_lo, v1, v1
	s_mov_b32 s2, 0
	s_delay_alu instid0(VALU_DEP_2) | instskip(NEXT) | instid1(VALU_DEP_1)
	v_add3_u32 v0, v1, v0, 0x7fff
	v_lshrrev_b32_e32 v0, 16, v0
	s_delay_alu instid0(VALU_DEP_1)
	v_cndmask_b32_e32 v0, 0x7fc0, v0, vcc_lo
	global_store_b32 v[3:4], v0, off
.LBB31_1013:
	s_mov_b32 s3, 0
.LBB31_1014:
	s_delay_alu instid0(SALU_CYCLE_1)
	s_and_b32 vcc_lo, exec_lo, s3
	s_cbranch_vccz .LBB31_1019
; %bb.1015:
	v_cmp_eq_u16_e32 vcc_lo, 44, v6
	s_mov_b32 s2, -1
	s_cbranch_vccz .LBB31_1019
; %bb.1016:
	v_bfe_u32 v2, v1, 23, 8
	v_mov_b32_e32 v0, 0xff
	s_mov_b32 s3, exec_lo
	s_delay_alu instid0(VALU_DEP_2)
	v_cmpx_ne_u32_e32 0xff, v2
; %bb.1017:
	v_and_b32_e32 v0, 0x400000, v1
	v_and_or_b32 v2, 0x3fffff, v1, v2
	s_delay_alu instid0(VALU_DEP_2) | instskip(NEXT) | instid1(VALU_DEP_2)
	v_cmp_ne_u32_e32 vcc_lo, 0, v0
	v_cmp_ne_u32_e64 s2, 0, v2
	v_lshrrev_b32_e32 v0, 23, v1
	s_delay_alu instid0(VALU_DEP_2) | instskip(NEXT) | instid1(SALU_CYCLE_1)
	s_and_b32 s2, vcc_lo, s2
	v_cndmask_b32_e64 v2, 0, 1, s2
	s_delay_alu instid0(VALU_DEP_1)
	v_add_nc_u32_e32 v0, v0, v2
; %bb.1018:
	s_or_b32 exec_lo, exec_lo, s3
	s_mov_b32 s2, 0
	global_store_b8 v[3:4], v0, off
.LBB31_1019:
	s_mov_b32 s3, 0
.LBB31_1020:
	s_delay_alu instid0(SALU_CYCLE_1)
	s_and_b32 vcc_lo, exec_lo, s3
	s_cbranch_vccz .LBB31_1023
; %bb.1021:
	v_cmp_eq_u16_e32 vcc_lo, 29, v6
	s_mov_b32 s2, -1
	s_cbranch_vccz .LBB31_1023
; %bb.1022:
	v_trunc_f32_e32 v0, v1
	s_mov_b32 s2, 0
	s_delay_alu instid0(VALU_DEP_1) | instskip(NEXT) | instid1(VALU_DEP_1)
	v_mul_f32_e32 v2, 0x2f800000, v0
	v_floor_f32_e32 v2, v2
	s_delay_alu instid0(VALU_DEP_1) | instskip(SKIP_1) | instid1(VALU_DEP_2)
	v_fmamk_f32 v0, v2, 0xcf800000, v0
	v_cvt_u32_f32_e32 v8, v2
	v_cvt_u32_f32_e32 v7, v0
	global_store_b64 v[3:4], v[7:8], off
.LBB31_1023:
	s_mov_b32 s3, 0
.LBB31_1024:
	s_delay_alu instid0(SALU_CYCLE_1)
	s_and_b32 vcc_lo, exec_lo, s3
	s_cbranch_vccz .LBB31_1039
; %bb.1025:
	v_cmp_gt_i16_e32 vcc_lo, 27, v6
	s_mov_b32 s3, -1
	s_cbranch_vccnz .LBB31_1031
; %bb.1026:
	v_cmp_lt_i16_e32 vcc_lo, 27, v6
	v_cvt_u32_f32_e32 v0, v1
	s_cbranch_vccz .LBB31_1028
; %bb.1027:
	s_mov_b32 s3, 0
	global_store_b32 v[3:4], v0, off
.LBB31_1028:
	s_and_not1_b32 vcc_lo, exec_lo, s3
	s_cbranch_vccnz .LBB31_1030
; %bb.1029:
	global_store_b16 v[3:4], v0, off
.LBB31_1030:
	s_mov_b32 s3, 0
.LBB31_1031:
	s_delay_alu instid0(SALU_CYCLE_1)
	s_and_not1_b32 vcc_lo, exec_lo, s3
	s_cbranch_vccnz .LBB31_1039
; %bb.1032:
	v_and_b32_e32 v0, 0x7fffffff, v1
	v_mov_b32_e32 v2, 0x80
	s_mov_b32 s3, exec_lo
	s_delay_alu instid0(VALU_DEP_2)
	v_cmpx_gt_u32_e32 0x43800000, v0
	s_cbranch_execz .LBB31_1038
; %bb.1033:
	v_cmp_lt_u32_e32 vcc_lo, 0x3bffffff, v0
	s_mov_b32 s4, 0
                                        ; implicit-def: $vgpr0
	s_and_saveexec_b32 s5, vcc_lo
	s_delay_alu instid0(SALU_CYCLE_1)
	s_xor_b32 s5, exec_lo, s5
	s_cbranch_execz .LBB31_1339
; %bb.1034:
	v_bfe_u32 v0, v1, 20, 1
	s_mov_b32 s4, exec_lo
	s_delay_alu instid0(VALU_DEP_1) | instskip(NEXT) | instid1(VALU_DEP_1)
	v_add3_u32 v0, v1, v0, 0x487ffff
	v_lshrrev_b32_e32 v0, 20, v0
	s_or_saveexec_b32 s5, s5
                                        ; implicit-def: $sgpr6
	s_delay_alu instid0(SALU_CYCLE_1)
	s_xor_b32 exec_lo, exec_lo, s5
	s_cbranch_execnz .LBB31_1340
.LBB31_1035:
	s_or_b32 exec_lo, exec_lo, s5
	v_mov_b32_e32 v2, s6
	s_and_saveexec_b32 s5, s4
.LBB31_1036:
	v_lshrrev_b32_e32 v2, 24, v1
	s_delay_alu instid0(VALU_DEP_1)
	v_and_or_b32 v2, 0x80, v2, v0
.LBB31_1037:
	s_or_b32 exec_lo, exec_lo, s5
.LBB31_1038:
	s_delay_alu instid0(SALU_CYCLE_1)
	s_or_b32 exec_lo, exec_lo, s3
	global_store_b8 v[3:4], v2, off
.LBB31_1039:
	s_mov_b32 s3, 0
.LBB31_1040:
	s_delay_alu instid0(SALU_CYCLE_1)
	s_and_b32 vcc_lo, exec_lo, s3
	s_mov_b32 s3, 0
	s_cbranch_vccz .LBB31_1080
; %bb.1041:
	v_cmp_lt_i16_e32 vcc_lo, 22, v6
	s_mov_b32 s4, -1
	s_cbranch_vccz .LBB31_1073
; %bb.1042:
	v_cmp_gt_i16_e32 vcc_lo, 24, v6
	s_cbranch_vccnz .LBB31_1062
; %bb.1043:
	v_cmp_lt_i16_e32 vcc_lo, 24, v6
	s_cbranch_vccz .LBB31_1051
; %bb.1044:
	v_and_b32_e32 v0, 0x7fffffff, v1
	v_mov_b32_e32 v2, 0x80
	s_mov_b32 s4, exec_lo
	s_delay_alu instid0(VALU_DEP_2)
	v_cmpx_gt_u32_e32 0x47800000, v0
	s_cbranch_execz .LBB31_1050
; %bb.1045:
	v_cmp_lt_u32_e32 vcc_lo, 0x37ffffff, v0
	s_mov_b32 s5, 0
                                        ; implicit-def: $vgpr0
	s_and_saveexec_b32 s6, vcc_lo
	s_delay_alu instid0(SALU_CYCLE_1)
	s_xor_b32 s6, exec_lo, s6
	s_cbranch_execz .LBB31_1383
; %bb.1046:
	v_bfe_u32 v0, v1, 21, 1
	s_mov_b32 s5, exec_lo
	s_delay_alu instid0(VALU_DEP_1) | instskip(NEXT) | instid1(VALU_DEP_1)
	v_add3_u32 v0, v1, v0, 0x88fffff
	v_lshrrev_b32_e32 v0, 21, v0
	s_or_saveexec_b32 s6, s6
                                        ; implicit-def: $sgpr7
	s_delay_alu instid0(SALU_CYCLE_1)
	s_xor_b32 exec_lo, exec_lo, s6
	s_cbranch_execnz .LBB31_1384
.LBB31_1047:
	s_or_b32 exec_lo, exec_lo, s6
	v_mov_b32_e32 v2, s7
	s_and_saveexec_b32 s6, s5
.LBB31_1048:
	v_lshrrev_b32_e32 v2, 24, v1
	s_delay_alu instid0(VALU_DEP_1)
	v_and_or_b32 v2, 0x80, v2, v0
.LBB31_1049:
	s_or_b32 exec_lo, exec_lo, s6
.LBB31_1050:
	s_delay_alu instid0(SALU_CYCLE_1)
	s_or_b32 exec_lo, exec_lo, s4
	s_mov_b32 s4, 0
	global_store_b8 v[3:4], v2, off
.LBB31_1051:
	s_and_b32 vcc_lo, exec_lo, s4
	s_cbranch_vccz .LBB31_1061
; %bb.1052:
	v_and_b32_e32 v2, 0x7fffffff, v1
	s_mov_b32 s4, exec_lo
                                        ; implicit-def: $vgpr0
	s_delay_alu instid0(VALU_DEP_1)
	v_cmpx_gt_u32_e32 0x43f00000, v2
	s_xor_b32 s4, exec_lo, s4
	s_cbranch_execz .LBB31_1058
; %bb.1053:
	s_mov_b32 s5, exec_lo
                                        ; implicit-def: $vgpr0
	v_cmpx_lt_u32_e32 0x3c7fffff, v2
	s_xor_b32 s5, exec_lo, s5
; %bb.1054:
	v_bfe_u32 v0, v1, 20, 1
	s_delay_alu instid0(VALU_DEP_1) | instskip(NEXT) | instid1(VALU_DEP_1)
	v_add3_u32 v0, v1, v0, 0x407ffff
	v_and_b32_e32 v2, 0xff00000, v0
	v_lshrrev_b32_e32 v0, 20, v0
	s_delay_alu instid0(VALU_DEP_2) | instskip(NEXT) | instid1(VALU_DEP_2)
	v_cmp_ne_u32_e32 vcc_lo, 0x7f00000, v2
	v_cndmask_b32_e32 v0, 0x7e, v0, vcc_lo
; %bb.1055:
	s_and_not1_saveexec_b32 s5, s5
; %bb.1056:
	v_add_f32_e64 v0, 0x46800000, |v1|
; %bb.1057:
	s_or_b32 exec_lo, exec_lo, s5
                                        ; implicit-def: $vgpr2
.LBB31_1058:
	s_and_not1_saveexec_b32 s4, s4
; %bb.1059:
	v_mov_b32_e32 v0, 0x7f
	v_cmp_lt_u32_e32 vcc_lo, 0x7f800000, v2
	s_delay_alu instid0(VALU_DEP_2)
	v_cndmask_b32_e32 v0, 0x7e, v0, vcc_lo
; %bb.1060:
	s_or_b32 exec_lo, exec_lo, s4
	v_lshrrev_b32_e32 v2, 24, v1
	s_delay_alu instid0(VALU_DEP_1)
	v_and_or_b32 v0, 0x80, v2, v0
	global_store_b8 v[3:4], v0, off
.LBB31_1061:
	s_mov_b32 s4, 0
.LBB31_1062:
	s_delay_alu instid0(SALU_CYCLE_1)
	s_and_not1_b32 vcc_lo, exec_lo, s4
	s_cbranch_vccnz .LBB31_1072
; %bb.1063:
	v_and_b32_e32 v2, 0x7fffffff, v1
	s_mov_b32 s4, exec_lo
                                        ; implicit-def: $vgpr0
	s_delay_alu instid0(VALU_DEP_1)
	v_cmpx_gt_u32_e32 0x47800000, v2
	s_xor_b32 s4, exec_lo, s4
	s_cbranch_execz .LBB31_1069
; %bb.1064:
	s_mov_b32 s5, exec_lo
                                        ; implicit-def: $vgpr0
	v_cmpx_lt_u32_e32 0x387fffff, v2
	s_xor_b32 s5, exec_lo, s5
; %bb.1065:
	v_bfe_u32 v0, v1, 21, 1
	s_delay_alu instid0(VALU_DEP_1) | instskip(NEXT) | instid1(VALU_DEP_1)
	v_add3_u32 v0, v1, v0, 0x80fffff
	v_lshrrev_b32_e32 v0, 21, v0
; %bb.1066:
	s_and_not1_saveexec_b32 s5, s5
; %bb.1067:
	v_add_f32_e64 v0, 0x43000000, |v1|
; %bb.1068:
	s_or_b32 exec_lo, exec_lo, s5
                                        ; implicit-def: $vgpr2
.LBB31_1069:
	s_and_not1_saveexec_b32 s4, s4
; %bb.1070:
	v_mov_b32_e32 v0, 0x7f
	v_cmp_lt_u32_e32 vcc_lo, 0x7f800000, v2
	s_delay_alu instid0(VALU_DEP_2)
	v_cndmask_b32_e32 v0, 0x7c, v0, vcc_lo
; %bb.1071:
	s_or_b32 exec_lo, exec_lo, s4
	v_lshrrev_b32_e32 v2, 24, v1
	s_delay_alu instid0(VALU_DEP_1)
	v_and_or_b32 v0, 0x80, v2, v0
	global_store_b8 v[3:4], v0, off
.LBB31_1072:
	s_mov_b32 s4, 0
.LBB31_1073:
	s_delay_alu instid0(SALU_CYCLE_1)
	s_and_not1_b32 vcc_lo, exec_lo, s4
	s_mov_b32 s7, 0
	s_cbranch_vccnz .LBB31_1081
; %bb.1074:
	v_cmp_lt_i16_e32 vcc_lo, 14, v6
	s_mov_b32 s4, -1
	s_cbranch_vccz .LBB31_1078
; %bb.1075:
	v_cmp_eq_u16_e32 vcc_lo, 15, v6
	s_mov_b32 s2, -1
	s_cbranch_vccz .LBB31_1077
; %bb.1076:
	v_bfe_u32 v0, v1, 16, 1
	v_cmp_o_f32_e32 vcc_lo, v1, v1
	s_mov_b32 s2, 0
	s_delay_alu instid0(VALU_DEP_2) | instskip(NEXT) | instid1(VALU_DEP_1)
	v_add3_u32 v0, v1, v0, 0x7fff
	v_lshrrev_b32_e32 v0, 16, v0
	s_delay_alu instid0(VALU_DEP_1)
	v_cndmask_b32_e32 v0, 0x7fc0, v0, vcc_lo
	global_store_b16 v[3:4], v0, off
.LBB31_1077:
	s_mov_b32 s4, 0
.LBB31_1078:
	s_delay_alu instid0(SALU_CYCLE_1)
	s_and_b32 vcc_lo, exec_lo, s4
	s_cbranch_vccz .LBB31_1081
; %bb.1079:
	v_cmp_ne_u16_e32 vcc_lo, 11, v6
	s_and_not1_b32 s2, s2, exec_lo
	s_mov_b32 s7, -1
	s_and_b32 s4, vcc_lo, exec_lo
	s_delay_alu instid0(SALU_CYCLE_1)
	s_or_b32 s2, s2, s4
	s_branch .LBB31_1081
.LBB31_1080:
	s_mov_b32 s7, 0
.LBB31_1081:
	s_and_b32 s6, s3, exec_lo
	s_and_not1_b32 s3, s36, exec_lo
	s_and_b32 s2, s2, exec_lo
	s_and_b32 s7, s7, exec_lo
	s_or_b32 s36, s3, s2
.LBB31_1082:
	s_or_b32 exec_lo, exec_lo, s9
	s_and_saveexec_b32 s2, s36
	s_cbranch_execnz .LBB31_1196
; %bb.1083:
	s_or_b32 exec_lo, exec_lo, s2
	s_and_saveexec_b32 s2, s7
	s_delay_alu instid0(SALU_CYCLE_1)
	s_xor_b32 s2, exec_lo, s2
	s_cbranch_execz .LBB31_1085
.LBB31_1084:
	v_cmp_neq_f32_e32 vcc_lo, 0, v1
	v_cndmask_b32_e64 v0, 0, 1, vcc_lo
	s_waitcnt vmcnt(0)
	global_store_b8 v[3:4], v0, off
.LBB31_1085:
	s_or_b32 exec_lo, exec_lo, s2
	s_and_saveexec_b32 s2, s6
	s_delay_alu instid0(SALU_CYCLE_1)
	s_xor_b32 s2, exec_lo, s2
	s_cbranch_execz .LBB31_1123
; %bb.1086:
	v_cmp_gt_i16_e32 vcc_lo, 5, v6
	s_mov_b32 s3, -1
	s_cbranch_vccnz .LBB31_1107
; %bb.1087:
	v_cmp_gt_i16_e32 vcc_lo, 8, v6
	s_cbranch_vccnz .LBB31_1097
; %bb.1088:
	v_cmp_gt_i16_e32 vcc_lo, 9, v6
	s_cbranch_vccnz .LBB31_1094
; %bb.1089:
	v_cmp_lt_i16_e32 vcc_lo, 9, v6
	s_cbranch_vccz .LBB31_1091
; %bb.1090:
	s_waitcnt vmcnt(0)
	v_cvt_f64_f32_e32 v[7:8], v1
	v_mov_b32_e32 v9, 0
	s_mov_b32 s3, 0
	s_delay_alu instid0(VALU_DEP_1)
	v_mov_b32_e32 v10, v9
	global_store_b128 v[3:4], v[7:10], off
.LBB31_1091:
	s_and_not1_b32 vcc_lo, exec_lo, s3
	s_cbranch_vccnz .LBB31_1093
; %bb.1092:
	v_mov_b32_e32 v2, 0
	s_waitcnt vmcnt(0)
	global_store_b64 v[3:4], v[1:2], off
.LBB31_1093:
	s_mov_b32 s3, 0
.LBB31_1094:
	s_delay_alu instid0(SALU_CYCLE_1)
	s_and_not1_b32 vcc_lo, exec_lo, s3
	s_cbranch_vccnz .LBB31_1096
; %bb.1095:
	v_cvt_f16_f32_e32 v0, v1
	s_delay_alu instid0(VALU_DEP_1)
	v_and_b32_e32 v0, 0xffff, v0
	s_waitcnt vmcnt(0)
	global_store_b32 v[3:4], v0, off
.LBB31_1096:
	s_mov_b32 s3, 0
.LBB31_1097:
	s_delay_alu instid0(SALU_CYCLE_1)
	s_and_not1_b32 vcc_lo, exec_lo, s3
	s_cbranch_vccnz .LBB31_1106
; %bb.1098:
	v_cmp_gt_i16_e32 vcc_lo, 6, v6
	s_mov_b32 s3, -1
	s_cbranch_vccnz .LBB31_1104
; %bb.1099:
	v_cmp_lt_i16_e32 vcc_lo, 6, v6
	s_cbranch_vccz .LBB31_1101
; %bb.1100:
	s_waitcnt vmcnt(0)
	v_cvt_f64_f32_e32 v[7:8], v1
	s_mov_b32 s3, 0
	global_store_b64 v[3:4], v[7:8], off
.LBB31_1101:
	s_and_not1_b32 vcc_lo, exec_lo, s3
	s_cbranch_vccnz .LBB31_1103
; %bb.1102:
	s_waitcnt vmcnt(0)
	global_store_b32 v[3:4], v1, off
.LBB31_1103:
	s_mov_b32 s3, 0
.LBB31_1104:
	s_delay_alu instid0(SALU_CYCLE_1)
	s_and_not1_b32 vcc_lo, exec_lo, s3
	s_cbranch_vccnz .LBB31_1106
; %bb.1105:
	v_cvt_f16_f32_e32 v0, v1
	s_waitcnt vmcnt(0)
	global_store_b16 v[3:4], v0, off
.LBB31_1106:
	s_mov_b32 s3, 0
.LBB31_1107:
	s_delay_alu instid0(SALU_CYCLE_1)
	s_and_not1_b32 vcc_lo, exec_lo, s3
	s_cbranch_vccnz .LBB31_1123
; %bb.1108:
	v_cmp_gt_i16_e32 vcc_lo, 2, v6
	s_mov_b32 s3, -1
	s_cbranch_vccnz .LBB31_1118
; %bb.1109:
	v_cmp_gt_i16_e32 vcc_lo, 3, v6
	s_cbranch_vccnz .LBB31_1115
; %bb.1110:
	v_cmp_lt_i16_e32 vcc_lo, 3, v6
	s_cbranch_vccz .LBB31_1112
; %bb.1111:
	v_trunc_f32_e32 v0, v1
	s_mov_b32 s3, 0
	s_delay_alu instid0(VALU_DEP_1) | instskip(NEXT) | instid1(VALU_DEP_1)
	v_mul_f32_e64 v2, 0x2f800000, |v0|
	v_floor_f32_e32 v2, v2
	s_delay_alu instid0(VALU_DEP_1) | instskip(SKIP_2) | instid1(VALU_DEP_3)
	v_fma_f32 v5, 0xcf800000, v2, |v0|
	v_ashrrev_i32_e32 v0, 31, v0
	v_cvt_u32_f32_e32 v2, v2
	v_cvt_u32_f32_e32 v5, v5
	s_delay_alu instid0(VALU_DEP_2) | instskip(NEXT) | instid1(VALU_DEP_2)
	v_xor_b32_e32 v2, v2, v0
	v_xor_b32_e32 v5, v5, v0
	s_delay_alu instid0(VALU_DEP_1) | instskip(SKIP_1) | instid1(VALU_DEP_3)
	v_sub_co_u32 v7, vcc_lo, v5, v0
	s_waitcnt vmcnt(0)
	v_sub_co_ci_u32_e32 v8, vcc_lo, v2, v0, vcc_lo
	global_store_b64 v[3:4], v[7:8], off
.LBB31_1112:
	s_and_not1_b32 vcc_lo, exec_lo, s3
	s_cbranch_vccnz .LBB31_1114
; %bb.1113:
	v_cvt_i32_f32_e32 v0, v1
	s_waitcnt vmcnt(0)
	global_store_b32 v[3:4], v0, off
.LBB31_1114:
	s_mov_b32 s3, 0
.LBB31_1115:
	s_delay_alu instid0(SALU_CYCLE_1)
	s_and_not1_b32 vcc_lo, exec_lo, s3
	s_cbranch_vccnz .LBB31_1117
; %bb.1116:
	v_cvt_i32_f32_e32 v0, v1
	s_waitcnt vmcnt(0)
	global_store_b16 v[3:4], v0, off
.LBB31_1117:
	s_mov_b32 s3, 0
.LBB31_1118:
	s_delay_alu instid0(SALU_CYCLE_1)
	s_and_not1_b32 vcc_lo, exec_lo, s3
	s_cbranch_vccnz .LBB31_1123
; %bb.1119:
	v_cmp_lt_i16_e32 vcc_lo, 0, v6
	s_mov_b32 s3, -1
	s_cbranch_vccz .LBB31_1121
; %bb.1120:
	v_cvt_i32_f32_e32 v0, v1
	s_mov_b32 s3, 0
	s_waitcnt vmcnt(0)
	global_store_b8 v[3:4], v0, off
.LBB31_1121:
	s_and_not1_b32 vcc_lo, exec_lo, s3
	s_cbranch_vccnz .LBB31_1123
; %bb.1122:
	v_trunc_f32_e32 v0, v1
	s_delay_alu instid0(VALU_DEP_1) | instskip(NEXT) | instid1(VALU_DEP_1)
	v_mul_f32_e64 v1, 0x2f800000, |v0|
	v_floor_f32_e32 v1, v1
	s_delay_alu instid0(VALU_DEP_1) | instskip(SKIP_1) | instid1(VALU_DEP_2)
	v_fma_f32 v1, 0xcf800000, v1, |v0|
	v_ashrrev_i32_e32 v0, 31, v0
	v_cvt_u32_f32_e32 v1, v1
	s_delay_alu instid0(VALU_DEP_1) | instskip(NEXT) | instid1(VALU_DEP_1)
	v_xor_b32_e32 v1, v1, v0
	v_sub_nc_u32_e32 v0, v1, v0
	s_waitcnt vmcnt(0)
	global_store_b8 v[3:4], v0, off
.LBB31_1123:
	s_or_b32 exec_lo, exec_lo, s2
	s_delay_alu instid0(SALU_CYCLE_1)
	s_and_b32 s8, s8, exec_lo
                                        ; implicit-def: $vgpr9
                                        ; implicit-def: $vgpr7
.LBB31_1124:
	s_or_saveexec_b32 s9, s30
	s_mov_b32 s4, 0
                                        ; implicit-def: $vgpr0_vgpr1
                                        ; implicit-def: $sgpr3
                                        ; implicit-def: $vgpr8
	s_xor_b32 exec_lo, exec_lo, s9
	s_cbranch_execz .LBB31_1765
; %bb.1125:
	v_cndmask_b32_e64 v0, 0, 1, s29
	s_and_not1_b32 vcc_lo, exec_lo, s29
	s_cbranch_vccnz .LBB31_1131
; %bb.1126:
	s_waitcnt vmcnt(0)
	v_dual_mov_b32 v3, 0 :: v_dual_mov_b32 v4, 0
	s_cmp_lg_u32 s26, 0
	s_mov_b32 s6, 0
	s_cbranch_scc0 .LBB31_1135
; %bb.1127:
	s_min_u32 s7, s27, 15
	v_mov_b32_e32 v3, 0
	s_add_i32 s7, s7, 1
	s_cmp_eq_u32 s27, 2
	s_mov_b32 s10, 0
	s_cbranch_scc1 .LBB31_1132
; %bb.1128:
	v_dual_mov_b32 v4, 0 :: v_dual_mov_b32 v3, 0
	v_mov_b32_e32 v1, v7
	s_add_u32 s2, s16, 0xc4
	s_addc_u32 s3, s17, 0
	s_and_b32 s10, s7, 28
	s_mov_b32 s11, 0
	s_mov_b64 s[4:5], s[16:17]
.LBB31_1129:                            ; =>This Inner Loop Header: Depth=1
	s_clause 0x1
	s_load_b256 s[36:43], s[4:5], 0x4
	s_load_b128 s[12:15], s[4:5], 0x24
	s_load_b256 s[44:51], s[2:3], 0x0
	s_add_u32 s4, s4, 48
	s_addc_u32 s5, s5, 0
	s_add_i32 s11, s11, 4
	s_add_u32 s2, s2, 32
	s_addc_u32 s3, s3, 0
	s_cmp_lg_u32 s10, s11
	s_waitcnt lgkmcnt(0)
	v_mul_hi_u32 v2, s37, v1
	s_delay_alu instid0(VALU_DEP_1) | instskip(NEXT) | instid1(VALU_DEP_1)
	v_add_nc_u32_e32 v2, v1, v2
	v_lshrrev_b32_e32 v2, s38, v2
	s_delay_alu instid0(VALU_DEP_1) | instskip(SKIP_1) | instid1(VALU_DEP_2)
	v_mul_hi_u32 v5, s40, v2
	v_mul_lo_u32 v8, v2, s36
	v_add_nc_u32_e32 v5, v2, v5
	s_delay_alu instid0(VALU_DEP_2) | instskip(NEXT) | instid1(VALU_DEP_2)
	v_sub_nc_u32_e32 v1, v1, v8
	v_lshrrev_b32_e32 v5, s41, v5
	s_delay_alu instid0(VALU_DEP_2) | instskip(SKIP_1) | instid1(VALU_DEP_3)
	v_mul_lo_u32 v8, v1, s44
	v_mul_lo_u32 v11, v1, s45
	v_mul_hi_u32 v6, s43, v5
	s_delay_alu instid0(VALU_DEP_1) | instskip(NEXT) | instid1(VALU_DEP_1)
	v_add_nc_u32_e32 v6, v5, v6
	v_lshrrev_b32_e32 v6, s12, v6
	s_delay_alu instid0(VALU_DEP_1) | instskip(SKIP_1) | instid1(VALU_DEP_2)
	v_mul_hi_u32 v10, s14, v6
	v_mul_lo_u32 v12, v6, s42
	v_add_nc_u32_e32 v1, v6, v10
	v_mul_lo_u32 v10, v5, s39
	s_delay_alu instid0(VALU_DEP_3) | instskip(NEXT) | instid1(VALU_DEP_3)
	v_sub_nc_u32_e32 v5, v5, v12
	v_lshrrev_b32_e32 v1, s15, v1
	s_delay_alu instid0(VALU_DEP_2) | instskip(SKIP_2) | instid1(VALU_DEP_4)
	v_mul_lo_u32 v12, v5, s48
	v_mul_lo_u32 v5, v5, s49
	v_sub_nc_u32_e32 v2, v2, v10
	v_mul_lo_u32 v13, v1, s13
	s_delay_alu instid0(VALU_DEP_2) | instskip(SKIP_1) | instid1(VALU_DEP_3)
	v_mul_lo_u32 v10, v2, s46
	v_mul_lo_u32 v2, v2, s47
	v_sub_nc_u32_e32 v6, v6, v13
	s_delay_alu instid0(VALU_DEP_3) | instskip(NEXT) | instid1(VALU_DEP_2)
	v_add3_u32 v3, v8, v3, v10
	v_mul_lo_u32 v13, v6, s50
	v_mul_lo_u32 v6, v6, s51
	v_add3_u32 v2, v11, v4, v2
	s_delay_alu instid0(VALU_DEP_3) | instskip(NEXT) | instid1(VALU_DEP_2)
	v_add3_u32 v3, v12, v3, v13
	v_add3_u32 v4, v5, v2, v6
	s_cbranch_scc1 .LBB31_1129
; %bb.1130:
	s_and_b32 s7, s7, 3
	s_delay_alu instid0(SALU_CYCLE_1)
	s_cmp_eq_u32 s7, 0
	s_cbranch_scc0 .LBB31_1133
	s_branch .LBB31_1135
.LBB31_1131:
	s_mov_b32 s6, -1
                                        ; implicit-def: $vgpr3
                                        ; implicit-def: $vgpr4
	s_branch .LBB31_1135
.LBB31_1132:
	v_dual_mov_b32 v1, v7 :: v_dual_mov_b32 v4, 0
	s_and_b32 s7, s7, 3
	s_delay_alu instid0(SALU_CYCLE_1)
	s_cmp_eq_u32 s7, 0
	s_cbranch_scc1 .LBB31_1135
.LBB31_1133:
	s_lshl_b32 s2, s10, 3
	s_mul_i32 s4, s10, 12
	s_add_u32 s2, s2, s16
	s_addc_u32 s3, 0, s17
	s_add_u32 s2, s2, 0xc4
	s_addc_u32 s3, s3, 0
	;; [unrolled: 2-line block ×3, first 2 shown]
	.p2align	6
.LBB31_1134:                            ; =>This Inner Loop Header: Depth=1
	s_clause 0x1
	s_load_b64 s[10:11], s[4:5], 0x4
	s_load_b32 s14, s[4:5], 0xc
	s_load_b64 s[12:13], s[2:3], 0x0
	s_add_u32 s4, s4, 12
	s_addc_u32 s5, s5, 0
	s_add_u32 s2, s2, 8
	s_addc_u32 s3, s3, 0
	s_add_i32 s7, s7, -1
	s_delay_alu instid0(SALU_CYCLE_1) | instskip(SKIP_2) | instid1(VALU_DEP_1)
	s_cmp_lg_u32 s7, 0
	s_waitcnt lgkmcnt(0)
	v_mul_hi_u32 v2, s11, v1
	v_add_nc_u32_e32 v2, v1, v2
	s_delay_alu instid0(VALU_DEP_1) | instskip(NEXT) | instid1(VALU_DEP_1)
	v_lshrrev_b32_e32 v8, s14, v2
	v_mul_lo_u32 v2, v8, s10
	s_delay_alu instid0(VALU_DEP_1) | instskip(NEXT) | instid1(VALU_DEP_1)
	v_sub_nc_u32_e32 v1, v1, v2
	v_mad_u64_u32 v[5:6], null, v1, s12, v[3:4]
	s_delay_alu instid0(VALU_DEP_1) | instskip(SKIP_1) | instid1(VALU_DEP_2)
	v_mad_u64_u32 v[2:3], null, v1, s13, v[4:5]
	v_mov_b32_e32 v1, v8
	v_dual_mov_b32 v3, v5 :: v_dual_mov_b32 v4, v2
	s_cbranch_scc1 .LBB31_1134
.LBB31_1135:
	s_and_not1_b32 vcc_lo, exec_lo, s6
	s_cbranch_vccnz .LBB31_1138
; %bb.1136:
	s_clause 0x1
	s_load_b128 s[4:7], s[16:17], 0x4
	s_load_b64 s[2:3], s[16:17], 0xc4
	s_cmp_lt_u32 s26, 2
	s_waitcnt lgkmcnt(0)
	v_mul_hi_u32 v1, s5, v7
	s_delay_alu instid0(VALU_DEP_1) | instskip(NEXT) | instid1(VALU_DEP_1)
	v_add_nc_u32_e32 v1, v7, v1
	v_lshrrev_b32_e32 v1, s6, v1
	s_delay_alu instid0(VALU_DEP_1) | instskip(NEXT) | instid1(VALU_DEP_1)
	v_mul_lo_u32 v2, v1, s4
	v_sub_nc_u32_e32 v2, v7, v2
	s_waitcnt vmcnt(0)
	s_delay_alu instid0(VALU_DEP_1)
	v_mul_lo_u32 v3, v2, s2
	v_mul_lo_u32 v4, v2, s3
	s_cbranch_scc1 .LBB31_1138
; %bb.1137:
	s_clause 0x1
	s_load_b128 s[4:7], s[16:17], 0x10
	s_load_b64 s[2:3], s[16:17], 0xcc
	s_waitcnt lgkmcnt(0)
	v_mul_hi_u32 v2, s5, v1
	s_delay_alu instid0(VALU_DEP_1) | instskip(NEXT) | instid1(VALU_DEP_1)
	v_add_nc_u32_e32 v2, v1, v2
	v_lshrrev_b32_e32 v2, s6, v2
	s_delay_alu instid0(VALU_DEP_1) | instskip(NEXT) | instid1(VALU_DEP_1)
	v_mul_lo_u32 v2, v2, s4
	v_sub_nc_u32_e32 v5, v1, v2
	s_delay_alu instid0(VALU_DEP_1) | instskip(SKIP_1) | instid1(VALU_DEP_1)
	v_mad_u64_u32 v[1:2], null, v5, s2, v[3:4]
	v_mad_u64_u32 v[2:3], null, v5, s3, v[4:5]
	v_dual_mov_b32 v3, v1 :: v_dual_mov_b32 v4, v2
.LBB31_1138:
	v_cmp_ne_u32_e32 vcc_lo, 1, v0
	v_add_nc_u32_e32 v1, 0x80, v7
	s_cbranch_vccnz .LBB31_1144
; %bb.1139:
	v_mov_b32_e32 v2, 0
	v_mov_b32_e32 v6, 0
	s_cmp_lg_u32 s26, 0
	s_mov_b32 s6, 0
	s_cbranch_scc0 .LBB31_1148
; %bb.1140:
	s_min_u32 s7, s27, 15
	v_mov_b32_e32 v2, 0
	s_add_i32 s7, s7, 1
	s_cmp_eq_u32 s27, 2
	s_mov_b32 s10, 0
	s_cbranch_scc1 .LBB31_1145
; %bb.1141:
	v_dual_mov_b32 v6, 0 :: v_dual_mov_b32 v5, v1
	v_mov_b32_e32 v2, 0
	s_add_u32 s2, s16, 0xc4
	s_addc_u32 s3, s17, 0
	s_and_b32 s10, s7, 28
	s_mov_b32 s11, 0
	s_mov_b64 s[4:5], s[16:17]
.LBB31_1142:                            ; =>This Inner Loop Header: Depth=1
	s_clause 0x1
	s_load_b256 s[36:43], s[4:5], 0x4
	s_load_b128 s[12:15], s[4:5], 0x24
	s_load_b256 s[44:51], s[2:3], 0x0
	s_add_u32 s4, s4, 48
	s_addc_u32 s5, s5, 0
	s_add_i32 s11, s11, 4
	s_add_u32 s2, s2, 32
	s_addc_u32 s3, s3, 0
	s_cmp_lg_u32 s10, s11
	s_waitcnt vmcnt(0) lgkmcnt(0)
	v_mul_hi_u32 v8, s37, v5
	s_delay_alu instid0(VALU_DEP_1) | instskip(NEXT) | instid1(VALU_DEP_1)
	v_add_nc_u32_e32 v8, v5, v8
	v_lshrrev_b32_e32 v8, s38, v8
	s_delay_alu instid0(VALU_DEP_1) | instskip(SKIP_1) | instid1(VALU_DEP_2)
	v_mul_hi_u32 v10, s40, v8
	v_mul_lo_u32 v12, v8, s36
	v_add_nc_u32_e32 v10, v8, v10
	s_delay_alu instid0(VALU_DEP_2) | instskip(NEXT) | instid1(VALU_DEP_2)
	v_sub_nc_u32_e32 v5, v5, v12
	v_lshrrev_b32_e32 v10, s41, v10
	s_delay_alu instid0(VALU_DEP_2) | instskip(SKIP_1) | instid1(VALU_DEP_3)
	v_mul_lo_u32 v12, v5, s44
	v_mul_lo_u32 v14, v5, s45
	v_mul_hi_u32 v11, s43, v10
	s_delay_alu instid0(VALU_DEP_1) | instskip(NEXT) | instid1(VALU_DEP_1)
	v_add_nc_u32_e32 v11, v10, v11
	v_lshrrev_b32_e32 v11, s12, v11
	s_delay_alu instid0(VALU_DEP_1) | instskip(SKIP_1) | instid1(VALU_DEP_2)
	v_mul_hi_u32 v13, s14, v11
	v_mul_lo_u32 v15, v11, s42
	v_add_nc_u32_e32 v5, v11, v13
	v_mul_lo_u32 v13, v10, s39
	s_delay_alu instid0(VALU_DEP_3) | instskip(NEXT) | instid1(VALU_DEP_3)
	v_sub_nc_u32_e32 v10, v10, v15
	v_lshrrev_b32_e32 v5, s15, v5
	s_delay_alu instid0(VALU_DEP_2) | instskip(SKIP_2) | instid1(VALU_DEP_4)
	v_mul_lo_u32 v15, v10, s48
	v_mul_lo_u32 v10, v10, s49
	v_sub_nc_u32_e32 v8, v8, v13
	v_mul_lo_u32 v16, v5, s13
	s_delay_alu instid0(VALU_DEP_2) | instskip(SKIP_1) | instid1(VALU_DEP_3)
	v_mul_lo_u32 v13, v8, s46
	v_mul_lo_u32 v8, v8, s47
	v_sub_nc_u32_e32 v11, v11, v16
	s_delay_alu instid0(VALU_DEP_3) | instskip(NEXT) | instid1(VALU_DEP_2)
	v_add3_u32 v2, v12, v2, v13
	v_mul_lo_u32 v16, v11, s50
	v_mul_lo_u32 v11, v11, s51
	v_add3_u32 v6, v14, v6, v8
	s_delay_alu instid0(VALU_DEP_3) | instskip(NEXT) | instid1(VALU_DEP_2)
	v_add3_u32 v2, v15, v2, v16
	v_add3_u32 v6, v10, v6, v11
	s_cbranch_scc1 .LBB31_1142
; %bb.1143:
	s_and_b32 s7, s7, 3
	s_delay_alu instid0(SALU_CYCLE_1)
	s_cmp_eq_u32 s7, 0
	s_cbranch_scc0 .LBB31_1146
	s_branch .LBB31_1148
.LBB31_1144:
	s_mov_b32 s6, -1
                                        ; implicit-def: $vgpr2
                                        ; implicit-def: $vgpr6
	s_branch .LBB31_1148
.LBB31_1145:
	v_dual_mov_b32 v5, v1 :: v_dual_mov_b32 v6, 0
	s_and_b32 s7, s7, 3
	s_delay_alu instid0(SALU_CYCLE_1)
	s_cmp_eq_u32 s7, 0
	s_cbranch_scc1 .LBB31_1148
.LBB31_1146:
	s_lshl_b32 s2, s10, 3
	s_mul_i32 s4, s10, 12
	s_add_u32 s2, s2, s16
	s_addc_u32 s3, 0, s17
	s_add_u32 s2, s2, 0xc4
	s_addc_u32 s3, s3, 0
	;; [unrolled: 2-line block ×3, first 2 shown]
	.p2align	6
.LBB31_1147:                            ; =>This Inner Loop Header: Depth=1
	s_clause 0x1
	s_load_b64 s[10:11], s[4:5], 0x4
	s_load_b32 s14, s[4:5], 0xc
	s_load_b64 s[12:13], s[2:3], 0x0
	s_add_u32 s4, s4, 12
	s_addc_u32 s5, s5, 0
	s_add_u32 s2, s2, 8
	s_addc_u32 s3, s3, 0
	s_add_i32 s7, s7, -1
	s_delay_alu instid0(SALU_CYCLE_1) | instskip(SKIP_2) | instid1(VALU_DEP_1)
	s_cmp_lg_u32 s7, 0
	s_waitcnt vmcnt(0) lgkmcnt(0)
	v_mul_hi_u32 v8, s11, v5
	v_add_nc_u32_e32 v8, v5, v8
	s_delay_alu instid0(VALU_DEP_1) | instskip(NEXT) | instid1(VALU_DEP_1)
	v_lshrrev_b32_e32 v8, s14, v8
	v_mul_lo_u32 v10, v8, s10
	s_delay_alu instid0(VALU_DEP_1) | instskip(NEXT) | instid1(VALU_DEP_1)
	v_sub_nc_u32_e32 v5, v5, v10
	v_mad_u64_u32 v[10:11], null, v5, s12, v[2:3]
	v_mad_u64_u32 v[11:12], null, v5, s13, v[6:7]
	s_delay_alu instid0(VALU_DEP_2) | instskip(NEXT) | instid1(VALU_DEP_2)
	v_dual_mov_b32 v5, v8 :: v_dual_mov_b32 v2, v10
	v_mov_b32_e32 v6, v11
	s_cbranch_scc1 .LBB31_1147
.LBB31_1148:
	s_and_not1_b32 vcc_lo, exec_lo, s6
	s_cbranch_vccnz .LBB31_1151
; %bb.1149:
	s_clause 0x1
	s_load_b128 s[4:7], s[16:17], 0x4
	s_load_b64 s[2:3], s[16:17], 0xc4
	s_cmp_lt_u32 s26, 2
	s_waitcnt lgkmcnt(0)
	v_mul_hi_u32 v2, s5, v1
	s_delay_alu instid0(VALU_DEP_1) | instskip(NEXT) | instid1(VALU_DEP_1)
	v_add_nc_u32_e32 v2, v1, v2
	v_lshrrev_b32_e32 v5, s6, v2
	s_delay_alu instid0(VALU_DEP_1) | instskip(NEXT) | instid1(VALU_DEP_1)
	v_mul_lo_u32 v2, v5, s4
	v_sub_nc_u32_e32 v1, v1, v2
	s_delay_alu instid0(VALU_DEP_1)
	v_mul_lo_u32 v2, v1, s2
	v_mul_lo_u32 v6, v1, s3
	s_cbranch_scc1 .LBB31_1151
; %bb.1150:
	s_clause 0x1
	s_load_b128 s[4:7], s[16:17], 0x10
	s_load_b64 s[2:3], s[16:17], 0xcc
	s_waitcnt lgkmcnt(0)
	v_mul_hi_u32 v1, s5, v5
	s_delay_alu instid0(VALU_DEP_1) | instskip(NEXT) | instid1(VALU_DEP_1)
	v_add_nc_u32_e32 v1, v5, v1
	v_lshrrev_b32_e32 v1, s6, v1
	s_delay_alu instid0(VALU_DEP_1) | instskip(NEXT) | instid1(VALU_DEP_1)
	v_mul_lo_u32 v1, v1, s4
	v_sub_nc_u32_e32 v5, v5, v1
	s_waitcnt vmcnt(0)
	s_delay_alu instid0(VALU_DEP_1) | instskip(SKIP_1) | instid1(VALU_DEP_2)
	v_mad_u64_u32 v[10:11], null, v5, s2, v[2:3]
	v_mad_u64_u32 v[1:2], null, v5, s3, v[6:7]
	v_mov_b32_e32 v2, v10
	s_delay_alu instid0(VALU_DEP_2)
	v_mov_b32_e32 v6, v1
.LBB31_1151:
	v_cmp_ne_u32_e32 vcc_lo, 1, v0
	v_add_nc_u32_e32 v5, 0x100, v7
	s_cbranch_vccnz .LBB31_1157
; %bb.1152:
	v_mov_b32_e32 v1, 0
	v_mov_b32_e32 v7, 0
	s_cmp_lg_u32 s26, 0
	s_mov_b32 s6, 0
	s_cbranch_scc0 .LBB31_1161
; %bb.1153:
	s_min_u32 s7, s27, 15
	v_mov_b32_e32 v1, 0
	s_add_i32 s7, s7, 1
	s_cmp_eq_u32 s27, 2
	s_mov_b32 s10, 0
	s_cbranch_scc1 .LBB31_1158
; %bb.1154:
	s_waitcnt vmcnt(0)
	v_dual_mov_b32 v7, 0 :: v_dual_mov_b32 v8, v5
	v_mov_b32_e32 v1, 0
	s_add_u32 s2, s16, 0xc4
	s_addc_u32 s3, s17, 0
	s_and_b32 s10, s7, 28
	s_mov_b32 s11, 0
	s_mov_b64 s[4:5], s[16:17]
.LBB31_1155:                            ; =>This Inner Loop Header: Depth=1
	s_clause 0x1
	s_load_b256 s[36:43], s[4:5], 0x4
	s_load_b128 s[12:15], s[4:5], 0x24
	s_load_b256 s[44:51], s[2:3], 0x0
	s_add_u32 s4, s4, 48
	s_addc_u32 s5, s5, 0
	s_add_i32 s11, s11, 4
	s_add_u32 s2, s2, 32
	s_addc_u32 s3, s3, 0
	s_cmp_lg_u32 s10, s11
	s_waitcnt lgkmcnt(0)
	v_mul_hi_u32 v10, s37, v8
	s_delay_alu instid0(VALU_DEP_1) | instskip(NEXT) | instid1(VALU_DEP_1)
	v_add_nc_u32_e32 v10, v8, v10
	v_lshrrev_b32_e32 v10, s38, v10
	s_delay_alu instid0(VALU_DEP_1) | instskip(SKIP_1) | instid1(VALU_DEP_2)
	v_mul_hi_u32 v11, s40, v10
	v_mul_lo_u32 v13, v10, s36
	v_add_nc_u32_e32 v11, v10, v11
	s_delay_alu instid0(VALU_DEP_2) | instskip(NEXT) | instid1(VALU_DEP_2)
	v_sub_nc_u32_e32 v8, v8, v13
	v_lshrrev_b32_e32 v11, s41, v11
	s_delay_alu instid0(VALU_DEP_2) | instskip(SKIP_1) | instid1(VALU_DEP_3)
	v_mul_lo_u32 v13, v8, s44
	v_mul_lo_u32 v15, v8, s45
	v_mul_hi_u32 v12, s43, v11
	s_delay_alu instid0(VALU_DEP_1) | instskip(NEXT) | instid1(VALU_DEP_1)
	v_add_nc_u32_e32 v12, v11, v12
	v_lshrrev_b32_e32 v12, s12, v12
	s_delay_alu instid0(VALU_DEP_1) | instskip(SKIP_1) | instid1(VALU_DEP_2)
	v_mul_hi_u32 v14, s14, v12
	v_mul_lo_u32 v16, v12, s42
	v_add_nc_u32_e32 v8, v12, v14
	v_mul_lo_u32 v14, v11, s39
	s_delay_alu instid0(VALU_DEP_3) | instskip(NEXT) | instid1(VALU_DEP_3)
	v_sub_nc_u32_e32 v11, v11, v16
	v_lshrrev_b32_e32 v8, s15, v8
	s_delay_alu instid0(VALU_DEP_2) | instskip(SKIP_2) | instid1(VALU_DEP_4)
	v_mul_lo_u32 v16, v11, s48
	v_mul_lo_u32 v11, v11, s49
	v_sub_nc_u32_e32 v10, v10, v14
	v_mul_lo_u32 v17, v8, s13
	s_delay_alu instid0(VALU_DEP_2) | instskip(SKIP_1) | instid1(VALU_DEP_3)
	v_mul_lo_u32 v14, v10, s46
	v_mul_lo_u32 v10, v10, s47
	v_sub_nc_u32_e32 v12, v12, v17
	s_delay_alu instid0(VALU_DEP_3) | instskip(NEXT) | instid1(VALU_DEP_2)
	v_add3_u32 v1, v13, v1, v14
	v_mul_lo_u32 v17, v12, s50
	v_mul_lo_u32 v12, v12, s51
	v_add3_u32 v7, v15, v7, v10
	s_delay_alu instid0(VALU_DEP_3) | instskip(NEXT) | instid1(VALU_DEP_2)
	v_add3_u32 v1, v16, v1, v17
	v_add3_u32 v7, v11, v7, v12
	s_cbranch_scc1 .LBB31_1155
; %bb.1156:
	s_and_b32 s7, s7, 3
	s_delay_alu instid0(SALU_CYCLE_1)
	s_cmp_eq_u32 s7, 0
	s_cbranch_scc0 .LBB31_1159
	s_branch .LBB31_1161
.LBB31_1157:
	s_mov_b32 s6, -1
                                        ; implicit-def: $vgpr1
                                        ; implicit-def: $vgpr7
	s_branch .LBB31_1161
.LBB31_1158:
	s_waitcnt vmcnt(0)
	v_dual_mov_b32 v8, v5 :: v_dual_mov_b32 v7, 0
	s_and_b32 s7, s7, 3
	s_delay_alu instid0(SALU_CYCLE_1)
	s_cmp_eq_u32 s7, 0
	s_cbranch_scc1 .LBB31_1161
.LBB31_1159:
	s_lshl_b32 s2, s10, 3
	s_mul_i32 s4, s10, 12
	s_add_u32 s2, s2, s16
	s_addc_u32 s3, 0, s17
	s_add_u32 s2, s2, 0xc4
	s_addc_u32 s3, s3, 0
	;; [unrolled: 2-line block ×3, first 2 shown]
	.p2align	6
.LBB31_1160:                            ; =>This Inner Loop Header: Depth=1
	s_clause 0x1
	s_load_b64 s[10:11], s[4:5], 0x4
	s_load_b32 s14, s[4:5], 0xc
	s_load_b64 s[12:13], s[2:3], 0x0
	s_add_u32 s4, s4, 12
	s_addc_u32 s5, s5, 0
	s_add_u32 s2, s2, 8
	s_addc_u32 s3, s3, 0
	s_add_i32 s7, s7, -1
	s_delay_alu instid0(SALU_CYCLE_1) | instskip(SKIP_2) | instid1(VALU_DEP_1)
	s_cmp_lg_u32 s7, 0
	s_waitcnt lgkmcnt(0)
	v_mul_hi_u32 v10, s11, v8
	v_add_nc_u32_e32 v10, v8, v10
	s_delay_alu instid0(VALU_DEP_1) | instskip(NEXT) | instid1(VALU_DEP_1)
	v_lshrrev_b32_e32 v13, s14, v10
	v_mul_lo_u32 v10, v13, s10
	s_delay_alu instid0(VALU_DEP_1) | instskip(NEXT) | instid1(VALU_DEP_1)
	v_sub_nc_u32_e32 v8, v8, v10
	v_mad_u64_u32 v[10:11], null, v8, s12, v[1:2]
	v_mad_u64_u32 v[11:12], null, v8, s13, v[7:8]
	s_delay_alu instid0(VALU_DEP_2) | instskip(NEXT) | instid1(VALU_DEP_2)
	v_dual_mov_b32 v8, v13 :: v_dual_mov_b32 v1, v10
	v_mov_b32_e32 v7, v11
	s_cbranch_scc1 .LBB31_1160
.LBB31_1161:
	s_and_not1_b32 vcc_lo, exec_lo, s6
	s_cbranch_vccnz .LBB31_1164
; %bb.1162:
	s_clause 0x1
	s_load_b128 s[4:7], s[16:17], 0x4
	s_load_b64 s[2:3], s[16:17], 0xc4
	s_cmp_lt_u32 s26, 2
	s_waitcnt lgkmcnt(0)
	v_mul_hi_u32 v1, s5, v5
	s_delay_alu instid0(VALU_DEP_1) | instskip(SKIP_1) | instid1(VALU_DEP_1)
	v_add_nc_u32_e32 v1, v5, v1
	s_waitcnt vmcnt(0)
	v_lshrrev_b32_e32 v8, s6, v1
	s_delay_alu instid0(VALU_DEP_1) | instskip(NEXT) | instid1(VALU_DEP_1)
	v_mul_lo_u32 v1, v8, s4
	v_sub_nc_u32_e32 v5, v5, v1
	s_delay_alu instid0(VALU_DEP_1)
	v_mul_lo_u32 v1, v5, s2
	v_mul_lo_u32 v7, v5, s3
	s_cbranch_scc1 .LBB31_1164
; %bb.1163:
	s_clause 0x1
	s_load_b128 s[4:7], s[16:17], 0x10
	s_load_b64 s[2:3], s[16:17], 0xcc
	s_waitcnt lgkmcnt(0)
	v_mul_hi_u32 v5, s5, v8
	s_delay_alu instid0(VALU_DEP_1) | instskip(NEXT) | instid1(VALU_DEP_1)
	v_add_nc_u32_e32 v5, v8, v5
	v_lshrrev_b32_e32 v5, s6, v5
	s_delay_alu instid0(VALU_DEP_1) | instskip(NEXT) | instid1(VALU_DEP_1)
	v_mul_lo_u32 v5, v5, s4
	v_sub_nc_u32_e32 v5, v8, v5
	s_delay_alu instid0(VALU_DEP_1) | instskip(SKIP_1) | instid1(VALU_DEP_2)
	v_mad_u64_u32 v[10:11], null, v5, s2, v[1:2]
	v_mad_u64_u32 v[11:12], null, v5, s3, v[7:8]
	v_mov_b32_e32 v1, v10
	s_delay_alu instid0(VALU_DEP_2)
	v_mov_b32_e32 v7, v11
.LBB31_1164:
	v_cmp_ne_u32_e32 vcc_lo, 1, v0
	s_cbranch_vccnz .LBB31_1170
; %bb.1165:
	v_dual_mov_b32 v0, 0 :: v_dual_mov_b32 v5, 0
	s_cmp_lg_u32 s26, 0
	s_mov_b32 s6, 0
	s_cbranch_scc0 .LBB31_1174
; %bb.1166:
	s_min_u32 s7, s27, 15
	v_mov_b32_e32 v0, 0
	s_add_i32 s7, s7, 1
	s_cmp_eq_u32 s27, 2
	s_mov_b32 s10, 0
	s_cbranch_scc1 .LBB31_1171
; %bb.1167:
	v_dual_mov_b32 v5, 0 :: v_dual_mov_b32 v0, 0
	s_waitcnt vmcnt(0)
	v_mov_b32_e32 v8, v9
	s_add_u32 s2, s16, 0xc4
	s_addc_u32 s3, s17, 0
	s_and_b32 s10, s7, 28
	s_mov_b32 s11, 0
	s_mov_b64 s[4:5], s[16:17]
.LBB31_1168:                            ; =>This Inner Loop Header: Depth=1
	s_clause 0x1
	s_load_b256 s[36:43], s[4:5], 0x4
	s_load_b128 s[12:15], s[4:5], 0x24
	s_load_b256 s[44:51], s[2:3], 0x0
	s_add_u32 s4, s4, 48
	s_addc_u32 s5, s5, 0
	s_add_i32 s11, s11, 4
	s_add_u32 s2, s2, 32
	s_addc_u32 s3, s3, 0
	s_cmp_lg_u32 s10, s11
	s_waitcnt lgkmcnt(0)
	v_mul_hi_u32 v10, s37, v8
	s_delay_alu instid0(VALU_DEP_1) | instskip(NEXT) | instid1(VALU_DEP_1)
	v_add_nc_u32_e32 v10, v8, v10
	v_lshrrev_b32_e32 v10, s38, v10
	s_delay_alu instid0(VALU_DEP_1) | instskip(SKIP_1) | instid1(VALU_DEP_2)
	v_mul_hi_u32 v11, s40, v10
	v_mul_lo_u32 v13, v10, s36
	v_add_nc_u32_e32 v11, v10, v11
	s_delay_alu instid0(VALU_DEP_2) | instskip(NEXT) | instid1(VALU_DEP_2)
	v_sub_nc_u32_e32 v8, v8, v13
	v_lshrrev_b32_e32 v11, s41, v11
	s_delay_alu instid0(VALU_DEP_2) | instskip(SKIP_1) | instid1(VALU_DEP_3)
	v_mul_lo_u32 v13, v8, s44
	v_mul_lo_u32 v15, v8, s45
	v_mul_hi_u32 v12, s43, v11
	s_delay_alu instid0(VALU_DEP_1) | instskip(NEXT) | instid1(VALU_DEP_1)
	v_add_nc_u32_e32 v12, v11, v12
	v_lshrrev_b32_e32 v12, s12, v12
	s_delay_alu instid0(VALU_DEP_1) | instskip(SKIP_1) | instid1(VALU_DEP_2)
	v_mul_hi_u32 v14, s14, v12
	v_mul_lo_u32 v16, v12, s42
	v_add_nc_u32_e32 v8, v12, v14
	v_mul_lo_u32 v14, v11, s39
	s_delay_alu instid0(VALU_DEP_3) | instskip(NEXT) | instid1(VALU_DEP_3)
	v_sub_nc_u32_e32 v11, v11, v16
	v_lshrrev_b32_e32 v8, s15, v8
	s_delay_alu instid0(VALU_DEP_2) | instskip(SKIP_2) | instid1(VALU_DEP_4)
	v_mul_lo_u32 v16, v11, s48
	v_mul_lo_u32 v11, v11, s49
	v_sub_nc_u32_e32 v10, v10, v14
	v_mul_lo_u32 v17, v8, s13
	s_delay_alu instid0(VALU_DEP_2) | instskip(SKIP_1) | instid1(VALU_DEP_3)
	v_mul_lo_u32 v14, v10, s46
	v_mul_lo_u32 v10, v10, s47
	v_sub_nc_u32_e32 v12, v12, v17
	s_delay_alu instid0(VALU_DEP_3) | instskip(NEXT) | instid1(VALU_DEP_2)
	v_add3_u32 v0, v13, v0, v14
	v_mul_lo_u32 v17, v12, s50
	v_mul_lo_u32 v12, v12, s51
	v_add3_u32 v5, v15, v5, v10
	s_delay_alu instid0(VALU_DEP_3) | instskip(NEXT) | instid1(VALU_DEP_2)
	v_add3_u32 v0, v16, v0, v17
	v_add3_u32 v5, v11, v5, v12
	s_cbranch_scc1 .LBB31_1168
; %bb.1169:
	s_and_b32 s7, s7, 3
	s_delay_alu instid0(SALU_CYCLE_1)
	s_cmp_eq_u32 s7, 0
	s_cbranch_scc0 .LBB31_1172
	s_branch .LBB31_1174
.LBB31_1170:
	s_mov_b32 s6, -1
                                        ; implicit-def: $vgpr0
                                        ; implicit-def: $vgpr5
	s_branch .LBB31_1174
.LBB31_1171:
	s_waitcnt vmcnt(0)
	v_dual_mov_b32 v8, v9 :: v_dual_mov_b32 v5, 0
	s_and_b32 s7, s7, 3
	s_delay_alu instid0(SALU_CYCLE_1)
	s_cmp_eq_u32 s7, 0
	s_cbranch_scc1 .LBB31_1174
.LBB31_1172:
	s_lshl_b32 s2, s10, 3
	s_mul_i32 s4, s10, 12
	s_add_u32 s2, s2, s16
	s_addc_u32 s3, 0, s17
	s_add_u32 s2, s2, 0xc4
	s_addc_u32 s3, s3, 0
	;; [unrolled: 2-line block ×3, first 2 shown]
	.p2align	6
.LBB31_1173:                            ; =>This Inner Loop Header: Depth=1
	s_clause 0x1
	s_load_b64 s[10:11], s[4:5], 0x4
	s_load_b32 s14, s[4:5], 0xc
	s_load_b64 s[12:13], s[2:3], 0x0
	s_add_u32 s4, s4, 12
	s_addc_u32 s5, s5, 0
	s_add_u32 s2, s2, 8
	s_addc_u32 s3, s3, 0
	s_add_i32 s7, s7, -1
	s_delay_alu instid0(SALU_CYCLE_1) | instskip(SKIP_2) | instid1(VALU_DEP_1)
	s_cmp_lg_u32 s7, 0
	s_waitcnt lgkmcnt(0)
	v_mul_hi_u32 v10, s11, v8
	v_add_nc_u32_e32 v10, v8, v10
	s_delay_alu instid0(VALU_DEP_1) | instskip(NEXT) | instid1(VALU_DEP_1)
	v_lshrrev_b32_e32 v13, s14, v10
	v_mul_lo_u32 v10, v13, s10
	s_delay_alu instid0(VALU_DEP_1) | instskip(NEXT) | instid1(VALU_DEP_1)
	v_sub_nc_u32_e32 v8, v8, v10
	v_mad_u64_u32 v[10:11], null, v8, s12, v[0:1]
	v_mad_u64_u32 v[11:12], null, v8, s13, v[5:6]
	v_mov_b32_e32 v8, v13
	s_delay_alu instid0(VALU_DEP_2)
	v_dual_mov_b32 v0, v10 :: v_dual_mov_b32 v5, v11
	s_cbranch_scc1 .LBB31_1173
.LBB31_1174:
	s_and_not1_b32 vcc_lo, exec_lo, s6
	s_cbranch_vccnz .LBB31_1177
; %bb.1175:
	s_clause 0x1
	s_load_b128 s[4:7], s[16:17], 0x4
	s_load_b64 s[2:3], s[16:17], 0xc4
	s_cmp_lt_u32 s26, 2
	s_waitcnt lgkmcnt(0)
	v_mul_hi_u32 v0, s5, v9
	s_delay_alu instid0(VALU_DEP_1) | instskip(SKIP_1) | instid1(VALU_DEP_1)
	v_add_nc_u32_e32 v0, v9, v0
	s_waitcnt vmcnt(0)
	v_lshrrev_b32_e32 v8, s6, v0
	s_delay_alu instid0(VALU_DEP_1) | instskip(NEXT) | instid1(VALU_DEP_1)
	v_mul_lo_u32 v0, v8, s4
	v_sub_nc_u32_e32 v5, v9, v0
	s_delay_alu instid0(VALU_DEP_1)
	v_mul_lo_u32 v0, v5, s2
	v_mul_lo_u32 v5, v5, s3
	s_cbranch_scc1 .LBB31_1177
; %bb.1176:
	s_clause 0x1
	s_load_b128 s[4:7], s[16:17], 0x10
	s_load_b64 s[2:3], s[16:17], 0xcc
	s_waitcnt lgkmcnt(0)
	v_mul_hi_u32 v9, s5, v8
	s_delay_alu instid0(VALU_DEP_1) | instskip(NEXT) | instid1(VALU_DEP_1)
	v_add_nc_u32_e32 v9, v8, v9
	v_lshrrev_b32_e32 v9, s6, v9
	s_delay_alu instid0(VALU_DEP_1) | instskip(NEXT) | instid1(VALU_DEP_1)
	v_mul_lo_u32 v9, v9, s4
	v_sub_nc_u32_e32 v11, v8, v9
	s_delay_alu instid0(VALU_DEP_1) | instskip(SKIP_1) | instid1(VALU_DEP_1)
	v_mad_u64_u32 v[8:9], null, v11, s2, v[0:1]
	v_mad_u64_u32 v[9:10], null, v11, s3, v[5:6]
	v_dual_mov_b32 v0, v8 :: v_dual_mov_b32 v5, v9
.LBB31_1177:
	s_clause 0x1
	s_load_b32 s0, s[0:1], 0x168
	s_load_b128 s[4:7], s[16:17], 0x148
	s_mov_b32 s3, 0
	s_waitcnt lgkmcnt(0)
	s_lshr_b32 s0, s0, 8
	s_delay_alu instid0(SALU_CYCLE_1) | instskip(SKIP_2) | instid1(VALU_DEP_1)
	v_and_b32_e64 v10, 0xff, s0
	s_waitcnt vmcnt(0)
	v_add_co_u32 v8, s0, s6, v4
	v_add_co_ci_u32_e64 v9, null, s7, 0, s0
	s_delay_alu instid0(VALU_DEP_3)
	v_cmp_gt_i16_e32 vcc_lo, 11, v10
	s_cbranch_vccnz .LBB31_1184
; %bb.1178:
	v_cmp_lt_i16_e32 vcc_lo, 25, v10
	s_mov_b32 s1, 0
	s_cbranch_vccz .LBB31_1190
; %bb.1179:
	v_cmp_lt_i16_e32 vcc_lo, 28, v10
	s_cbranch_vccz .LBB31_1192
; %bb.1180:
	v_cmp_lt_i16_e32 vcc_lo, 43, v10
	;; [unrolled: 3-line block ×3, first 2 shown]
	s_cbranch_vccz .LBB31_1198
; %bb.1182:
	v_cmp_eq_u16_e32 vcc_lo, 46, v10
	s_mov_b32 s2, 0
	s_cbranch_vccz .LBB31_1240
; %bb.1183:
	global_load_b32 v4, v[8:9], off
	s_mov_b32 s0, 0
	s_mov_b32 s3, -1
	s_waitcnt vmcnt(0)
	v_lshlrev_b32_e32 v4, 16, v4
	s_branch .LBB31_1242
.LBB31_1184:
	s_mov_b32 s2, s8
                                        ; implicit-def: $vgpr4
	s_cbranch_execz .LBB31_1305
; %bb.1185:
	v_cmp_gt_i16_e32 vcc_lo, 5, v10
	s_cbranch_vccnz .LBB31_1191
; %bb.1186:
	v_cmp_gt_i16_e32 vcc_lo, 8, v10
	s_cbranch_vccnz .LBB31_1193
	;; [unrolled: 3-line block ×3, first 2 shown]
; %bb.1188:
	v_cmp_lt_i16_e32 vcc_lo, 9, v10
	s_cbranch_vccz .LBB31_1199
; %bb.1189:
	global_load_b64 v[11:12], v[8:9], off
	s_mov_b32 s0, 0
	s_waitcnt vmcnt(0)
	v_cvt_f32_f64_e32 v4, v[11:12]
	s_branch .LBB31_1200
.LBB31_1190:
	s_mov_b32 s0, 0
                                        ; implicit-def: $vgpr4
	s_cbranch_execnz .LBB31_1270
	s_branch .LBB31_1301
.LBB31_1191:
                                        ; implicit-def: $vgpr4
	s_branch .LBB31_1217
.LBB31_1192:
	s_mov_b32 s2, -1
	s_mov_b32 s0, 0
                                        ; implicit-def: $vgpr4
	s_branch .LBB31_1251
.LBB31_1193:
                                        ; implicit-def: $vgpr4
	s_branch .LBB31_1206
.LBB31_1194:
	s_mov_b32 s0, 0
                                        ; implicit-def: $vgpr4
	s_cbranch_execnz .LBB31_1247
	s_branch .LBB31_1250
.LBB31_1195:
	s_mov_b32 s0, -1
                                        ; implicit-def: $vgpr4
	s_branch .LBB31_1203
.LBB31_1196:
	s_cbranch_execnz .LBB31_1238
; %bb.1197:
	s_or_b32 s8, s8, exec_lo
	s_and_not1_b32 s7, s7, exec_lo
	s_or_b32 exec_lo, exec_lo, s2
	s_and_saveexec_b32 s2, s7
	s_delay_alu instid0(SALU_CYCLE_1)
	s_xor_b32 s2, exec_lo, s2
	s_cbranch_execnz .LBB31_1084
	s_branch .LBB31_1085
.LBB31_1198:
	s_mov_b32 s2, -1
	s_mov_b32 s0, 0
	s_branch .LBB31_1241
.LBB31_1199:
	s_mov_b32 s0, -1
                                        ; implicit-def: $vgpr4
.LBB31_1200:
	s_delay_alu instid0(SALU_CYCLE_1)
	s_and_not1_b32 vcc_lo, exec_lo, s0
	s_cbranch_vccnz .LBB31_1202
; %bb.1201:
	global_load_b32 v4, v[8:9], off
.LBB31_1202:
	s_mov_b32 s0, 0
.LBB31_1203:
	s_delay_alu instid0(SALU_CYCLE_1)
	s_and_not1_b32 vcc_lo, exec_lo, s0
	s_cbranch_vccnz .LBB31_1205
; %bb.1204:
	global_load_b32 v4, v[8:9], off
	s_waitcnt vmcnt(0)
	v_cvt_f32_f16_e32 v4, v4
.LBB31_1205:
	s_cbranch_execnz .LBB31_1216
.LBB31_1206:
	v_cmp_gt_i16_e32 vcc_lo, 6, v10
	s_cbranch_vccnz .LBB31_1209
; %bb.1207:
	v_cmp_lt_i16_e32 vcc_lo, 6, v10
	s_cbranch_vccz .LBB31_1210
; %bb.1208:
	global_load_b64 v[11:12], v[8:9], off
	s_mov_b32 s0, 0
	s_waitcnt vmcnt(0)
	v_cvt_f32_f64_e32 v4, v[11:12]
	s_branch .LBB31_1211
.LBB31_1209:
	s_mov_b32 s0, -1
                                        ; implicit-def: $vgpr4
	s_branch .LBB31_1214
.LBB31_1210:
	s_mov_b32 s0, -1
                                        ; implicit-def: $vgpr4
.LBB31_1211:
	s_delay_alu instid0(SALU_CYCLE_1)
	s_and_not1_b32 vcc_lo, exec_lo, s0
	s_cbranch_vccnz .LBB31_1213
; %bb.1212:
	global_load_b32 v4, v[8:9], off
.LBB31_1213:
	s_mov_b32 s0, 0
.LBB31_1214:
	s_delay_alu instid0(SALU_CYCLE_1)
	s_and_not1_b32 vcc_lo, exec_lo, s0
	s_cbranch_vccnz .LBB31_1216
; %bb.1215:
	global_load_u16 v4, v[8:9], off
	s_waitcnt vmcnt(0)
	v_cvt_f32_f16_e32 v4, v4
.LBB31_1216:
	s_cbranch_execnz .LBB31_1235
.LBB31_1217:
	v_cmp_gt_i16_e32 vcc_lo, 2, v10
	s_cbranch_vccnz .LBB31_1221
; %bb.1218:
	v_cmp_gt_i16_e32 vcc_lo, 3, v10
	s_cbranch_vccnz .LBB31_1222
; %bb.1219:
	v_cmp_lt_i16_e32 vcc_lo, 3, v10
	s_cbranch_vccz .LBB31_1223
; %bb.1220:
	global_load_b64 v[11:12], v[8:9], off
	s_mov_b32 s0, 0
	s_waitcnt vmcnt(0)
	v_xor_b32_e32 v4, v11, v12
	v_cls_i32_e32 v13, v12
	s_delay_alu instid0(VALU_DEP_2) | instskip(NEXT) | instid1(VALU_DEP_2)
	v_ashrrev_i32_e32 v4, 31, v4
	v_add_nc_u32_e32 v13, -1, v13
	s_delay_alu instid0(VALU_DEP_2) | instskip(NEXT) | instid1(VALU_DEP_1)
	v_add_nc_u32_e32 v4, 32, v4
	v_min_u32_e32 v4, v13, v4
	s_delay_alu instid0(VALU_DEP_1) | instskip(SKIP_1) | instid1(VALU_DEP_2)
	v_lshlrev_b64 v[11:12], v4, v[11:12]
	v_sub_nc_u32_e32 v4, 32, v4
	v_min_u32_e32 v11, 1, v11
	s_delay_alu instid0(VALU_DEP_1) | instskip(NEXT) | instid1(VALU_DEP_1)
	v_or_b32_e32 v11, v12, v11
	v_cvt_f32_i32_e32 v11, v11
	s_delay_alu instid0(VALU_DEP_1)
	v_ldexp_f32 v4, v11, v4
	s_branch .LBB31_1224
.LBB31_1221:
                                        ; implicit-def: $vgpr4
	s_branch .LBB31_1230
.LBB31_1222:
	s_mov_b32 s0, -1
                                        ; implicit-def: $vgpr4
	s_branch .LBB31_1227
.LBB31_1223:
	s_mov_b32 s0, -1
                                        ; implicit-def: $vgpr4
.LBB31_1224:
	s_delay_alu instid0(SALU_CYCLE_1)
	s_and_not1_b32 vcc_lo, exec_lo, s0
	s_cbranch_vccnz .LBB31_1226
; %bb.1225:
	global_load_b32 v4, v[8:9], off
	s_waitcnt vmcnt(0)
	v_cvt_f32_i32_e32 v4, v4
.LBB31_1226:
	s_mov_b32 s0, 0
.LBB31_1227:
	s_delay_alu instid0(SALU_CYCLE_1)
	s_and_not1_b32 vcc_lo, exec_lo, s0
	s_cbranch_vccnz .LBB31_1229
; %bb.1228:
	global_load_i16 v4, v[8:9], off
	s_waitcnt vmcnt(0)
	v_cvt_f32_i32_e32 v4, v4
.LBB31_1229:
	s_cbranch_execnz .LBB31_1235
.LBB31_1230:
	v_cmp_lt_i16_e32 vcc_lo, 0, v10
	s_mov_b32 s0, 0
	s_cbranch_vccz .LBB31_1232
; %bb.1231:
	global_load_i8 v4, v[8:9], off
	s_waitcnt vmcnt(0)
	v_cvt_f32_i32_e32 v4, v4
	s_branch .LBB31_1233
.LBB31_1232:
	s_mov_b32 s0, -1
                                        ; implicit-def: $vgpr4
.LBB31_1233:
	s_delay_alu instid0(SALU_CYCLE_1)
	s_and_not1_b32 vcc_lo, exec_lo, s0
	s_cbranch_vccnz .LBB31_1235
; %bb.1234:
	global_load_u8 v4, v[8:9], off
	s_waitcnt vmcnt(0)
	v_cvt_f32_ubyte0_e32 v4, v4
.LBB31_1235:
	s_branch .LBB31_1306
.LBB31_1236:
	s_trap 2
	s_sendmsg_rtn_b32 s0, sendmsg(MSG_RTN_GET_DOORBELL)
	s_mov_b32 ttmp2, m0
	s_waitcnt lgkmcnt(0)
	s_and_b32 s0, s0, 0x3ff
	s_delay_alu instid0(SALU_CYCLE_1) | instskip(NEXT) | instid1(SALU_CYCLE_1)
	s_bitset1_b32 s0, 10
	s_mov_b32 m0, s0
	s_sendmsg sendmsg(MSG_INTERRUPT)
	s_mov_b32 m0, ttmp2
.LBB31_1237:                            ; =>This Inner Loop Header: Depth=1
	s_sethalt 5
	s_branch .LBB31_1237
.LBB31_1238:
	s_trap 2
	s_sendmsg_rtn_b32 s0, sendmsg(MSG_RTN_GET_DOORBELL)
	s_mov_b32 ttmp2, m0
	s_waitcnt lgkmcnt(0)
	s_and_b32 s0, s0, 0x3ff
	s_delay_alu instid0(SALU_CYCLE_1) | instskip(NEXT) | instid1(SALU_CYCLE_1)
	s_bitset1_b32 s0, 10
	s_mov_b32 m0, s0
	s_sendmsg sendmsg(MSG_INTERRUPT)
	s_mov_b32 m0, ttmp2
.LBB31_1239:                            ; =>This Inner Loop Header: Depth=1
	s_sethalt 5
	s_branch .LBB31_1239
.LBB31_1240:
	s_mov_b32 s0, -1
.LBB31_1241:
                                        ; implicit-def: $vgpr4
.LBB31_1242:
	s_and_b32 vcc_lo, exec_lo, s2
	s_cbranch_vccz .LBB31_1245
; %bb.1243:
	v_cmp_eq_u16_e32 vcc_lo, 44, v10
	s_cbranch_vccz .LBB31_1246
; %bb.1244:
	global_load_u8 v4, v[8:9], off
	s_mov_b32 s0, 0
	s_mov_b32 s3, -1
	s_waitcnt vmcnt(0)
	v_lshlrev_b32_e32 v11, 23, v4
	v_cmp_ne_u32_e32 vcc_lo, 0xff, v4
	s_delay_alu instid0(VALU_DEP_2) | instskip(SKIP_1) | instid1(VALU_DEP_2)
	v_cndmask_b32_e32 v11, 0x7f800001, v11, vcc_lo
	v_cmp_ne_u32_e32 vcc_lo, 0, v4
	v_cndmask_b32_e32 v4, 0x400000, v11, vcc_lo
.LBB31_1245:
	s_branch .LBB31_1250
.LBB31_1246:
	s_mov_b32 s0, -1
                                        ; implicit-def: $vgpr4
	s_branch .LBB31_1250
.LBB31_1247:
	v_cmp_eq_u16_e32 vcc_lo, 29, v10
	s_cbranch_vccz .LBB31_1249
; %bb.1248:
	global_load_b64 v[11:12], v[8:9], off
	s_mov_b32 s0, 0
	s_mov_b32 s3, -1
	s_mov_b32 s2, 0
	s_waitcnt vmcnt(0)
	v_clz_i32_u32_e32 v4, v12
	s_delay_alu instid0(VALU_DEP_1) | instskip(NEXT) | instid1(VALU_DEP_1)
	v_min_u32_e32 v4, 32, v4
	v_lshlrev_b64 v[11:12], v4, v[11:12]
	v_sub_nc_u32_e32 v4, 32, v4
	s_delay_alu instid0(VALU_DEP_2) | instskip(NEXT) | instid1(VALU_DEP_1)
	v_min_u32_e32 v11, 1, v11
	v_or_b32_e32 v11, v12, v11
	s_delay_alu instid0(VALU_DEP_1) | instskip(NEXT) | instid1(VALU_DEP_1)
	v_cvt_f32_u32_e32 v11, v11
	v_ldexp_f32 v4, v11, v4
	s_branch .LBB31_1251
.LBB31_1249:
	s_mov_b32 s0, -1
                                        ; implicit-def: $vgpr4
.LBB31_1250:
	s_mov_b32 s2, 0
.LBB31_1251:
	s_delay_alu instid0(SALU_CYCLE_1)
	s_and_b32 vcc_lo, exec_lo, s2
	s_cbranch_vccz .LBB31_1269
; %bb.1252:
	v_cmp_gt_i16_e32 vcc_lo, 27, v10
	s_cbranch_vccnz .LBB31_1255
; %bb.1253:
	v_cmp_lt_i16_e32 vcc_lo, 27, v10
	s_cbranch_vccz .LBB31_1256
; %bb.1254:
	global_load_b32 v4, v[8:9], off
	s_mov_b32 s2, 0
	s_waitcnt vmcnt(0)
	v_cvt_f32_u32_e32 v4, v4
	s_branch .LBB31_1257
.LBB31_1255:
	s_mov_b32 s2, -1
                                        ; implicit-def: $vgpr4
	s_branch .LBB31_1260
.LBB31_1256:
	s_mov_b32 s2, -1
                                        ; implicit-def: $vgpr4
.LBB31_1257:
	s_delay_alu instid0(SALU_CYCLE_1)
	s_and_not1_b32 vcc_lo, exec_lo, s2
	s_cbranch_vccnz .LBB31_1259
; %bb.1258:
	global_load_u16 v4, v[8:9], off
	s_waitcnt vmcnt(0)
	v_cvt_f32_u32_e32 v4, v4
.LBB31_1259:
	s_mov_b32 s2, 0
.LBB31_1260:
	s_delay_alu instid0(SALU_CYCLE_1)
	s_and_not1_b32 vcc_lo, exec_lo, s2
	s_cbranch_vccnz .LBB31_1268
; %bb.1261:
	global_load_u8 v11, v[8:9], off
	s_mov_b32 s2, 0
	s_mov_b32 s10, exec_lo
                                        ; implicit-def: $sgpr3
	s_waitcnt vmcnt(0)
	v_cmpx_lt_i16_e32 0x7f, v11
	s_xor_b32 s10, exec_lo, s10
	s_cbranch_execz .LBB31_1281
; %bb.1262:
	s_mov_b32 s2, -1
	s_mov_b32 s11, exec_lo
                                        ; implicit-def: $sgpr3
	v_cmpx_eq_u16_e32 0x80, v11
; %bb.1263:
	s_mov_b32 s3, 0x7f800001
	s_xor_b32 s2, exec_lo, -1
; %bb.1264:
	s_or_b32 exec_lo, exec_lo, s11
	s_delay_alu instid0(SALU_CYCLE_1)
	s_and_b32 s2, s2, exec_lo
	s_or_saveexec_b32 s10, s10
	v_mov_b32_e32 v4, s3
	s_xor_b32 exec_lo, exec_lo, s10
	s_cbranch_execnz .LBB31_1282
.LBB31_1265:
	s_or_b32 exec_lo, exec_lo, s10
	s_and_saveexec_b32 s3, s2
	s_cbranch_execz .LBB31_1267
.LBB31_1266:
	v_and_b32_e32 v4, 0xffff, v11
	s_delay_alu instid0(VALU_DEP_1) | instskip(NEXT) | instid1(VALU_DEP_1)
	v_and_b32_e32 v12, 7, v4
	v_clz_i32_u32_e32 v13, v12
	s_delay_alu instid0(VALU_DEP_1) | instskip(NEXT) | instid1(VALU_DEP_1)
	v_min_u32_e32 v13, 32, v13
	v_subrev_nc_u32_e32 v14, 28, v13
	v_sub_nc_u32_e32 v13, 29, v13
	s_delay_alu instid0(VALU_DEP_2) | instskip(SKIP_1) | instid1(VALU_DEP_2)
	v_lshlrev_b32_e32 v14, v14, v4
	v_bfe_u32 v4, v4, 3, 4
	v_and_b32_e32 v14, 7, v14
	s_delay_alu instid0(VALU_DEP_2) | instskip(SKIP_1) | instid1(VALU_DEP_1)
	v_cmp_eq_u32_e32 vcc_lo, 0, v4
	v_dual_cndmask_b32 v4, v4, v13 :: v_dual_lshlrev_b32 v11, 24, v11
	v_dual_cndmask_b32 v12, v12, v14 :: v_dual_and_b32 v11, 0x80000000, v11
	s_delay_alu instid0(VALU_DEP_2) | instskip(NEXT) | instid1(VALU_DEP_2)
	v_lshl_add_u32 v4, v4, 23, 0x3b800000
	v_lshlrev_b32_e32 v12, 20, v12
	s_delay_alu instid0(VALU_DEP_1)
	v_or3_b32 v4, v11, v4, v12
.LBB31_1267:
	s_or_b32 exec_lo, exec_lo, s3
.LBB31_1268:
	s_mov_b32 s3, -1
.LBB31_1269:
	s_branch .LBB31_1301
.LBB31_1270:
	v_cmp_lt_i16_e32 vcc_lo, 22, v10
	s_cbranch_vccz .LBB31_1280
; %bb.1271:
	v_cmp_gt_i16_e32 vcc_lo, 24, v10
	s_cbranch_vccnz .LBB31_1283
; %bb.1272:
	v_cmp_lt_i16_e32 vcc_lo, 24, v10
	s_cbranch_vccz .LBB31_1284
; %bb.1273:
	global_load_u8 v11, v[8:9], off
	s_mov_b32 s3, exec_lo
                                        ; implicit-def: $sgpr2
	s_waitcnt vmcnt(0)
	v_cmpx_lt_i16_e32 0x7f, v11
	s_xor_b32 s3, exec_lo, s3
	s_cbranch_execz .LBB31_1295
; %bb.1274:
	s_mov_b32 s1, -1
	s_mov_b32 s10, exec_lo
                                        ; implicit-def: $sgpr2
	v_cmpx_eq_u16_e32 0x80, v11
; %bb.1275:
	s_mov_b32 s2, 0x7f800001
	s_xor_b32 s1, exec_lo, -1
; %bb.1276:
	s_or_b32 exec_lo, exec_lo, s10
	s_delay_alu instid0(SALU_CYCLE_1)
	s_and_b32 s1, s1, exec_lo
	s_or_saveexec_b32 s3, s3
	v_mov_b32_e32 v4, s2
	s_xor_b32 exec_lo, exec_lo, s3
	s_cbranch_execnz .LBB31_1296
.LBB31_1277:
	s_or_b32 exec_lo, exec_lo, s3
	s_and_saveexec_b32 s2, s1
	s_cbranch_execz .LBB31_1279
.LBB31_1278:
	v_and_b32_e32 v4, 0xffff, v11
	s_delay_alu instid0(VALU_DEP_1) | instskip(NEXT) | instid1(VALU_DEP_1)
	v_and_b32_e32 v12, 3, v4
	v_clz_i32_u32_e32 v13, v12
	s_delay_alu instid0(VALU_DEP_1) | instskip(NEXT) | instid1(VALU_DEP_1)
	v_min_u32_e32 v13, 32, v13
	v_subrev_nc_u32_e32 v14, 29, v13
	v_sub_nc_u32_e32 v13, 30, v13
	s_delay_alu instid0(VALU_DEP_2) | instskip(SKIP_1) | instid1(VALU_DEP_2)
	v_lshlrev_b32_e32 v14, v14, v4
	v_bfe_u32 v4, v4, 2, 5
	v_and_b32_e32 v14, 3, v14
	s_delay_alu instid0(VALU_DEP_2) | instskip(SKIP_1) | instid1(VALU_DEP_1)
	v_cmp_eq_u32_e32 vcc_lo, 0, v4
	v_dual_cndmask_b32 v4, v4, v13 :: v_dual_lshlrev_b32 v11, 24, v11
	v_dual_cndmask_b32 v12, v12, v14 :: v_dual_and_b32 v11, 0x80000000, v11
	s_delay_alu instid0(VALU_DEP_2) | instskip(NEXT) | instid1(VALU_DEP_2)
	v_lshl_add_u32 v4, v4, 23, 0x37800000
	v_lshlrev_b32_e32 v12, 21, v12
	s_delay_alu instid0(VALU_DEP_1)
	v_or3_b32 v4, v11, v4, v12
.LBB31_1279:
	s_or_b32 exec_lo, exec_lo, s2
	s_mov_b32 s1, 0
	s_branch .LBB31_1285
.LBB31_1280:
                                        ; implicit-def: $vgpr4
	s_mov_b32 s1, 0
	s_branch .LBB31_1291
.LBB31_1281:
	s_or_saveexec_b32 s10, s10
	v_mov_b32_e32 v4, s3
	s_xor_b32 exec_lo, exec_lo, s10
	s_cbranch_execz .LBB31_1265
.LBB31_1282:
	v_cmp_ne_u16_e32 vcc_lo, 0, v11
	v_mov_b32_e32 v4, 0
	s_and_not1_b32 s2, s2, exec_lo
	s_and_b32 s3, vcc_lo, exec_lo
	s_delay_alu instid0(SALU_CYCLE_1)
	s_or_b32 s2, s2, s3
	s_or_b32 exec_lo, exec_lo, s10
	s_and_saveexec_b32 s3, s2
	s_cbranch_execnz .LBB31_1266
	s_branch .LBB31_1267
.LBB31_1283:
	s_mov_b32 s1, -1
                                        ; implicit-def: $vgpr4
	s_branch .LBB31_1288
.LBB31_1284:
	s_mov_b32 s1, -1
                                        ; implicit-def: $vgpr4
.LBB31_1285:
	s_delay_alu instid0(SALU_CYCLE_1)
	s_and_b32 vcc_lo, exec_lo, s1
	s_cbranch_vccz .LBB31_1287
; %bb.1286:
	global_load_u8 v4, v[8:9], off
	s_waitcnt vmcnt(0)
	v_lshlrev_b32_e32 v4, 24, v4
	s_delay_alu instid0(VALU_DEP_1) | instskip(NEXT) | instid1(VALU_DEP_1)
	v_and_b32_e32 v11, 0x7f000000, v4
	v_clz_i32_u32_e32 v12, v11
	v_cmp_ne_u32_e32 vcc_lo, 0, v11
	v_add_nc_u32_e32 v14, 0x1000000, v11
	s_delay_alu instid0(VALU_DEP_3) | instskip(NEXT) | instid1(VALU_DEP_1)
	v_min_u32_e32 v12, 32, v12
	v_sub_nc_u32_e64 v12, v12, 4 clamp
	s_delay_alu instid0(VALU_DEP_1) | instskip(SKIP_1) | instid1(VALU_DEP_2)
	v_lshlrev_b32_e32 v13, v12, v11
	v_lshlrev_b32_e32 v12, 23, v12
	v_lshrrev_b32_e32 v13, 4, v13
	s_delay_alu instid0(VALU_DEP_1) | instskip(SKIP_1) | instid1(VALU_DEP_2)
	v_sub_nc_u32_e32 v12, v13, v12
	v_ashrrev_i32_e32 v13, 8, v14
	v_add_nc_u32_e32 v12, 0x3c000000, v12
	s_delay_alu instid0(VALU_DEP_1) | instskip(NEXT) | instid1(VALU_DEP_1)
	v_and_or_b32 v12, 0x7f800000, v13, v12
	v_cndmask_b32_e32 v11, 0, v12, vcc_lo
	s_delay_alu instid0(VALU_DEP_1)
	v_and_or_b32 v4, 0x80000000, v4, v11
.LBB31_1287:
	s_mov_b32 s1, 0
.LBB31_1288:
	s_delay_alu instid0(SALU_CYCLE_1)
	s_and_not1_b32 vcc_lo, exec_lo, s1
	s_cbranch_vccnz .LBB31_1290
; %bb.1289:
	global_load_u8 v4, v[8:9], off
	s_waitcnt vmcnt(0)
	v_lshlrev_b32_e32 v11, 25, v4
	v_lshlrev_b16 v4, 8, v4
	s_delay_alu instid0(VALU_DEP_2) | instskip(NEXT) | instid1(VALU_DEP_2)
	v_lshrrev_b32_e32 v12, 4, v11
	v_and_or_b32 v13, 0x7f00, v4, 0.5
	v_cmp_gt_u32_e32 vcc_lo, 0x8000000, v11
	v_bfe_i32 v4, v4, 0, 16
	s_delay_alu instid0(VALU_DEP_4) | instskip(NEXT) | instid1(VALU_DEP_1)
	v_or_b32_e32 v12, 0x70000000, v12
	v_dual_add_f32 v13, -0.5, v13 :: v_dual_mul_f32 v12, 0x7800000, v12
	s_delay_alu instid0(VALU_DEP_1) | instskip(NEXT) | instid1(VALU_DEP_1)
	v_cndmask_b32_e32 v11, v12, v13, vcc_lo
	v_and_or_b32 v4, 0x80000000, v4, v11
.LBB31_1290:
	s_mov_b32 s3, -1
	s_mov_b32 s1, 0
	s_cbranch_execnz .LBB31_1301
.LBB31_1291:
	v_cmp_lt_i16_e32 vcc_lo, 14, v10
	s_cbranch_vccz .LBB31_1294
; %bb.1292:
	v_cmp_eq_u16_e32 vcc_lo, 15, v10
	s_cbranch_vccz .LBB31_1297
; %bb.1293:
	global_load_u16 v4, v[8:9], off
	s_mov_b32 s0, 0
	s_mov_b32 s3, -1
	s_waitcnt vmcnt(0)
	v_lshlrev_b32_e32 v4, 16, v4
	s_branch .LBB31_1299
.LBB31_1294:
	s_mov_b32 s1, -1
	s_branch .LBB31_1298
.LBB31_1295:
	s_or_saveexec_b32 s3, s3
	v_mov_b32_e32 v4, s2
	s_xor_b32 exec_lo, exec_lo, s3
	s_cbranch_execz .LBB31_1277
.LBB31_1296:
	v_cmp_ne_u16_e32 vcc_lo, 0, v11
	v_mov_b32_e32 v4, 0
	s_and_not1_b32 s1, s1, exec_lo
	s_and_b32 s2, vcc_lo, exec_lo
	s_delay_alu instid0(SALU_CYCLE_1)
	s_or_b32 s1, s1, s2
	s_or_b32 exec_lo, exec_lo, s3
	s_and_saveexec_b32 s2, s1
	s_cbranch_execnz .LBB31_1278
	s_branch .LBB31_1279
.LBB31_1297:
	s_mov_b32 s0, -1
.LBB31_1298:
                                        ; implicit-def: $vgpr4
.LBB31_1299:
	s_and_b32 vcc_lo, exec_lo, s1
	s_mov_b32 s1, 0
	s_cbranch_vccz .LBB31_1301
; %bb.1300:
	v_cmp_ne_u16_e64 s0, 11, v10
	s_mov_b32 s1, -1
                                        ; implicit-def: $vgpr4
.LBB31_1301:
	s_delay_alu instid0(VALU_DEP_1)
	s_and_b32 vcc_lo, exec_lo, s0
	s_mov_b32 s2, s8
	s_cbranch_vccnz .LBB31_1337
; %bb.1302:
	s_and_not1_b32 vcc_lo, exec_lo, s1
	s_cbranch_vccnz .LBB31_1304
.LBB31_1303:
	global_load_u8 v4, v[8:9], off
	s_mov_b32 s3, -1
	s_waitcnt vmcnt(0)
	v_cmp_ne_u16_e32 vcc_lo, 0, v4
	v_cndmask_b32_e64 v4, 0, 1.0, vcc_lo
.LBB31_1304:
.LBB31_1305:
	s_and_not1_b32 vcc_lo, exec_lo, s3
	s_cbranch_vccnz .LBB31_1763
.LBB31_1306:
	s_waitcnt vmcnt(0)
	s_delay_alu instid0(VALU_DEP_1) | instskip(SKIP_2) | instid1(VALU_DEP_1)
	v_trunc_f32_e32 v8, v4
	s_load_b32 s3, s[16:17], 0x15c
	s_mov_b32 s10, exec_lo
	v_mul_f32_e64 v9, 0x2f800000, |v8|
	s_delay_alu instid0(VALU_DEP_1) | instskip(NEXT) | instid1(VALU_DEP_1)
	v_floor_f32_e32 v9, v9
	v_fma_f32 v11, 0xcf800000, v9, |v8|
	v_ashrrev_i32_e32 v8, 31, v8
	v_cvt_u32_f32_e32 v9, v9
	s_delay_alu instid0(VALU_DEP_3) | instskip(NEXT) | instid1(VALU_DEP_2)
	v_cvt_u32_f32_e32 v11, v11
	v_xor_b32_e32 v9, v9, v8
	s_delay_alu instid0(VALU_DEP_2) | instskip(NEXT) | instid1(VALU_DEP_1)
	v_xor_b32_e32 v11, v11, v8
	v_sub_co_u32 v11, vcc_lo, v11, v8
	s_delay_alu instid0(VALU_DEP_3) | instskip(SKIP_1) | instid1(VALU_DEP_2)
	v_sub_co_ci_u32_e32 v8, vcc_lo, v9, v8, vcc_lo
	v_cmp_class_f32_e64 vcc_lo, v4, 0x1f8
	v_dual_mov_b32 v4, 0 :: v_dual_cndmask_b32 v9, -1, v8
	s_delay_alu instid0(VALU_DEP_4) | instskip(NEXT) | instid1(VALU_DEP_1)
	v_cndmask_b32_e32 v8, -1, v11, vcc_lo
	v_cmpx_lt_i64_e32 -1, v[8:9]
	s_cbranch_execz .LBB31_1318
; %bb.1307:
	v_mov_b32_e32 v4, 1.0
	s_mov_b32 s11, exec_lo
	v_cmpx_lt_i64_e32 0, v[8:9]
	s_cbranch_execz .LBB31_1317
; %bb.1308:
                                        ; implicit-def: $vgpr4
	s_mov_b32 s0, exec_lo
	v_cmpx_ne_u64_e32 1, v[8:9]
	s_xor_b32 s12, exec_lo, s0
	s_cbranch_execz .LBB31_1314
; %bb.1309:
	v_mov_b32_e32 v4, 0x7fc00000
	s_mov_b32 s13, exec_lo
	v_cmpx_gt_u64_e32 0x81, v[8:9]
	s_cbranch_execz .LBB31_1313
; %bb.1310:
	s_waitcnt lgkmcnt(0)
	v_add_f32_e64 v11, s3, s3
	v_lshlrev_b64 v[8:9], 1, v[8:9]
	v_mov_b32_e32 v12, 1.0
	s_mov_b64 s[0:1], 2
	s_mov_b32 s14, 0
	v_mov_b32_e32 v4, v11
	.p2align	6
.LBB31_1311:                            ; =>This Inner Loop Header: Depth=1
	s_clz_i32_u32 s15, s1
	s_delay_alu instid0(SALU_CYCLE_1) | instskip(NEXT) | instid1(SALU_CYCLE_1)
	s_min_u32 s15, s15, 32
	s_lshl_b64 s[18:19], s[0:1], s15
	s_sub_i32 s15, 32, s15
	s_min_u32 s18, s18, 1
	s_delay_alu instid0(SALU_CYCLE_1) | instskip(SKIP_3) | instid1(SALU_CYCLE_1)
	s_or_b32 s18, s19, s18
	s_add_u32 s0, s0, 2
	v_cvt_f32_u32_e32 v13, s18
	s_addc_u32 s1, s1, 0
	v_cmp_ge_u64_e32 vcc_lo, s[0:1], v[8:9]
	s_delay_alu instid0(VALU_DEP_2) | instskip(SKIP_1) | instid1(VALU_DEP_1)
	v_ldexp_f32 v13, v13, s15
	s_or_b32 s14, vcc_lo, s14
	v_mul_f32_e32 v13, v12, v13
	v_mov_b32_e32 v12, v4
	s_delay_alu instid0(VALU_DEP_2)
	v_fma_f32 v4, v11, v4, -v13
	s_and_not1_b32 exec_lo, exec_lo, s14
	s_cbranch_execnz .LBB31_1311
; %bb.1312:
	s_or_b32 exec_lo, exec_lo, s14
.LBB31_1313:
	s_delay_alu instid0(SALU_CYCLE_1)
	s_or_b32 exec_lo, exec_lo, s13
.LBB31_1314:
	s_and_not1_saveexec_b32 s0, s12
	s_cbranch_execz .LBB31_1316
; %bb.1315:
	s_waitcnt lgkmcnt(0)
	v_add_f32_e64 v4, s3, s3
.LBB31_1316:
	s_or_b32 exec_lo, exec_lo, s0
.LBB31_1317:
	s_delay_alu instid0(SALU_CYCLE_1)
	s_or_b32 exec_lo, exec_lo, s11
.LBB31_1318:
	s_delay_alu instid0(SALU_CYCLE_1) | instskip(SKIP_2) | instid1(VALU_DEP_1)
	s_or_b32 exec_lo, exec_lo, s10
	v_cmp_gt_i16_e32 vcc_lo, 11, v10
	v_add_co_u32 v8, s0, s6, v6
	v_add_co_ci_u32_e64 v9, null, s7, 0, s0
	s_mov_b32 s10, 0
	s_cbranch_vccnz .LBB31_1325
; %bb.1319:
	v_cmp_lt_i16_e32 vcc_lo, 25, v10
	s_mov_b32 s1, 0
	s_cbranch_vccz .LBB31_1331
; %bb.1320:
	v_cmp_lt_i16_e32 vcc_lo, 28, v10
	s_cbranch_vccz .LBB31_1333
; %bb.1321:
	v_cmp_lt_i16_e32 vcc_lo, 43, v10
	;; [unrolled: 3-line block ×3, first 2 shown]
	s_cbranch_vccz .LBB31_1341
; %bb.1323:
	v_cmp_eq_u16_e32 vcc_lo, 46, v10
	s_mov_b32 s11, 0
	s_cbranch_vccz .LBB31_1385
; %bb.1324:
	global_load_b32 v6, v[8:9], off
	s_mov_b32 s0, 0
	s_mov_b32 s10, -1
	s_waitcnt vmcnt(0)
	v_lshlrev_b32_e32 v6, 16, v6
	s_branch .LBB31_1387
.LBB31_1325:
                                        ; implicit-def: $vgpr6
	s_cbranch_execz .LBB31_1452
; %bb.1326:
	v_cmp_gt_i16_e32 vcc_lo, 5, v10
	s_cbranch_vccnz .LBB31_1332
; %bb.1327:
	v_cmp_gt_i16_e32 vcc_lo, 8, v10
	s_cbranch_vccnz .LBB31_1334
	;; [unrolled: 3-line block ×3, first 2 shown]
; %bb.1329:
	v_cmp_lt_i16_e32 vcc_lo, 9, v10
	s_cbranch_vccz .LBB31_1342
; %bb.1330:
	global_load_b64 v[11:12], v[8:9], off
	s_mov_b32 s0, 0
	s_waitcnt vmcnt(0)
	v_cvt_f32_f64_e32 v6, v[11:12]
	s_branch .LBB31_1343
.LBB31_1331:
	s_mov_b32 s0, 0
                                        ; implicit-def: $vgpr6
	s_cbranch_execnz .LBB31_1416
	s_branch .LBB31_1448
.LBB31_1332:
                                        ; implicit-def: $vgpr6
	s_branch .LBB31_1361
.LBB31_1333:
	s_mov_b32 s11, -1
	s_mov_b32 s0, 0
                                        ; implicit-def: $vgpr6
	s_branch .LBB31_1397
.LBB31_1334:
	s_mov_b32 s0, -1
                                        ; implicit-def: $vgpr6
	s_branch .LBB31_1349
.LBB31_1335:
	s_mov_b32 s11, -1
	s_mov_b32 s0, 0
                                        ; implicit-def: $vgpr6
	s_branch .LBB31_1392
.LBB31_1336:
	s_mov_b32 s0, -1
                                        ; implicit-def: $vgpr6
	s_branch .LBB31_1346
.LBB31_1337:
	s_cbranch_execnz .LBB31_1381
; %bb.1338:
	s_or_b32 s2, s8, exec_lo
                                        ; implicit-def: $vgpr4
	s_cbranch_execz .LBB31_1303
	s_branch .LBB31_1304
.LBB31_1339:
	s_or_saveexec_b32 s5, s5
                                        ; implicit-def: $sgpr6
	s_delay_alu instid0(SALU_CYCLE_1)
	s_xor_b32 exec_lo, exec_lo, s5
	s_cbranch_execz .LBB31_1035
.LBB31_1340:
	v_add_f32_e64 v0, 0x46000000, |v1|
	s_and_not1_b32 s4, s4, exec_lo
	s_mov_b32 s6, 0
	s_delay_alu instid0(VALU_DEP_1) | instskip(NEXT) | instid1(VALU_DEP_1)
	v_and_b32_e32 v0, 0xff, v0
	v_cmp_ne_u32_e32 vcc_lo, 0, v0
	s_and_b32 s7, vcc_lo, exec_lo
	s_delay_alu instid0(SALU_CYCLE_1)
	s_or_b32 s4, s4, s7
	s_or_b32 exec_lo, exec_lo, s5
	v_mov_b32_e32 v2, s6
	s_and_saveexec_b32 s5, s4
	s_cbranch_execnz .LBB31_1036
	s_branch .LBB31_1037
.LBB31_1341:
	s_mov_b32 s11, -1
	s_mov_b32 s0, 0
	s_branch .LBB31_1386
.LBB31_1342:
	s_mov_b32 s0, -1
                                        ; implicit-def: $vgpr6
.LBB31_1343:
	s_delay_alu instid0(SALU_CYCLE_1)
	s_and_not1_b32 vcc_lo, exec_lo, s0
	s_cbranch_vccnz .LBB31_1345
; %bb.1344:
	global_load_b32 v6, v[8:9], off
.LBB31_1345:
	s_mov_b32 s0, 0
.LBB31_1346:
	s_delay_alu instid0(SALU_CYCLE_1)
	s_and_not1_b32 vcc_lo, exec_lo, s0
	s_cbranch_vccnz .LBB31_1348
; %bb.1347:
	global_load_b32 v6, v[8:9], off
	s_waitcnt vmcnt(0)
	v_cvt_f32_f16_e32 v6, v6
.LBB31_1348:
	s_mov_b32 s0, 0
.LBB31_1349:
	s_delay_alu instid0(SALU_CYCLE_1)
	s_and_not1_b32 vcc_lo, exec_lo, s0
	s_cbranch_vccnz .LBB31_1360
; %bb.1350:
	v_cmp_gt_i16_e32 vcc_lo, 6, v10
	s_cbranch_vccnz .LBB31_1353
; %bb.1351:
	v_cmp_lt_i16_e32 vcc_lo, 6, v10
	s_cbranch_vccz .LBB31_1354
; %bb.1352:
	global_load_b64 v[11:12], v[8:9], off
	s_mov_b32 s0, 0
	s_waitcnt vmcnt(0)
	v_cvt_f32_f64_e32 v6, v[11:12]
	s_branch .LBB31_1355
.LBB31_1353:
	s_mov_b32 s0, -1
                                        ; implicit-def: $vgpr6
	s_branch .LBB31_1358
.LBB31_1354:
	s_mov_b32 s0, -1
                                        ; implicit-def: $vgpr6
.LBB31_1355:
	s_delay_alu instid0(SALU_CYCLE_1)
	s_and_not1_b32 vcc_lo, exec_lo, s0
	s_cbranch_vccnz .LBB31_1357
; %bb.1356:
	global_load_b32 v6, v[8:9], off
.LBB31_1357:
	s_mov_b32 s0, 0
.LBB31_1358:
	s_delay_alu instid0(SALU_CYCLE_1)
	s_and_not1_b32 vcc_lo, exec_lo, s0
	s_cbranch_vccnz .LBB31_1360
; %bb.1359:
	global_load_u16 v6, v[8:9], off
	s_waitcnt vmcnt(0)
	v_cvt_f32_f16_e32 v6, v6
.LBB31_1360:
	s_cbranch_execnz .LBB31_1380
.LBB31_1361:
	v_cmp_gt_i16_e32 vcc_lo, 2, v10
	s_cbranch_vccnz .LBB31_1365
; %bb.1362:
	v_cmp_gt_i16_e32 vcc_lo, 3, v10
	s_cbranch_vccnz .LBB31_1366
; %bb.1363:
	v_cmp_lt_i16_e32 vcc_lo, 3, v10
	s_cbranch_vccz .LBB31_1367
; %bb.1364:
	global_load_b64 v[11:12], v[8:9], off
	s_mov_b32 s0, 0
	s_waitcnt vmcnt(0)
	v_xor_b32_e32 v6, v11, v12
	v_cls_i32_e32 v13, v12
	s_delay_alu instid0(VALU_DEP_2) | instskip(NEXT) | instid1(VALU_DEP_2)
	v_ashrrev_i32_e32 v6, 31, v6
	v_add_nc_u32_e32 v13, -1, v13
	s_delay_alu instid0(VALU_DEP_2) | instskip(NEXT) | instid1(VALU_DEP_1)
	v_add_nc_u32_e32 v6, 32, v6
	v_min_u32_e32 v6, v13, v6
	s_delay_alu instid0(VALU_DEP_1) | instskip(SKIP_1) | instid1(VALU_DEP_2)
	v_lshlrev_b64 v[11:12], v6, v[11:12]
	v_sub_nc_u32_e32 v6, 32, v6
	v_min_u32_e32 v11, 1, v11
	s_delay_alu instid0(VALU_DEP_1) | instskip(NEXT) | instid1(VALU_DEP_1)
	v_or_b32_e32 v11, v12, v11
	v_cvt_f32_i32_e32 v11, v11
	s_delay_alu instid0(VALU_DEP_1)
	v_ldexp_f32 v6, v11, v6
	s_branch .LBB31_1368
.LBB31_1365:
	s_mov_b32 s0, -1
                                        ; implicit-def: $vgpr6
	s_branch .LBB31_1374
.LBB31_1366:
	s_mov_b32 s0, -1
                                        ; implicit-def: $vgpr6
	s_branch .LBB31_1371
.LBB31_1367:
	s_mov_b32 s0, -1
                                        ; implicit-def: $vgpr6
.LBB31_1368:
	s_delay_alu instid0(SALU_CYCLE_1)
	s_and_not1_b32 vcc_lo, exec_lo, s0
	s_cbranch_vccnz .LBB31_1370
; %bb.1369:
	global_load_b32 v6, v[8:9], off
	s_waitcnt vmcnt(0)
	v_cvt_f32_i32_e32 v6, v6
.LBB31_1370:
	s_mov_b32 s0, 0
.LBB31_1371:
	s_delay_alu instid0(SALU_CYCLE_1)
	s_and_not1_b32 vcc_lo, exec_lo, s0
	s_cbranch_vccnz .LBB31_1373
; %bb.1372:
	global_load_i16 v6, v[8:9], off
	s_waitcnt vmcnt(0)
	v_cvt_f32_i32_e32 v6, v6
.LBB31_1373:
	s_mov_b32 s0, 0
.LBB31_1374:
	s_delay_alu instid0(SALU_CYCLE_1)
	s_and_not1_b32 vcc_lo, exec_lo, s0
	s_cbranch_vccnz .LBB31_1380
; %bb.1375:
	v_cmp_lt_i16_e32 vcc_lo, 0, v10
	s_mov_b32 s0, 0
	s_cbranch_vccz .LBB31_1377
; %bb.1376:
	global_load_i8 v6, v[8:9], off
	s_waitcnt vmcnt(0)
	v_cvt_f32_i32_e32 v6, v6
	s_branch .LBB31_1378
.LBB31_1377:
	s_mov_b32 s0, -1
                                        ; implicit-def: $vgpr6
.LBB31_1378:
	s_delay_alu instid0(SALU_CYCLE_1)
	s_and_not1_b32 vcc_lo, exec_lo, s0
	s_cbranch_vccnz .LBB31_1380
; %bb.1379:
	global_load_u8 v6, v[8:9], off
	s_waitcnt vmcnt(0)
	v_cvt_f32_ubyte0_e32 v6, v6
.LBB31_1380:
	s_branch .LBB31_1453
.LBB31_1381:
	s_trap 2
	s_sendmsg_rtn_b32 s0, sendmsg(MSG_RTN_GET_DOORBELL)
	s_mov_b32 ttmp2, m0
	s_waitcnt lgkmcnt(0)
	s_and_b32 s0, s0, 0x3ff
	s_delay_alu instid0(SALU_CYCLE_1) | instskip(NEXT) | instid1(SALU_CYCLE_1)
	s_bitset1_b32 s0, 10
	s_mov_b32 m0, s0
	s_sendmsg sendmsg(MSG_INTERRUPT)
	s_mov_b32 m0, ttmp2
.LBB31_1382:                            ; =>This Inner Loop Header: Depth=1
	s_sethalt 5
	s_branch .LBB31_1382
.LBB31_1383:
	s_or_saveexec_b32 s6, s6
                                        ; implicit-def: $sgpr7
	s_delay_alu instid0(SALU_CYCLE_1)
	s_xor_b32 exec_lo, exec_lo, s6
	s_cbranch_execz .LBB31_1047
.LBB31_1384:
	v_add_f32_e64 v0, 0x42800000, |v1|
	s_and_not1_b32 s5, s5, exec_lo
	s_mov_b32 s7, 0
	s_delay_alu instid0(VALU_DEP_1) | instskip(NEXT) | instid1(VALU_DEP_1)
	v_and_b32_e32 v0, 0xff, v0
	v_cmp_ne_u32_e32 vcc_lo, 0, v0
	s_and_b32 s10, vcc_lo, exec_lo
	s_delay_alu instid0(SALU_CYCLE_1)
	s_or_b32 s5, s5, s10
	s_or_b32 exec_lo, exec_lo, s6
	v_mov_b32_e32 v2, s7
	s_and_saveexec_b32 s6, s5
	s_cbranch_execnz .LBB31_1048
	s_branch .LBB31_1049
.LBB31_1385:
	s_mov_b32 s0, -1
.LBB31_1386:
                                        ; implicit-def: $vgpr6
.LBB31_1387:
	s_and_b32 vcc_lo, exec_lo, s11
	s_cbranch_vccz .LBB31_1391
; %bb.1388:
	v_cmp_eq_u16_e32 vcc_lo, 44, v10
	s_cbranch_vccz .LBB31_1390
; %bb.1389:
	global_load_u8 v6, v[8:9], off
	s_mov_b32 s0, 0
	s_mov_b32 s10, -1
	s_waitcnt vmcnt(0)
	v_lshlrev_b32_e32 v11, 23, v6
	v_cmp_ne_u32_e32 vcc_lo, 0xff, v6
	s_delay_alu instid0(VALU_DEP_2) | instskip(SKIP_1) | instid1(VALU_DEP_2)
	v_cndmask_b32_e32 v11, 0x7f800001, v11, vcc_lo
	v_cmp_ne_u32_e32 vcc_lo, 0, v6
	v_cndmask_b32_e32 v6, 0x400000, v11, vcc_lo
	s_branch .LBB31_1391
.LBB31_1390:
	s_mov_b32 s0, -1
                                        ; implicit-def: $vgpr6
.LBB31_1391:
	s_mov_b32 s11, 0
.LBB31_1392:
	s_delay_alu instid0(SALU_CYCLE_1)
	s_and_b32 vcc_lo, exec_lo, s11
	s_cbranch_vccz .LBB31_1396
; %bb.1393:
	v_cmp_eq_u16_e32 vcc_lo, 29, v10
	s_cbranch_vccz .LBB31_1395
; %bb.1394:
	global_load_b64 v[11:12], v[8:9], off
	s_mov_b32 s0, 0
	s_mov_b32 s10, -1
	s_mov_b32 s11, 0
	s_waitcnt vmcnt(0)
	v_clz_i32_u32_e32 v6, v12
	s_delay_alu instid0(VALU_DEP_1) | instskip(NEXT) | instid1(VALU_DEP_1)
	v_min_u32_e32 v6, 32, v6
	v_lshlrev_b64 v[11:12], v6, v[11:12]
	v_sub_nc_u32_e32 v6, 32, v6
	s_delay_alu instid0(VALU_DEP_2) | instskip(NEXT) | instid1(VALU_DEP_1)
	v_min_u32_e32 v11, 1, v11
	v_or_b32_e32 v11, v12, v11
	s_delay_alu instid0(VALU_DEP_1) | instskip(NEXT) | instid1(VALU_DEP_1)
	v_cvt_f32_u32_e32 v11, v11
	v_ldexp_f32 v6, v11, v6
	s_branch .LBB31_1397
.LBB31_1395:
	s_mov_b32 s0, -1
                                        ; implicit-def: $vgpr6
.LBB31_1396:
	s_mov_b32 s11, 0
.LBB31_1397:
	s_delay_alu instid0(SALU_CYCLE_1)
	s_and_b32 vcc_lo, exec_lo, s11
	s_cbranch_vccz .LBB31_1415
; %bb.1398:
	v_cmp_gt_i16_e32 vcc_lo, 27, v10
	s_cbranch_vccnz .LBB31_1401
; %bb.1399:
	v_cmp_lt_i16_e32 vcc_lo, 27, v10
	s_cbranch_vccz .LBB31_1402
; %bb.1400:
	global_load_b32 v6, v[8:9], off
	s_mov_b32 s10, 0
	s_waitcnt vmcnt(0)
	v_cvt_f32_u32_e32 v6, v6
	s_branch .LBB31_1403
.LBB31_1401:
	s_mov_b32 s10, -1
                                        ; implicit-def: $vgpr6
	s_branch .LBB31_1406
.LBB31_1402:
	s_mov_b32 s10, -1
                                        ; implicit-def: $vgpr6
.LBB31_1403:
	s_delay_alu instid0(SALU_CYCLE_1)
	s_and_not1_b32 vcc_lo, exec_lo, s10
	s_cbranch_vccnz .LBB31_1405
; %bb.1404:
	global_load_u16 v6, v[8:9], off
	s_waitcnt vmcnt(0)
	v_cvt_f32_u32_e32 v6, v6
.LBB31_1405:
	s_mov_b32 s10, 0
.LBB31_1406:
	s_delay_alu instid0(SALU_CYCLE_1)
	s_and_not1_b32 vcc_lo, exec_lo, s10
	s_cbranch_vccnz .LBB31_1414
; %bb.1407:
	global_load_u8 v11, v[8:9], off
	s_mov_b32 s10, 0
	s_mov_b32 s12, exec_lo
                                        ; implicit-def: $sgpr11
	s_waitcnt vmcnt(0)
	v_cmpx_lt_i16_e32 0x7f, v11
	s_xor_b32 s12, exec_lo, s12
	s_cbranch_execz .LBB31_1427
; %bb.1408:
	s_mov_b32 s10, -1
	s_mov_b32 s13, exec_lo
                                        ; implicit-def: $sgpr11
	v_cmpx_eq_u16_e32 0x80, v11
; %bb.1409:
	s_mov_b32 s11, 0x7f800001
	s_xor_b32 s10, exec_lo, -1
; %bb.1410:
	s_or_b32 exec_lo, exec_lo, s13
	s_delay_alu instid0(SALU_CYCLE_1)
	s_and_b32 s10, s10, exec_lo
	s_or_saveexec_b32 s12, s12
	v_mov_b32_e32 v6, s11
	s_xor_b32 exec_lo, exec_lo, s12
	s_cbranch_execnz .LBB31_1428
.LBB31_1411:
	s_or_b32 exec_lo, exec_lo, s12
	s_and_saveexec_b32 s11, s10
	s_cbranch_execz .LBB31_1413
.LBB31_1412:
	v_and_b32_e32 v6, 0xffff, v11
	s_delay_alu instid0(VALU_DEP_1) | instskip(NEXT) | instid1(VALU_DEP_1)
	v_and_b32_e32 v12, 7, v6
	v_clz_i32_u32_e32 v13, v12
	s_delay_alu instid0(VALU_DEP_1) | instskip(NEXT) | instid1(VALU_DEP_1)
	v_min_u32_e32 v13, 32, v13
	v_subrev_nc_u32_e32 v14, 28, v13
	v_sub_nc_u32_e32 v13, 29, v13
	s_delay_alu instid0(VALU_DEP_2) | instskip(SKIP_1) | instid1(VALU_DEP_2)
	v_lshlrev_b32_e32 v14, v14, v6
	v_bfe_u32 v6, v6, 3, 4
	v_and_b32_e32 v14, 7, v14
	s_delay_alu instid0(VALU_DEP_2) | instskip(SKIP_1) | instid1(VALU_DEP_1)
	v_cmp_eq_u32_e32 vcc_lo, 0, v6
	v_dual_cndmask_b32 v6, v6, v13 :: v_dual_lshlrev_b32 v11, 24, v11
	v_dual_cndmask_b32 v12, v12, v14 :: v_dual_and_b32 v11, 0x80000000, v11
	s_delay_alu instid0(VALU_DEP_2) | instskip(NEXT) | instid1(VALU_DEP_2)
	v_lshl_add_u32 v6, v6, 23, 0x3b800000
	v_lshlrev_b32_e32 v12, 20, v12
	s_delay_alu instid0(VALU_DEP_1)
	v_or3_b32 v6, v11, v6, v12
.LBB31_1413:
	s_or_b32 exec_lo, exec_lo, s11
.LBB31_1414:
	s_mov_b32 s10, -1
.LBB31_1415:
	s_branch .LBB31_1448
.LBB31_1416:
	v_cmp_lt_i16_e32 vcc_lo, 22, v10
	s_cbranch_vccz .LBB31_1426
; %bb.1417:
	v_cmp_gt_i16_e32 vcc_lo, 24, v10
	s_cbranch_vccnz .LBB31_1429
; %bb.1418:
	v_cmp_lt_i16_e32 vcc_lo, 24, v10
	s_cbranch_vccz .LBB31_1430
; %bb.1419:
	global_load_u8 v11, v[8:9], off
	s_mov_b32 s11, exec_lo
                                        ; implicit-def: $sgpr10
	s_waitcnt vmcnt(0)
	v_cmpx_lt_i16_e32 0x7f, v11
	s_xor_b32 s11, exec_lo, s11
	s_cbranch_execz .LBB31_1442
; %bb.1420:
	s_mov_b32 s1, -1
	s_mov_b32 s12, exec_lo
                                        ; implicit-def: $sgpr10
	v_cmpx_eq_u16_e32 0x80, v11
; %bb.1421:
	s_mov_b32 s10, 0x7f800001
	s_xor_b32 s1, exec_lo, -1
; %bb.1422:
	s_or_b32 exec_lo, exec_lo, s12
	s_delay_alu instid0(SALU_CYCLE_1)
	s_and_b32 s1, s1, exec_lo
	s_or_saveexec_b32 s11, s11
	v_mov_b32_e32 v6, s10
	s_xor_b32 exec_lo, exec_lo, s11
	s_cbranch_execnz .LBB31_1443
.LBB31_1423:
	s_or_b32 exec_lo, exec_lo, s11
	s_and_saveexec_b32 s10, s1
	s_cbranch_execz .LBB31_1425
.LBB31_1424:
	v_and_b32_e32 v6, 0xffff, v11
	s_delay_alu instid0(VALU_DEP_1) | instskip(NEXT) | instid1(VALU_DEP_1)
	v_and_b32_e32 v12, 3, v6
	v_clz_i32_u32_e32 v13, v12
	s_delay_alu instid0(VALU_DEP_1) | instskip(NEXT) | instid1(VALU_DEP_1)
	v_min_u32_e32 v13, 32, v13
	v_subrev_nc_u32_e32 v14, 29, v13
	v_sub_nc_u32_e32 v13, 30, v13
	s_delay_alu instid0(VALU_DEP_2) | instskip(SKIP_1) | instid1(VALU_DEP_2)
	v_lshlrev_b32_e32 v14, v14, v6
	v_bfe_u32 v6, v6, 2, 5
	v_and_b32_e32 v14, 3, v14
	s_delay_alu instid0(VALU_DEP_2) | instskip(SKIP_1) | instid1(VALU_DEP_1)
	v_cmp_eq_u32_e32 vcc_lo, 0, v6
	v_dual_cndmask_b32 v6, v6, v13 :: v_dual_lshlrev_b32 v11, 24, v11
	v_dual_cndmask_b32 v12, v12, v14 :: v_dual_and_b32 v11, 0x80000000, v11
	s_delay_alu instid0(VALU_DEP_2) | instskip(NEXT) | instid1(VALU_DEP_2)
	v_lshl_add_u32 v6, v6, 23, 0x37800000
	v_lshlrev_b32_e32 v12, 21, v12
	s_delay_alu instid0(VALU_DEP_1)
	v_or3_b32 v6, v11, v6, v12
.LBB31_1425:
	s_or_b32 exec_lo, exec_lo, s10
	s_mov_b32 s1, 0
	s_branch .LBB31_1431
.LBB31_1426:
	s_mov_b32 s1, -1
                                        ; implicit-def: $vgpr6
	s_branch .LBB31_1437
.LBB31_1427:
	s_or_saveexec_b32 s12, s12
	v_mov_b32_e32 v6, s11
	s_xor_b32 exec_lo, exec_lo, s12
	s_cbranch_execz .LBB31_1411
.LBB31_1428:
	v_cmp_ne_u16_e32 vcc_lo, 0, v11
	v_mov_b32_e32 v6, 0
	s_and_not1_b32 s10, s10, exec_lo
	s_and_b32 s11, vcc_lo, exec_lo
	s_delay_alu instid0(SALU_CYCLE_1)
	s_or_b32 s10, s10, s11
	s_or_b32 exec_lo, exec_lo, s12
	s_and_saveexec_b32 s11, s10
	s_cbranch_execnz .LBB31_1412
	s_branch .LBB31_1413
.LBB31_1429:
	s_mov_b32 s1, -1
                                        ; implicit-def: $vgpr6
	s_branch .LBB31_1434
.LBB31_1430:
	s_mov_b32 s1, -1
                                        ; implicit-def: $vgpr6
.LBB31_1431:
	s_delay_alu instid0(SALU_CYCLE_1)
	s_and_b32 vcc_lo, exec_lo, s1
	s_cbranch_vccz .LBB31_1433
; %bb.1432:
	global_load_u8 v6, v[8:9], off
	s_waitcnt vmcnt(0)
	v_lshlrev_b32_e32 v6, 24, v6
	s_delay_alu instid0(VALU_DEP_1) | instskip(NEXT) | instid1(VALU_DEP_1)
	v_and_b32_e32 v11, 0x7f000000, v6
	v_clz_i32_u32_e32 v12, v11
	v_add_nc_u32_e32 v14, 0x1000000, v11
	v_cmp_ne_u32_e32 vcc_lo, 0, v11
	s_delay_alu instid0(VALU_DEP_3) | instskip(NEXT) | instid1(VALU_DEP_1)
	v_min_u32_e32 v12, 32, v12
	v_sub_nc_u32_e64 v12, v12, 4 clamp
	s_delay_alu instid0(VALU_DEP_1) | instskip(SKIP_1) | instid1(VALU_DEP_2)
	v_lshlrev_b32_e32 v13, v12, v11
	v_lshlrev_b32_e32 v12, 23, v12
	v_lshrrev_b32_e32 v13, 4, v13
	s_delay_alu instid0(VALU_DEP_1) | instskip(SKIP_1) | instid1(VALU_DEP_2)
	v_sub_nc_u32_e32 v12, v13, v12
	v_ashrrev_i32_e32 v13, 8, v14
	v_add_nc_u32_e32 v12, 0x3c000000, v12
	s_delay_alu instid0(VALU_DEP_1) | instskip(NEXT) | instid1(VALU_DEP_1)
	v_and_or_b32 v12, 0x7f800000, v13, v12
	v_cndmask_b32_e32 v11, 0, v12, vcc_lo
	s_delay_alu instid0(VALU_DEP_1)
	v_and_or_b32 v6, 0x80000000, v6, v11
.LBB31_1433:
	s_mov_b32 s1, 0
.LBB31_1434:
	s_delay_alu instid0(SALU_CYCLE_1)
	s_and_not1_b32 vcc_lo, exec_lo, s1
	s_cbranch_vccnz .LBB31_1436
; %bb.1435:
	global_load_u8 v6, v[8:9], off
	s_waitcnt vmcnt(0)
	v_lshlrev_b32_e32 v11, 25, v6
	v_lshlrev_b16 v6, 8, v6
	s_delay_alu instid0(VALU_DEP_2) | instskip(NEXT) | instid1(VALU_DEP_2)
	v_lshrrev_b32_e32 v12, 4, v11
	v_and_or_b32 v13, 0x7f00, v6, 0.5
	v_bfe_i32 v6, v6, 0, 16
	s_delay_alu instid0(VALU_DEP_3) | instskip(NEXT) | instid1(VALU_DEP_1)
	v_or_b32_e32 v12, 0x70000000, v12
	v_dual_add_f32 v13, -0.5, v13 :: v_dual_mul_f32 v12, 0x7800000, v12
	v_cmp_gt_u32_e32 vcc_lo, 0x8000000, v11
	s_delay_alu instid0(VALU_DEP_2) | instskip(NEXT) | instid1(VALU_DEP_1)
	v_cndmask_b32_e32 v11, v12, v13, vcc_lo
	v_and_or_b32 v6, 0x80000000, v6, v11
.LBB31_1436:
	s_mov_b32 s1, 0
	s_mov_b32 s10, -1
.LBB31_1437:
	s_and_not1_b32 vcc_lo, exec_lo, s1
	s_mov_b32 s1, 0
	s_cbranch_vccnz .LBB31_1448
; %bb.1438:
	v_cmp_lt_i16_e32 vcc_lo, 14, v10
	s_cbranch_vccz .LBB31_1441
; %bb.1439:
	v_cmp_eq_u16_e32 vcc_lo, 15, v10
	s_cbranch_vccz .LBB31_1444
; %bb.1440:
	global_load_u16 v6, v[8:9], off
	s_mov_b32 s0, 0
	s_mov_b32 s10, -1
	s_waitcnt vmcnt(0)
	v_lshlrev_b32_e32 v6, 16, v6
	s_branch .LBB31_1446
.LBB31_1441:
	s_mov_b32 s1, -1
	s_branch .LBB31_1445
.LBB31_1442:
	s_or_saveexec_b32 s11, s11
	v_mov_b32_e32 v6, s10
	s_xor_b32 exec_lo, exec_lo, s11
	s_cbranch_execz .LBB31_1423
.LBB31_1443:
	v_cmp_ne_u16_e32 vcc_lo, 0, v11
	v_mov_b32_e32 v6, 0
	s_and_not1_b32 s1, s1, exec_lo
	s_and_b32 s10, vcc_lo, exec_lo
	s_delay_alu instid0(SALU_CYCLE_1)
	s_or_b32 s1, s1, s10
	s_or_b32 exec_lo, exec_lo, s11
	s_and_saveexec_b32 s10, s1
	s_cbranch_execnz .LBB31_1424
	s_branch .LBB31_1425
.LBB31_1444:
	s_mov_b32 s0, -1
.LBB31_1445:
                                        ; implicit-def: $vgpr6
.LBB31_1446:
	s_and_b32 vcc_lo, exec_lo, s1
	s_mov_b32 s1, 0
	s_cbranch_vccz .LBB31_1448
; %bb.1447:
	v_cmp_ne_u16_e64 s0, 11, v10
	s_mov_b32 s1, -1
                                        ; implicit-def: $vgpr6
.LBB31_1448:
	s_delay_alu instid0(VALU_DEP_1)
	s_and_b32 vcc_lo, exec_lo, s0
	s_cbranch_vccnz .LBB31_1484
; %bb.1449:
	s_and_not1_b32 vcc_lo, exec_lo, s1
	s_cbranch_vccnz .LBB31_1451
.LBB31_1450:
	global_load_u8 v6, v[8:9], off
	s_mov_b32 s10, -1
	s_waitcnt vmcnt(0)
	v_cmp_ne_u16_e32 vcc_lo, 0, v6
	v_cndmask_b32_e64 v6, 0, 1.0, vcc_lo
.LBB31_1451:
.LBB31_1452:
	s_and_not1_b32 vcc_lo, exec_lo, s10
	s_cbranch_vccnz .LBB31_1763
.LBB31_1453:
	s_waitcnt vmcnt(0)
	s_delay_alu instid0(VALU_DEP_1) | instskip(SKIP_1) | instid1(VALU_DEP_1)
	v_trunc_f32_e32 v8, v6
	s_mov_b32 s10, exec_lo
	v_mul_f32_e64 v9, 0x2f800000, |v8|
	s_delay_alu instid0(VALU_DEP_1) | instskip(NEXT) | instid1(VALU_DEP_1)
	v_floor_f32_e32 v9, v9
	v_fma_f32 v11, 0xcf800000, v9, |v8|
	v_ashrrev_i32_e32 v8, 31, v8
	v_cvt_u32_f32_e32 v9, v9
	s_delay_alu instid0(VALU_DEP_3) | instskip(NEXT) | instid1(VALU_DEP_2)
	v_cvt_u32_f32_e32 v11, v11
	v_xor_b32_e32 v9, v9, v8
	s_delay_alu instid0(VALU_DEP_2) | instskip(NEXT) | instid1(VALU_DEP_1)
	v_xor_b32_e32 v11, v11, v8
	v_sub_co_u32 v11, vcc_lo, v11, v8
	s_delay_alu instid0(VALU_DEP_3) | instskip(SKIP_1) | instid1(VALU_DEP_2)
	v_sub_co_ci_u32_e32 v8, vcc_lo, v9, v8, vcc_lo
	v_cmp_class_f32_e64 vcc_lo, v6, 0x1f8
	v_dual_mov_b32 v6, 0 :: v_dual_cndmask_b32 v9, -1, v8
	s_delay_alu instid0(VALU_DEP_4) | instskip(NEXT) | instid1(VALU_DEP_1)
	v_cndmask_b32_e32 v8, -1, v11, vcc_lo
	v_cmpx_lt_i64_e32 -1, v[8:9]
	s_cbranch_execz .LBB31_1465
; %bb.1454:
	v_mov_b32_e32 v6, 1.0
	s_mov_b32 s11, exec_lo
	v_cmpx_lt_i64_e32 0, v[8:9]
	s_cbranch_execz .LBB31_1464
; %bb.1455:
                                        ; implicit-def: $vgpr6
	s_mov_b32 s0, exec_lo
	v_cmpx_ne_u64_e32 1, v[8:9]
	s_xor_b32 s12, exec_lo, s0
	s_cbranch_execz .LBB31_1461
; %bb.1456:
	v_mov_b32_e32 v6, 0x7fc00000
	s_mov_b32 s13, exec_lo
	v_cmpx_gt_u64_e32 0x81, v[8:9]
	s_cbranch_execz .LBB31_1460
; %bb.1457:
	s_waitcnt lgkmcnt(0)
	v_add_f32_e64 v11, s3, s3
	v_lshlrev_b64 v[8:9], 1, v[8:9]
	v_mov_b32_e32 v12, 1.0
	s_mov_b64 s[0:1], 2
	s_mov_b32 s14, 0
	v_mov_b32_e32 v6, v11
	.p2align	6
.LBB31_1458:                            ; =>This Inner Loop Header: Depth=1
	s_clz_i32_u32 s15, s1
	s_delay_alu instid0(SALU_CYCLE_1) | instskip(NEXT) | instid1(SALU_CYCLE_1)
	s_min_u32 s15, s15, 32
	s_lshl_b64 s[18:19], s[0:1], s15
	s_sub_i32 s15, 32, s15
	s_min_u32 s18, s18, 1
	s_delay_alu instid0(SALU_CYCLE_1) | instskip(SKIP_3) | instid1(SALU_CYCLE_1)
	s_or_b32 s18, s19, s18
	s_add_u32 s0, s0, 2
	v_cvt_f32_u32_e32 v13, s18
	s_addc_u32 s1, s1, 0
	v_cmp_ge_u64_e32 vcc_lo, s[0:1], v[8:9]
	s_delay_alu instid0(VALU_DEP_2) | instskip(SKIP_1) | instid1(VALU_DEP_1)
	v_ldexp_f32 v13, v13, s15
	s_or_b32 s14, vcc_lo, s14
	v_dual_mul_f32 v13, v12, v13 :: v_dual_mov_b32 v12, v6
	s_delay_alu instid0(VALU_DEP_1)
	v_fma_f32 v6, v11, v6, -v13
	s_and_not1_b32 exec_lo, exec_lo, s14
	s_cbranch_execnz .LBB31_1458
; %bb.1459:
	s_or_b32 exec_lo, exec_lo, s14
.LBB31_1460:
	s_delay_alu instid0(SALU_CYCLE_1)
	s_or_b32 exec_lo, exec_lo, s13
.LBB31_1461:
	s_and_not1_saveexec_b32 s0, s12
	s_cbranch_execz .LBB31_1463
; %bb.1462:
	s_waitcnt lgkmcnt(0)
	v_add_f32_e64 v6, s3, s3
.LBB31_1463:
	s_or_b32 exec_lo, exec_lo, s0
.LBB31_1464:
	s_delay_alu instid0(SALU_CYCLE_1)
	s_or_b32 exec_lo, exec_lo, s11
.LBB31_1465:
	s_delay_alu instid0(SALU_CYCLE_1) | instskip(SKIP_2) | instid1(VALU_DEP_1)
	s_or_b32 exec_lo, exec_lo, s10
	v_cmp_gt_i16_e32 vcc_lo, 11, v10
	v_add_co_u32 v7, s0, s6, v7
	v_add_co_ci_u32_e64 v8, null, s7, 0, s0
	s_mov_b32 s10, 0
	s_cbranch_vccnz .LBB31_1472
; %bb.1466:
	v_cmp_lt_i16_e32 vcc_lo, 25, v10
	s_mov_b32 s1, 0
	s_cbranch_vccz .LBB31_1478
; %bb.1467:
	v_cmp_lt_i16_e32 vcc_lo, 28, v10
	s_cbranch_vccz .LBB31_1480
; %bb.1468:
	v_cmp_lt_i16_e32 vcc_lo, 43, v10
	;; [unrolled: 3-line block ×3, first 2 shown]
	s_cbranch_vccz .LBB31_1486
; %bb.1470:
	v_cmp_eq_u16_e32 vcc_lo, 46, v10
	s_mov_b32 s11, 0
	s_cbranch_vccz .LBB31_1529
; %bb.1471:
	global_load_b32 v9, v[7:8], off
	s_mov_b32 s0, 0
	s_mov_b32 s10, -1
	s_waitcnt vmcnt(0)
	v_lshlrev_b32_e32 v9, 16, v9
	s_branch .LBB31_1531
.LBB31_1472:
                                        ; implicit-def: $vgpr9
	s_cbranch_execz .LBB31_1597
; %bb.1473:
	v_cmp_gt_i16_e32 vcc_lo, 5, v10
	s_cbranch_vccnz .LBB31_1479
; %bb.1474:
	v_cmp_gt_i16_e32 vcc_lo, 8, v10
	s_cbranch_vccnz .LBB31_1481
	;; [unrolled: 3-line block ×3, first 2 shown]
; %bb.1476:
	v_cmp_lt_i16_e32 vcc_lo, 9, v10
	s_cbranch_vccz .LBB31_1487
; %bb.1477:
	global_load_b64 v[11:12], v[7:8], off
	s_mov_b32 s0, 0
	s_waitcnt vmcnt(0)
	v_cvt_f32_f64_e32 v9, v[11:12]
	s_branch .LBB31_1488
.LBB31_1478:
	s_mov_b32 s11, -1
	s_mov_b32 s0, 0
                                        ; implicit-def: $vgpr9
	s_branch .LBB31_1560
.LBB31_1479:
	s_mov_b32 s0, -1
                                        ; implicit-def: $vgpr9
	s_branch .LBB31_1506
.LBB31_1480:
	s_mov_b32 s11, -1
	s_mov_b32 s0, 0
                                        ; implicit-def: $vgpr9
	s_branch .LBB31_1541
.LBB31_1481:
	s_mov_b32 s0, -1
                                        ; implicit-def: $vgpr9
	s_branch .LBB31_1494
.LBB31_1482:
	s_mov_b32 s11, -1
	s_mov_b32 s0, 0
                                        ; implicit-def: $vgpr9
	s_branch .LBB31_1536
.LBB31_1483:
	s_mov_b32 s0, -1
                                        ; implicit-def: $vgpr9
	s_branch .LBB31_1491
.LBB31_1484:
	s_cbranch_execnz .LBB31_1527
; %bb.1485:
	s_or_b32 s2, s2, exec_lo
                                        ; implicit-def: $vgpr6
	s_cbranch_execz .LBB31_1450
	s_branch .LBB31_1451
.LBB31_1486:
	s_mov_b32 s11, -1
	s_mov_b32 s0, 0
	s_branch .LBB31_1530
.LBB31_1487:
	s_mov_b32 s0, -1
                                        ; implicit-def: $vgpr9
.LBB31_1488:
	s_delay_alu instid0(SALU_CYCLE_1)
	s_and_not1_b32 vcc_lo, exec_lo, s0
	s_cbranch_vccnz .LBB31_1490
; %bb.1489:
	global_load_b32 v9, v[7:8], off
.LBB31_1490:
	s_mov_b32 s0, 0
.LBB31_1491:
	s_delay_alu instid0(SALU_CYCLE_1)
	s_and_not1_b32 vcc_lo, exec_lo, s0
	s_cbranch_vccnz .LBB31_1493
; %bb.1492:
	global_load_b32 v9, v[7:8], off
	s_waitcnt vmcnt(0)
	v_cvt_f32_f16_e32 v9, v9
.LBB31_1493:
	s_mov_b32 s0, 0
.LBB31_1494:
	s_delay_alu instid0(SALU_CYCLE_1)
	s_and_not1_b32 vcc_lo, exec_lo, s0
	s_cbranch_vccnz .LBB31_1505
; %bb.1495:
	v_cmp_gt_i16_e32 vcc_lo, 6, v10
	s_cbranch_vccnz .LBB31_1498
; %bb.1496:
	v_cmp_lt_i16_e32 vcc_lo, 6, v10
	s_cbranch_vccz .LBB31_1499
; %bb.1497:
	global_load_b64 v[11:12], v[7:8], off
	s_mov_b32 s0, 0
	s_waitcnt vmcnt(0)
	v_cvt_f32_f64_e32 v9, v[11:12]
	s_branch .LBB31_1500
.LBB31_1498:
	s_mov_b32 s0, -1
                                        ; implicit-def: $vgpr9
	s_branch .LBB31_1503
.LBB31_1499:
	s_mov_b32 s0, -1
                                        ; implicit-def: $vgpr9
.LBB31_1500:
	s_delay_alu instid0(SALU_CYCLE_1)
	s_and_not1_b32 vcc_lo, exec_lo, s0
	s_cbranch_vccnz .LBB31_1502
; %bb.1501:
	global_load_b32 v9, v[7:8], off
.LBB31_1502:
	s_mov_b32 s0, 0
.LBB31_1503:
	s_delay_alu instid0(SALU_CYCLE_1)
	s_and_not1_b32 vcc_lo, exec_lo, s0
	s_cbranch_vccnz .LBB31_1505
; %bb.1504:
	global_load_u16 v9, v[7:8], off
	s_waitcnt vmcnt(0)
	v_cvt_f32_f16_e32 v9, v9
.LBB31_1505:
	s_mov_b32 s0, 0
.LBB31_1506:
	s_delay_alu instid0(SALU_CYCLE_1)
	s_and_not1_b32 vcc_lo, exec_lo, s0
	s_cbranch_vccnz .LBB31_1526
; %bb.1507:
	v_cmp_gt_i16_e32 vcc_lo, 2, v10
	s_cbranch_vccnz .LBB31_1511
; %bb.1508:
	v_cmp_gt_i16_e32 vcc_lo, 3, v10
	s_cbranch_vccnz .LBB31_1512
; %bb.1509:
	v_cmp_lt_i16_e32 vcc_lo, 3, v10
	s_cbranch_vccz .LBB31_1513
; %bb.1510:
	global_load_b64 v[11:12], v[7:8], off
	s_mov_b32 s0, 0
	s_waitcnt vmcnt(0)
	v_xor_b32_e32 v9, v11, v12
	v_cls_i32_e32 v13, v12
	s_delay_alu instid0(VALU_DEP_2) | instskip(NEXT) | instid1(VALU_DEP_2)
	v_ashrrev_i32_e32 v9, 31, v9
	v_add_nc_u32_e32 v13, -1, v13
	s_delay_alu instid0(VALU_DEP_2) | instskip(NEXT) | instid1(VALU_DEP_1)
	v_add_nc_u32_e32 v9, 32, v9
	v_min_u32_e32 v9, v13, v9
	s_delay_alu instid0(VALU_DEP_1) | instskip(SKIP_1) | instid1(VALU_DEP_2)
	v_lshlrev_b64 v[11:12], v9, v[11:12]
	v_sub_nc_u32_e32 v9, 32, v9
	v_min_u32_e32 v11, 1, v11
	s_delay_alu instid0(VALU_DEP_1) | instskip(NEXT) | instid1(VALU_DEP_1)
	v_or_b32_e32 v11, v12, v11
	v_cvt_f32_i32_e32 v11, v11
	s_delay_alu instid0(VALU_DEP_1)
	v_ldexp_f32 v9, v11, v9
	s_branch .LBB31_1514
.LBB31_1511:
	s_mov_b32 s0, -1
                                        ; implicit-def: $vgpr9
	s_branch .LBB31_1520
.LBB31_1512:
	s_mov_b32 s0, -1
                                        ; implicit-def: $vgpr9
	s_branch .LBB31_1517
.LBB31_1513:
	s_mov_b32 s0, -1
                                        ; implicit-def: $vgpr9
.LBB31_1514:
	s_delay_alu instid0(SALU_CYCLE_1)
	s_and_not1_b32 vcc_lo, exec_lo, s0
	s_cbranch_vccnz .LBB31_1516
; %bb.1515:
	global_load_b32 v9, v[7:8], off
	s_waitcnt vmcnt(0)
	v_cvt_f32_i32_e32 v9, v9
.LBB31_1516:
	s_mov_b32 s0, 0
.LBB31_1517:
	s_delay_alu instid0(SALU_CYCLE_1)
	s_and_not1_b32 vcc_lo, exec_lo, s0
	s_cbranch_vccnz .LBB31_1519
; %bb.1518:
	global_load_i16 v9, v[7:8], off
	s_waitcnt vmcnt(0)
	v_cvt_f32_i32_e32 v9, v9
.LBB31_1519:
	s_mov_b32 s0, 0
.LBB31_1520:
	s_delay_alu instid0(SALU_CYCLE_1)
	s_and_not1_b32 vcc_lo, exec_lo, s0
	s_cbranch_vccnz .LBB31_1526
; %bb.1521:
	v_cmp_lt_i16_e32 vcc_lo, 0, v10
	s_mov_b32 s0, 0
	s_cbranch_vccz .LBB31_1523
; %bb.1522:
	global_load_i8 v9, v[7:8], off
	s_waitcnt vmcnt(0)
	v_cvt_f32_i32_e32 v9, v9
	s_branch .LBB31_1524
.LBB31_1523:
	s_mov_b32 s0, -1
                                        ; implicit-def: $vgpr9
.LBB31_1524:
	s_delay_alu instid0(SALU_CYCLE_1)
	s_and_not1_b32 vcc_lo, exec_lo, s0
	s_cbranch_vccnz .LBB31_1526
; %bb.1525:
	global_load_u8 v7, v[7:8], off
	s_waitcnt vmcnt(0)
	v_cvt_f32_ubyte0_e32 v9, v7
.LBB31_1526:
	s_branch .LBB31_1598
.LBB31_1527:
	s_trap 2
	s_sendmsg_rtn_b32 s0, sendmsg(MSG_RTN_GET_DOORBELL)
	s_mov_b32 ttmp2, m0
	s_waitcnt lgkmcnt(0)
	s_and_b32 s0, s0, 0x3ff
	s_delay_alu instid0(SALU_CYCLE_1) | instskip(NEXT) | instid1(SALU_CYCLE_1)
	s_bitset1_b32 s0, 10
	s_mov_b32 m0, s0
	s_sendmsg sendmsg(MSG_INTERRUPT)
	s_mov_b32 m0, ttmp2
.LBB31_1528:                            ; =>This Inner Loop Header: Depth=1
	s_sethalt 5
	s_branch .LBB31_1528
.LBB31_1529:
	s_mov_b32 s0, -1
.LBB31_1530:
                                        ; implicit-def: $vgpr9
.LBB31_1531:
	s_and_b32 vcc_lo, exec_lo, s11
	s_cbranch_vccz .LBB31_1535
; %bb.1532:
	v_cmp_eq_u16_e32 vcc_lo, 44, v10
	s_cbranch_vccz .LBB31_1534
; %bb.1533:
	global_load_u8 v9, v[7:8], off
	s_mov_b32 s0, 0
	s_mov_b32 s10, -1
	s_waitcnt vmcnt(0)
	v_lshlrev_b32_e32 v11, 23, v9
	v_cmp_ne_u32_e32 vcc_lo, 0xff, v9
	s_delay_alu instid0(VALU_DEP_2) | instskip(SKIP_1) | instid1(VALU_DEP_2)
	v_cndmask_b32_e32 v11, 0x7f800001, v11, vcc_lo
	v_cmp_ne_u32_e32 vcc_lo, 0, v9
	v_cndmask_b32_e32 v9, 0x400000, v11, vcc_lo
	s_branch .LBB31_1535
.LBB31_1534:
	s_mov_b32 s0, -1
                                        ; implicit-def: $vgpr9
.LBB31_1535:
	s_mov_b32 s11, 0
.LBB31_1536:
	s_delay_alu instid0(SALU_CYCLE_1)
	s_and_b32 vcc_lo, exec_lo, s11
	s_cbranch_vccz .LBB31_1540
; %bb.1537:
	v_cmp_eq_u16_e32 vcc_lo, 29, v10
	s_cbranch_vccz .LBB31_1539
; %bb.1538:
	global_load_b64 v[11:12], v[7:8], off
	s_mov_b32 s0, 0
	s_mov_b32 s10, -1
	s_mov_b32 s11, 0
	s_waitcnt vmcnt(0)
	v_clz_i32_u32_e32 v9, v12
	s_delay_alu instid0(VALU_DEP_1) | instskip(NEXT) | instid1(VALU_DEP_1)
	v_min_u32_e32 v9, 32, v9
	v_lshlrev_b64 v[11:12], v9, v[11:12]
	v_sub_nc_u32_e32 v9, 32, v9
	s_delay_alu instid0(VALU_DEP_2) | instskip(NEXT) | instid1(VALU_DEP_1)
	v_min_u32_e32 v11, 1, v11
	v_or_b32_e32 v11, v12, v11
	s_delay_alu instid0(VALU_DEP_1) | instskip(NEXT) | instid1(VALU_DEP_1)
	v_cvt_f32_u32_e32 v11, v11
	v_ldexp_f32 v9, v11, v9
	s_branch .LBB31_1541
.LBB31_1539:
	s_mov_b32 s0, -1
                                        ; implicit-def: $vgpr9
.LBB31_1540:
	s_mov_b32 s11, 0
.LBB31_1541:
	s_delay_alu instid0(SALU_CYCLE_1)
	s_and_b32 vcc_lo, exec_lo, s11
	s_cbranch_vccz .LBB31_1559
; %bb.1542:
	v_cmp_gt_i16_e32 vcc_lo, 27, v10
	s_cbranch_vccnz .LBB31_1545
; %bb.1543:
	v_cmp_lt_i16_e32 vcc_lo, 27, v10
	s_cbranch_vccz .LBB31_1546
; %bb.1544:
	global_load_b32 v9, v[7:8], off
	s_mov_b32 s10, 0
	s_waitcnt vmcnt(0)
	v_cvt_f32_u32_e32 v9, v9
	s_branch .LBB31_1547
.LBB31_1545:
	s_mov_b32 s10, -1
                                        ; implicit-def: $vgpr9
	s_branch .LBB31_1550
.LBB31_1546:
	s_mov_b32 s10, -1
                                        ; implicit-def: $vgpr9
.LBB31_1547:
	s_delay_alu instid0(SALU_CYCLE_1)
	s_and_not1_b32 vcc_lo, exec_lo, s10
	s_cbranch_vccnz .LBB31_1549
; %bb.1548:
	global_load_u16 v9, v[7:8], off
	s_waitcnt vmcnt(0)
	v_cvt_f32_u32_e32 v9, v9
.LBB31_1549:
	s_mov_b32 s10, 0
.LBB31_1550:
	s_delay_alu instid0(SALU_CYCLE_1)
	s_and_not1_b32 vcc_lo, exec_lo, s10
	s_cbranch_vccnz .LBB31_1558
; %bb.1551:
	global_load_u8 v11, v[7:8], off
	s_mov_b32 s10, 0
	s_mov_b32 s12, exec_lo
                                        ; implicit-def: $sgpr11
	s_waitcnt vmcnt(0)
	v_cmpx_lt_i16_e32 0x7f, v11
	s_xor_b32 s12, exec_lo, s12
	s_cbranch_execz .LBB31_1572
; %bb.1552:
	s_mov_b32 s10, -1
	s_mov_b32 s13, exec_lo
                                        ; implicit-def: $sgpr11
	v_cmpx_eq_u16_e32 0x80, v11
; %bb.1553:
	s_mov_b32 s11, 0x7f800001
	s_xor_b32 s10, exec_lo, -1
; %bb.1554:
	s_or_b32 exec_lo, exec_lo, s13
	s_delay_alu instid0(SALU_CYCLE_1)
	s_and_b32 s10, s10, exec_lo
	s_or_saveexec_b32 s12, s12
	v_mov_b32_e32 v9, s11
	s_xor_b32 exec_lo, exec_lo, s12
	s_cbranch_execnz .LBB31_1573
.LBB31_1555:
	s_or_b32 exec_lo, exec_lo, s12
	s_and_saveexec_b32 s11, s10
	s_cbranch_execz .LBB31_1557
.LBB31_1556:
	v_and_b32_e32 v9, 0xffff, v11
	v_lshlrev_b32_e32 v11, 24, v11
	s_delay_alu instid0(VALU_DEP_2) | instskip(NEXT) | instid1(VALU_DEP_2)
	v_and_b32_e32 v12, 7, v9
	v_and_b32_e32 v11, 0x80000000, v11
	s_delay_alu instid0(VALU_DEP_2) | instskip(NEXT) | instid1(VALU_DEP_1)
	v_clz_i32_u32_e32 v13, v12
	v_min_u32_e32 v13, 32, v13
	s_delay_alu instid0(VALU_DEP_1) | instskip(SKIP_1) | instid1(VALU_DEP_2)
	v_subrev_nc_u32_e32 v14, 28, v13
	v_sub_nc_u32_e32 v13, 29, v13
	v_lshlrev_b32_e32 v14, v14, v9
	v_bfe_u32 v9, v9, 3, 4
	s_delay_alu instid0(VALU_DEP_1) | instskip(NEXT) | instid1(VALU_DEP_3)
	v_cmp_eq_u32_e32 vcc_lo, 0, v9
	v_dual_cndmask_b32 v9, v9, v13 :: v_dual_and_b32 v14, 7, v14
	s_delay_alu instid0(VALU_DEP_1) | instskip(NEXT) | instid1(VALU_DEP_2)
	v_cndmask_b32_e32 v12, v12, v14, vcc_lo
	v_lshl_add_u32 v9, v9, 23, 0x3b800000
	s_delay_alu instid0(VALU_DEP_2) | instskip(NEXT) | instid1(VALU_DEP_1)
	v_lshlrev_b32_e32 v12, 20, v12
	v_or3_b32 v9, v11, v9, v12
.LBB31_1557:
	s_or_b32 exec_lo, exec_lo, s11
.LBB31_1558:
	s_mov_b32 s10, -1
.LBB31_1559:
	s_mov_b32 s11, 0
.LBB31_1560:
	s_delay_alu instid0(SALU_CYCLE_1)
	s_and_b32 vcc_lo, exec_lo, s11
	s_cbranch_vccz .LBB31_1593
; %bb.1561:
	v_cmp_lt_i16_e32 vcc_lo, 22, v10
	s_cbranch_vccz .LBB31_1571
; %bb.1562:
	v_cmp_gt_i16_e32 vcc_lo, 24, v10
	s_cbranch_vccnz .LBB31_1574
; %bb.1563:
	v_cmp_lt_i16_e32 vcc_lo, 24, v10
	s_cbranch_vccz .LBB31_1575
; %bb.1564:
	global_load_u8 v11, v[7:8], off
	s_mov_b32 s11, exec_lo
                                        ; implicit-def: $sgpr10
	s_waitcnt vmcnt(0)
	v_cmpx_lt_i16_e32 0x7f, v11
	s_xor_b32 s11, exec_lo, s11
	s_cbranch_execz .LBB31_1587
; %bb.1565:
	s_mov_b32 s1, -1
	s_mov_b32 s12, exec_lo
                                        ; implicit-def: $sgpr10
	v_cmpx_eq_u16_e32 0x80, v11
; %bb.1566:
	s_mov_b32 s10, 0x7f800001
	s_xor_b32 s1, exec_lo, -1
; %bb.1567:
	s_or_b32 exec_lo, exec_lo, s12
	s_delay_alu instid0(SALU_CYCLE_1)
	s_and_b32 s1, s1, exec_lo
	s_or_saveexec_b32 s11, s11
	v_mov_b32_e32 v9, s10
	s_xor_b32 exec_lo, exec_lo, s11
	s_cbranch_execnz .LBB31_1588
.LBB31_1568:
	s_or_b32 exec_lo, exec_lo, s11
	s_and_saveexec_b32 s10, s1
	s_cbranch_execz .LBB31_1570
.LBB31_1569:
	v_and_b32_e32 v9, 0xffff, v11
	v_lshlrev_b32_e32 v11, 24, v11
	s_delay_alu instid0(VALU_DEP_2) | instskip(NEXT) | instid1(VALU_DEP_2)
	v_and_b32_e32 v12, 3, v9
	v_and_b32_e32 v11, 0x80000000, v11
	s_delay_alu instid0(VALU_DEP_2) | instskip(NEXT) | instid1(VALU_DEP_1)
	v_clz_i32_u32_e32 v13, v12
	v_min_u32_e32 v13, 32, v13
	s_delay_alu instid0(VALU_DEP_1) | instskip(SKIP_1) | instid1(VALU_DEP_2)
	v_subrev_nc_u32_e32 v14, 29, v13
	v_sub_nc_u32_e32 v13, 30, v13
	v_lshlrev_b32_e32 v14, v14, v9
	v_bfe_u32 v9, v9, 2, 5
	s_delay_alu instid0(VALU_DEP_1) | instskip(NEXT) | instid1(VALU_DEP_3)
	v_cmp_eq_u32_e32 vcc_lo, 0, v9
	v_dual_cndmask_b32 v9, v9, v13 :: v_dual_and_b32 v14, 3, v14
	s_delay_alu instid0(VALU_DEP_1) | instskip(NEXT) | instid1(VALU_DEP_2)
	v_cndmask_b32_e32 v12, v12, v14, vcc_lo
	v_lshl_add_u32 v9, v9, 23, 0x37800000
	s_delay_alu instid0(VALU_DEP_2) | instskip(NEXT) | instid1(VALU_DEP_1)
	v_lshlrev_b32_e32 v12, 21, v12
	v_or3_b32 v9, v11, v9, v12
.LBB31_1570:
	s_or_b32 exec_lo, exec_lo, s10
	s_mov_b32 s1, 0
	s_branch .LBB31_1576
.LBB31_1571:
	s_mov_b32 s1, -1
                                        ; implicit-def: $vgpr9
	s_branch .LBB31_1582
.LBB31_1572:
	s_or_saveexec_b32 s12, s12
	v_mov_b32_e32 v9, s11
	s_xor_b32 exec_lo, exec_lo, s12
	s_cbranch_execz .LBB31_1555
.LBB31_1573:
	v_cmp_ne_u16_e32 vcc_lo, 0, v11
	v_mov_b32_e32 v9, 0
	s_and_not1_b32 s10, s10, exec_lo
	s_and_b32 s11, vcc_lo, exec_lo
	s_delay_alu instid0(SALU_CYCLE_1)
	s_or_b32 s10, s10, s11
	s_or_b32 exec_lo, exec_lo, s12
	s_and_saveexec_b32 s11, s10
	s_cbranch_execnz .LBB31_1556
	s_branch .LBB31_1557
.LBB31_1574:
	s_mov_b32 s1, -1
                                        ; implicit-def: $vgpr9
	s_branch .LBB31_1579
.LBB31_1575:
	s_mov_b32 s1, -1
                                        ; implicit-def: $vgpr9
.LBB31_1576:
	s_delay_alu instid0(SALU_CYCLE_1)
	s_and_b32 vcc_lo, exec_lo, s1
	s_cbranch_vccz .LBB31_1578
; %bb.1577:
	global_load_u8 v9, v[7:8], off
	s_waitcnt vmcnt(0)
	v_lshlrev_b32_e32 v9, 24, v9
	s_delay_alu instid0(VALU_DEP_1) | instskip(NEXT) | instid1(VALU_DEP_1)
	v_and_b32_e32 v11, 0x7f000000, v9
	v_clz_i32_u32_e32 v12, v11
	v_cmp_ne_u32_e32 vcc_lo, 0, v11
	v_add_nc_u32_e32 v14, 0x1000000, v11
	s_delay_alu instid0(VALU_DEP_3) | instskip(NEXT) | instid1(VALU_DEP_1)
	v_min_u32_e32 v12, 32, v12
	v_sub_nc_u32_e64 v12, v12, 4 clamp
	s_delay_alu instid0(VALU_DEP_1) | instskip(SKIP_1) | instid1(VALU_DEP_2)
	v_lshlrev_b32_e32 v13, v12, v11
	v_lshlrev_b32_e32 v12, 23, v12
	v_lshrrev_b32_e32 v13, 4, v13
	s_delay_alu instid0(VALU_DEP_1) | instskip(SKIP_1) | instid1(VALU_DEP_2)
	v_sub_nc_u32_e32 v12, v13, v12
	v_ashrrev_i32_e32 v13, 8, v14
	v_add_nc_u32_e32 v12, 0x3c000000, v12
	s_delay_alu instid0(VALU_DEP_1) | instskip(NEXT) | instid1(VALU_DEP_1)
	v_and_or_b32 v12, 0x7f800000, v13, v12
	v_cndmask_b32_e32 v11, 0, v12, vcc_lo
	s_delay_alu instid0(VALU_DEP_1)
	v_and_or_b32 v9, 0x80000000, v9, v11
.LBB31_1578:
	s_mov_b32 s1, 0
.LBB31_1579:
	s_delay_alu instid0(SALU_CYCLE_1)
	s_and_not1_b32 vcc_lo, exec_lo, s1
	s_cbranch_vccnz .LBB31_1581
; %bb.1580:
	global_load_u8 v9, v[7:8], off
	s_waitcnt vmcnt(0)
	v_lshlrev_b32_e32 v11, 25, v9
	v_lshlrev_b16 v9, 8, v9
	s_delay_alu instid0(VALU_DEP_2) | instskip(NEXT) | instid1(VALU_DEP_2)
	v_lshrrev_b32_e32 v12, 4, v11
	v_and_or_b32 v13, 0x7f00, v9, 0.5
	v_bfe_i32 v9, v9, 0, 16
	s_delay_alu instid0(VALU_DEP_3) | instskip(NEXT) | instid1(VALU_DEP_1)
	v_or_b32_e32 v12, 0x70000000, v12
	v_dual_add_f32 v13, -0.5, v13 :: v_dual_mul_f32 v12, 0x7800000, v12
	v_cmp_gt_u32_e32 vcc_lo, 0x8000000, v11
	s_delay_alu instid0(VALU_DEP_2) | instskip(NEXT) | instid1(VALU_DEP_1)
	v_cndmask_b32_e32 v11, v12, v13, vcc_lo
	v_and_or_b32 v9, 0x80000000, v9, v11
.LBB31_1581:
	s_mov_b32 s1, 0
	s_mov_b32 s10, -1
.LBB31_1582:
	s_and_not1_b32 vcc_lo, exec_lo, s1
	s_mov_b32 s1, 0
	s_cbranch_vccnz .LBB31_1593
; %bb.1583:
	v_cmp_lt_i16_e32 vcc_lo, 14, v10
	s_cbranch_vccz .LBB31_1586
; %bb.1584:
	v_cmp_eq_u16_e32 vcc_lo, 15, v10
	s_cbranch_vccz .LBB31_1589
; %bb.1585:
	global_load_u16 v9, v[7:8], off
	s_mov_b32 s0, 0
	s_mov_b32 s10, -1
	s_waitcnt vmcnt(0)
	v_lshlrev_b32_e32 v9, 16, v9
	s_branch .LBB31_1591
.LBB31_1586:
	s_mov_b32 s1, -1
	s_branch .LBB31_1590
.LBB31_1587:
	s_or_saveexec_b32 s11, s11
	v_mov_b32_e32 v9, s10
	s_xor_b32 exec_lo, exec_lo, s11
	s_cbranch_execz .LBB31_1568
.LBB31_1588:
	v_cmp_ne_u16_e32 vcc_lo, 0, v11
	v_mov_b32_e32 v9, 0
	s_and_not1_b32 s1, s1, exec_lo
	s_and_b32 s10, vcc_lo, exec_lo
	s_delay_alu instid0(SALU_CYCLE_1)
	s_or_b32 s1, s1, s10
	s_or_b32 exec_lo, exec_lo, s11
	s_and_saveexec_b32 s10, s1
	s_cbranch_execnz .LBB31_1569
	s_branch .LBB31_1570
.LBB31_1589:
	s_mov_b32 s0, -1
.LBB31_1590:
                                        ; implicit-def: $vgpr9
.LBB31_1591:
	s_and_b32 vcc_lo, exec_lo, s1
	s_mov_b32 s1, 0
	s_cbranch_vccz .LBB31_1593
; %bb.1592:
	v_cmp_ne_u16_e64 s0, 11, v10
	s_mov_b32 s1, -1
                                        ; implicit-def: $vgpr9
.LBB31_1593:
	s_delay_alu instid0(VALU_DEP_1)
	s_and_b32 vcc_lo, exec_lo, s0
	s_cbranch_vccnz .LBB31_1621
; %bb.1594:
	s_and_not1_b32 vcc_lo, exec_lo, s1
	s_cbranch_vccnz .LBB31_1596
.LBB31_1595:
	global_load_u8 v9, v[7:8], off
	s_mov_b32 s10, -1
	s_waitcnt vmcnt(0)
	v_cmp_ne_u16_e32 vcc_lo, 0, v9
	v_cndmask_b32_e64 v9, 0, 1.0, vcc_lo
.LBB31_1596:
.LBB31_1597:
	s_and_not1_b32 vcc_lo, exec_lo, s10
	s_cbranch_vccnz .LBB31_1763
.LBB31_1598:
	s_waitcnt vmcnt(0)
	s_delay_alu instid0(VALU_DEP_1) | instskip(SKIP_1) | instid1(VALU_DEP_1)
	v_trunc_f32_e32 v7, v9
	s_mov_b32 s10, exec_lo
	v_mul_f32_e64 v8, 0x2f800000, |v7|
	s_delay_alu instid0(VALU_DEP_1) | instskip(NEXT) | instid1(VALU_DEP_1)
	v_floor_f32_e32 v8, v8
	v_fma_f32 v11, 0xcf800000, v8, |v7|
	v_ashrrev_i32_e32 v7, 31, v7
	v_cvt_u32_f32_e32 v8, v8
	s_delay_alu instid0(VALU_DEP_3) | instskip(NEXT) | instid1(VALU_DEP_2)
	v_cvt_u32_f32_e32 v11, v11
	v_xor_b32_e32 v8, v8, v7
	s_delay_alu instid0(VALU_DEP_2) | instskip(NEXT) | instid1(VALU_DEP_1)
	v_xor_b32_e32 v11, v11, v7
	v_sub_co_u32 v11, vcc_lo, v11, v7
	s_delay_alu instid0(VALU_DEP_3) | instskip(SKIP_1) | instid1(VALU_DEP_2)
	v_sub_co_ci_u32_e32 v7, vcc_lo, v8, v7, vcc_lo
	v_cmp_class_f32_e64 vcc_lo, v9, 0x1f8
	v_dual_mov_b32 v9, 0 :: v_dual_cndmask_b32 v8, -1, v7
	s_delay_alu instid0(VALU_DEP_4) | instskip(NEXT) | instid1(VALU_DEP_1)
	v_cndmask_b32_e32 v7, -1, v11, vcc_lo
	v_cmpx_lt_i64_e32 -1, v[7:8]
	s_cbranch_execz .LBB31_1610
; %bb.1599:
	v_mov_b32_e32 v9, 1.0
	s_mov_b32 s11, exec_lo
	v_cmpx_lt_i64_e32 0, v[7:8]
	s_cbranch_execz .LBB31_1609
; %bb.1600:
                                        ; implicit-def: $vgpr9
	s_mov_b32 s0, exec_lo
	v_cmpx_ne_u64_e32 1, v[7:8]
	s_xor_b32 s12, exec_lo, s0
	s_cbranch_execz .LBB31_1606
; %bb.1601:
	v_mov_b32_e32 v9, 0x7fc00000
	s_mov_b32 s13, exec_lo
	v_cmpx_gt_u64_e32 0x81, v[7:8]
	s_cbranch_execz .LBB31_1605
; %bb.1602:
	s_waitcnt lgkmcnt(0)
	v_add_f32_e64 v11, s3, s3
	v_lshlrev_b64 v[7:8], 1, v[7:8]
	v_mov_b32_e32 v12, 1.0
	s_mov_b64 s[0:1], 2
	s_mov_b32 s14, 0
	v_mov_b32_e32 v9, v11
.LBB31_1603:                            ; =>This Inner Loop Header: Depth=1
	s_clz_i32_u32 s15, s1
	s_delay_alu instid0(SALU_CYCLE_1) | instskip(NEXT) | instid1(SALU_CYCLE_1)
	s_min_u32 s15, s15, 32
	s_lshl_b64 s[18:19], s[0:1], s15
	s_sub_i32 s15, 32, s15
	s_min_u32 s18, s18, 1
	s_delay_alu instid0(SALU_CYCLE_1) | instskip(SKIP_3) | instid1(SALU_CYCLE_1)
	s_or_b32 s18, s19, s18
	s_add_u32 s0, s0, 2
	v_cvt_f32_u32_e32 v13, s18
	s_addc_u32 s1, s1, 0
	v_cmp_ge_u64_e32 vcc_lo, s[0:1], v[7:8]
	s_delay_alu instid0(VALU_DEP_2) | instskip(SKIP_1) | instid1(VALU_DEP_1)
	v_ldexp_f32 v13, v13, s15
	s_or_b32 s14, vcc_lo, s14
	v_dual_mul_f32 v13, v12, v13 :: v_dual_mov_b32 v12, v9
	s_delay_alu instid0(VALU_DEP_1)
	v_fma_f32 v9, v11, v9, -v13
	s_and_not1_b32 exec_lo, exec_lo, s14
	s_cbranch_execnz .LBB31_1603
; %bb.1604:
	s_or_b32 exec_lo, exec_lo, s14
.LBB31_1605:
	s_delay_alu instid0(SALU_CYCLE_1)
	s_or_b32 exec_lo, exec_lo, s13
.LBB31_1606:
	s_and_not1_saveexec_b32 s0, s12
	s_cbranch_execz .LBB31_1608
; %bb.1607:
	s_waitcnt lgkmcnt(0)
	v_add_f32_e64 v9, s3, s3
.LBB31_1608:
	s_or_b32 exec_lo, exec_lo, s0
.LBB31_1609:
	s_delay_alu instid0(SALU_CYCLE_1)
	s_or_b32 exec_lo, exec_lo, s11
.LBB31_1610:
	s_delay_alu instid0(SALU_CYCLE_1) | instskip(SKIP_2) | instid1(VALU_DEP_1)
	s_or_b32 exec_lo, exec_lo, s10
	v_cmp_gt_i16_e32 vcc_lo, 11, v10
	v_add_co_u32 v7, s0, s6, v5
	v_add_co_ci_u32_e64 v8, null, s7, 0, s0
	s_mov_b32 s6, 0
	s_cbranch_vccnz .LBB31_1617
; %bb.1611:
	v_cmp_lt_i16_e32 vcc_lo, 25, v10
	s_mov_b32 s1, 0
	s_cbranch_vccz .LBB31_1618
; %bb.1612:
	v_cmp_lt_i16_e32 vcc_lo, 28, v10
	s_cbranch_vccz .LBB31_1619
; %bb.1613:
	v_cmp_lt_i16_e32 vcc_lo, 43, v10
	;; [unrolled: 3-line block ×3, first 2 shown]
	s_cbranch_vccz .LBB31_1623
; %bb.1615:
	v_cmp_eq_u16_e32 vcc_lo, 46, v10
	s_mov_b32 s7, 0
	s_cbranch_vccz .LBB31_1626
; %bb.1616:
	global_load_b32 v5, v[7:8], off
	s_mov_b32 s0, 0
	s_mov_b32 s6, -1
	s_waitcnt vmcnt(0)
	v_lshlrev_b32_e32 v5, 16, v5
	s_branch .LBB31_1628
.LBB31_1617:
	s_mov_b32 s0, -1
                                        ; implicit-def: $vgpr5
	s_branch .LBB31_1694
.LBB31_1618:
	s_mov_b32 s7, -1
	s_mov_b32 s0, 0
                                        ; implicit-def: $vgpr5
	s_branch .LBB31_1657
.LBB31_1619:
	s_mov_b32 s7, -1
	s_mov_b32 s0, 0
                                        ; implicit-def: $vgpr5
	s_branch .LBB31_1638
.LBB31_1620:
	s_mov_b32 s7, -1
	s_mov_b32 s0, 0
                                        ; implicit-def: $vgpr5
	s_branch .LBB31_1633
.LBB31_1621:
	s_cbranch_execnz .LBB31_1624
; %bb.1622:
	s_or_b32 s2, s2, exec_lo
                                        ; implicit-def: $vgpr9
	s_cbranch_execz .LBB31_1595
	s_branch .LBB31_1596
.LBB31_1623:
	s_mov_b32 s7, -1
	s_mov_b32 s0, 0
	s_branch .LBB31_1627
.LBB31_1624:
	s_trap 2
	s_sendmsg_rtn_b32 s0, sendmsg(MSG_RTN_GET_DOORBELL)
	s_mov_b32 ttmp2, m0
	s_waitcnt lgkmcnt(0)
	s_and_b32 s0, s0, 0x3ff
	s_delay_alu instid0(SALU_CYCLE_1) | instskip(NEXT) | instid1(SALU_CYCLE_1)
	s_bitset1_b32 s0, 10
	s_mov_b32 m0, s0
	s_sendmsg sendmsg(MSG_INTERRUPT)
	s_mov_b32 m0, ttmp2
.LBB31_1625:                            ; =>This Inner Loop Header: Depth=1
	s_sethalt 5
	s_branch .LBB31_1625
.LBB31_1626:
	s_mov_b32 s0, -1
.LBB31_1627:
                                        ; implicit-def: $vgpr5
.LBB31_1628:
	s_and_b32 vcc_lo, exec_lo, s7
	s_cbranch_vccz .LBB31_1632
; %bb.1629:
	v_cmp_eq_u16_e32 vcc_lo, 44, v10
	s_cbranch_vccz .LBB31_1631
; %bb.1630:
	global_load_u8 v5, v[7:8], off
	s_mov_b32 s0, 0
	s_mov_b32 s6, -1
	s_waitcnt vmcnt(0)
	v_lshlrev_b32_e32 v11, 23, v5
	v_cmp_ne_u32_e32 vcc_lo, 0xff, v5
	s_delay_alu instid0(VALU_DEP_2) | instskip(SKIP_1) | instid1(VALU_DEP_2)
	v_cndmask_b32_e32 v11, 0x7f800001, v11, vcc_lo
	v_cmp_ne_u32_e32 vcc_lo, 0, v5
	v_cndmask_b32_e32 v5, 0x400000, v11, vcc_lo
	s_branch .LBB31_1632
.LBB31_1631:
	s_mov_b32 s0, -1
                                        ; implicit-def: $vgpr5
.LBB31_1632:
	s_mov_b32 s7, 0
.LBB31_1633:
	s_delay_alu instid0(SALU_CYCLE_1)
	s_and_b32 vcc_lo, exec_lo, s7
	s_cbranch_vccz .LBB31_1637
; %bb.1634:
	v_cmp_eq_u16_e32 vcc_lo, 29, v10
	s_cbranch_vccz .LBB31_1636
; %bb.1635:
	global_load_b64 v[11:12], v[7:8], off
	s_mov_b32 s0, 0
	s_mov_b32 s6, -1
	s_mov_b32 s7, 0
	s_waitcnt vmcnt(0)
	v_clz_i32_u32_e32 v5, v12
	s_delay_alu instid0(VALU_DEP_1) | instskip(NEXT) | instid1(VALU_DEP_1)
	v_min_u32_e32 v5, 32, v5
	v_lshlrev_b64 v[11:12], v5, v[11:12]
	v_sub_nc_u32_e32 v5, 32, v5
	s_delay_alu instid0(VALU_DEP_2) | instskip(NEXT) | instid1(VALU_DEP_1)
	v_min_u32_e32 v11, 1, v11
	v_or_b32_e32 v11, v12, v11
	s_delay_alu instid0(VALU_DEP_1) | instskip(NEXT) | instid1(VALU_DEP_1)
	v_cvt_f32_u32_e32 v11, v11
	v_ldexp_f32 v5, v11, v5
	s_branch .LBB31_1638
.LBB31_1636:
	s_mov_b32 s0, -1
                                        ; implicit-def: $vgpr5
.LBB31_1637:
	s_mov_b32 s7, 0
.LBB31_1638:
	s_delay_alu instid0(SALU_CYCLE_1)
	s_and_b32 vcc_lo, exec_lo, s7
	s_cbranch_vccz .LBB31_1656
; %bb.1639:
	v_cmp_gt_i16_e32 vcc_lo, 27, v10
	s_cbranch_vccnz .LBB31_1642
; %bb.1640:
	v_cmp_lt_i16_e32 vcc_lo, 27, v10
	s_cbranch_vccz .LBB31_1643
; %bb.1641:
	global_load_b32 v5, v[7:8], off
	s_mov_b32 s6, 0
	s_waitcnt vmcnt(0)
	v_cvt_f32_u32_e32 v5, v5
	s_branch .LBB31_1644
.LBB31_1642:
	s_mov_b32 s6, -1
                                        ; implicit-def: $vgpr5
	s_branch .LBB31_1647
.LBB31_1643:
	s_mov_b32 s6, -1
                                        ; implicit-def: $vgpr5
.LBB31_1644:
	s_delay_alu instid0(SALU_CYCLE_1)
	s_and_not1_b32 vcc_lo, exec_lo, s6
	s_cbranch_vccnz .LBB31_1646
; %bb.1645:
	global_load_u16 v5, v[7:8], off
	s_waitcnt vmcnt(0)
	v_cvt_f32_u32_e32 v5, v5
.LBB31_1646:
	s_mov_b32 s6, 0
.LBB31_1647:
	s_delay_alu instid0(SALU_CYCLE_1)
	s_and_not1_b32 vcc_lo, exec_lo, s6
	s_cbranch_vccnz .LBB31_1655
; %bb.1648:
	global_load_u8 v11, v[7:8], off
	s_mov_b32 s6, 0
	s_mov_b32 s10, exec_lo
                                        ; implicit-def: $sgpr7
	s_waitcnt vmcnt(0)
	v_cmpx_lt_i16_e32 0x7f, v11
	s_xor_b32 s10, exec_lo, s10
	s_cbranch_execz .LBB31_1669
; %bb.1649:
	s_mov_b32 s6, -1
	s_mov_b32 s11, exec_lo
                                        ; implicit-def: $sgpr7
	v_cmpx_eq_u16_e32 0x80, v11
; %bb.1650:
	s_mov_b32 s7, 0x7f800001
	s_xor_b32 s6, exec_lo, -1
; %bb.1651:
	s_or_b32 exec_lo, exec_lo, s11
	s_delay_alu instid0(SALU_CYCLE_1)
	s_and_b32 s6, s6, exec_lo
	s_or_saveexec_b32 s10, s10
	v_mov_b32_e32 v5, s7
	s_xor_b32 exec_lo, exec_lo, s10
	s_cbranch_execnz .LBB31_1670
.LBB31_1652:
	s_or_b32 exec_lo, exec_lo, s10
	s_and_saveexec_b32 s7, s6
	s_cbranch_execz .LBB31_1654
.LBB31_1653:
	v_and_b32_e32 v5, 0xffff, v11
	v_lshlrev_b32_e32 v11, 24, v11
	s_delay_alu instid0(VALU_DEP_2) | instskip(NEXT) | instid1(VALU_DEP_2)
	v_and_b32_e32 v12, 7, v5
	v_and_b32_e32 v11, 0x80000000, v11
	s_delay_alu instid0(VALU_DEP_2) | instskip(NEXT) | instid1(VALU_DEP_1)
	v_clz_i32_u32_e32 v13, v12
	v_min_u32_e32 v13, 32, v13
	s_delay_alu instid0(VALU_DEP_1) | instskip(SKIP_1) | instid1(VALU_DEP_2)
	v_subrev_nc_u32_e32 v14, 28, v13
	v_sub_nc_u32_e32 v13, 29, v13
	v_lshlrev_b32_e32 v14, v14, v5
	v_bfe_u32 v5, v5, 3, 4
	s_delay_alu instid0(VALU_DEP_1) | instskip(NEXT) | instid1(VALU_DEP_3)
	v_cmp_eq_u32_e32 vcc_lo, 0, v5
	v_dual_cndmask_b32 v5, v5, v13 :: v_dual_and_b32 v14, 7, v14
	s_delay_alu instid0(VALU_DEP_1) | instskip(NEXT) | instid1(VALU_DEP_2)
	v_cndmask_b32_e32 v12, v12, v14, vcc_lo
	v_lshl_add_u32 v5, v5, 23, 0x3b800000
	s_delay_alu instid0(VALU_DEP_2) | instskip(NEXT) | instid1(VALU_DEP_1)
	v_lshlrev_b32_e32 v12, 20, v12
	v_or3_b32 v5, v11, v5, v12
.LBB31_1654:
	s_or_b32 exec_lo, exec_lo, s7
.LBB31_1655:
	s_mov_b32 s6, -1
.LBB31_1656:
	s_mov_b32 s7, 0
.LBB31_1657:
	s_delay_alu instid0(SALU_CYCLE_1)
	s_and_b32 vcc_lo, exec_lo, s7
	s_cbranch_vccz .LBB31_1690
; %bb.1658:
	v_cmp_lt_i16_e32 vcc_lo, 22, v10
	s_cbranch_vccz .LBB31_1668
; %bb.1659:
	v_cmp_gt_i16_e32 vcc_lo, 24, v10
	s_cbranch_vccnz .LBB31_1671
; %bb.1660:
	v_cmp_lt_i16_e32 vcc_lo, 24, v10
	s_cbranch_vccz .LBB31_1672
; %bb.1661:
	global_load_u8 v11, v[7:8], off
	s_mov_b32 s7, exec_lo
                                        ; implicit-def: $sgpr6
	s_waitcnt vmcnt(0)
	v_cmpx_lt_i16_e32 0x7f, v11
	s_xor_b32 s7, exec_lo, s7
	s_cbranch_execz .LBB31_1684
; %bb.1662:
	s_mov_b32 s1, -1
	s_mov_b32 s10, exec_lo
                                        ; implicit-def: $sgpr6
	v_cmpx_eq_u16_e32 0x80, v11
; %bb.1663:
	s_mov_b32 s6, 0x7f800001
	s_xor_b32 s1, exec_lo, -1
; %bb.1664:
	s_or_b32 exec_lo, exec_lo, s10
	s_delay_alu instid0(SALU_CYCLE_1)
	s_and_b32 s1, s1, exec_lo
	s_or_saveexec_b32 s7, s7
	v_mov_b32_e32 v5, s6
	s_xor_b32 exec_lo, exec_lo, s7
	s_cbranch_execnz .LBB31_1685
.LBB31_1665:
	s_or_b32 exec_lo, exec_lo, s7
	s_and_saveexec_b32 s6, s1
	s_cbranch_execz .LBB31_1667
.LBB31_1666:
	v_and_b32_e32 v5, 0xffff, v11
	v_lshlrev_b32_e32 v11, 24, v11
	s_delay_alu instid0(VALU_DEP_2) | instskip(NEXT) | instid1(VALU_DEP_2)
	v_and_b32_e32 v12, 3, v5
	v_and_b32_e32 v11, 0x80000000, v11
	s_delay_alu instid0(VALU_DEP_2) | instskip(NEXT) | instid1(VALU_DEP_1)
	v_clz_i32_u32_e32 v13, v12
	v_min_u32_e32 v13, 32, v13
	s_delay_alu instid0(VALU_DEP_1) | instskip(SKIP_1) | instid1(VALU_DEP_2)
	v_subrev_nc_u32_e32 v14, 29, v13
	v_sub_nc_u32_e32 v13, 30, v13
	v_lshlrev_b32_e32 v14, v14, v5
	v_bfe_u32 v5, v5, 2, 5
	s_delay_alu instid0(VALU_DEP_1) | instskip(NEXT) | instid1(VALU_DEP_3)
	v_cmp_eq_u32_e32 vcc_lo, 0, v5
	v_dual_cndmask_b32 v5, v5, v13 :: v_dual_and_b32 v14, 3, v14
	s_delay_alu instid0(VALU_DEP_1) | instskip(NEXT) | instid1(VALU_DEP_2)
	v_cndmask_b32_e32 v12, v12, v14, vcc_lo
	v_lshl_add_u32 v5, v5, 23, 0x37800000
	s_delay_alu instid0(VALU_DEP_2) | instskip(NEXT) | instid1(VALU_DEP_1)
	v_lshlrev_b32_e32 v12, 21, v12
	v_or3_b32 v5, v11, v5, v12
.LBB31_1667:
	s_or_b32 exec_lo, exec_lo, s6
	s_mov_b32 s1, 0
	s_branch .LBB31_1673
.LBB31_1668:
	s_mov_b32 s1, -1
                                        ; implicit-def: $vgpr5
	s_branch .LBB31_1679
.LBB31_1669:
	s_or_saveexec_b32 s10, s10
	v_mov_b32_e32 v5, s7
	s_xor_b32 exec_lo, exec_lo, s10
	s_cbranch_execz .LBB31_1652
.LBB31_1670:
	v_cmp_ne_u16_e32 vcc_lo, 0, v11
	v_mov_b32_e32 v5, 0
	s_and_not1_b32 s6, s6, exec_lo
	s_and_b32 s7, vcc_lo, exec_lo
	s_delay_alu instid0(SALU_CYCLE_1)
	s_or_b32 s6, s6, s7
	s_or_b32 exec_lo, exec_lo, s10
	s_and_saveexec_b32 s7, s6
	s_cbranch_execnz .LBB31_1653
	s_branch .LBB31_1654
.LBB31_1671:
	s_mov_b32 s1, -1
                                        ; implicit-def: $vgpr5
	s_branch .LBB31_1676
.LBB31_1672:
	s_mov_b32 s1, -1
                                        ; implicit-def: $vgpr5
.LBB31_1673:
	s_delay_alu instid0(SALU_CYCLE_1)
	s_and_b32 vcc_lo, exec_lo, s1
	s_cbranch_vccz .LBB31_1675
; %bb.1674:
	global_load_u8 v5, v[7:8], off
	s_waitcnt vmcnt(0)
	v_lshlrev_b32_e32 v5, 24, v5
	s_delay_alu instid0(VALU_DEP_1) | instskip(NEXT) | instid1(VALU_DEP_1)
	v_and_b32_e32 v11, 0x7f000000, v5
	v_clz_i32_u32_e32 v12, v11
	v_cmp_ne_u32_e32 vcc_lo, 0, v11
	v_add_nc_u32_e32 v14, 0x1000000, v11
	s_delay_alu instid0(VALU_DEP_3) | instskip(NEXT) | instid1(VALU_DEP_1)
	v_min_u32_e32 v12, 32, v12
	v_sub_nc_u32_e64 v12, v12, 4 clamp
	s_delay_alu instid0(VALU_DEP_1) | instskip(SKIP_1) | instid1(VALU_DEP_2)
	v_lshlrev_b32_e32 v13, v12, v11
	v_lshlrev_b32_e32 v12, 23, v12
	v_lshrrev_b32_e32 v13, 4, v13
	s_delay_alu instid0(VALU_DEP_1) | instskip(SKIP_1) | instid1(VALU_DEP_2)
	v_sub_nc_u32_e32 v12, v13, v12
	v_ashrrev_i32_e32 v13, 8, v14
	v_add_nc_u32_e32 v12, 0x3c000000, v12
	s_delay_alu instid0(VALU_DEP_1) | instskip(NEXT) | instid1(VALU_DEP_1)
	v_and_or_b32 v12, 0x7f800000, v13, v12
	v_cndmask_b32_e32 v11, 0, v12, vcc_lo
	s_delay_alu instid0(VALU_DEP_1)
	v_and_or_b32 v5, 0x80000000, v5, v11
.LBB31_1675:
	s_mov_b32 s1, 0
.LBB31_1676:
	s_delay_alu instid0(SALU_CYCLE_1)
	s_and_not1_b32 vcc_lo, exec_lo, s1
	s_cbranch_vccnz .LBB31_1678
; %bb.1677:
	global_load_u8 v5, v[7:8], off
	s_waitcnt vmcnt(0)
	v_lshlrev_b32_e32 v11, 25, v5
	v_lshlrev_b16 v5, 8, v5
	s_delay_alu instid0(VALU_DEP_2) | instskip(NEXT) | instid1(VALU_DEP_2)
	v_lshrrev_b32_e32 v12, 4, v11
	v_and_or_b32 v13, 0x7f00, v5, 0.5
	v_bfe_i32 v5, v5, 0, 16
	s_delay_alu instid0(VALU_DEP_3) | instskip(NEXT) | instid1(VALU_DEP_1)
	v_or_b32_e32 v12, 0x70000000, v12
	v_dual_add_f32 v13, -0.5, v13 :: v_dual_mul_f32 v12, 0x7800000, v12
	v_cmp_gt_u32_e32 vcc_lo, 0x8000000, v11
	s_delay_alu instid0(VALU_DEP_2) | instskip(NEXT) | instid1(VALU_DEP_1)
	v_cndmask_b32_e32 v11, v12, v13, vcc_lo
	v_and_or_b32 v5, 0x80000000, v5, v11
.LBB31_1678:
	s_mov_b32 s1, 0
	s_mov_b32 s6, -1
.LBB31_1679:
	s_and_not1_b32 vcc_lo, exec_lo, s1
	s_mov_b32 s1, 0
	s_cbranch_vccnz .LBB31_1690
; %bb.1680:
	v_cmp_lt_i16_e32 vcc_lo, 14, v10
	s_cbranch_vccz .LBB31_1683
; %bb.1681:
	v_cmp_eq_u16_e32 vcc_lo, 15, v10
	s_cbranch_vccz .LBB31_1686
; %bb.1682:
	global_load_u16 v5, v[7:8], off
	s_mov_b32 s0, 0
	s_mov_b32 s6, -1
	s_waitcnt vmcnt(0)
	v_lshlrev_b32_e32 v5, 16, v5
	s_branch .LBB31_1688
.LBB31_1683:
	s_mov_b32 s1, -1
	s_branch .LBB31_1687
.LBB31_1684:
	s_or_saveexec_b32 s7, s7
	v_mov_b32_e32 v5, s6
	s_xor_b32 exec_lo, exec_lo, s7
	s_cbranch_execz .LBB31_1665
.LBB31_1685:
	v_cmp_ne_u16_e32 vcc_lo, 0, v11
	v_mov_b32_e32 v5, 0
	s_and_not1_b32 s1, s1, exec_lo
	s_and_b32 s6, vcc_lo, exec_lo
	s_delay_alu instid0(SALU_CYCLE_1)
	s_or_b32 s1, s1, s6
	s_or_b32 exec_lo, exec_lo, s7
	s_and_saveexec_b32 s6, s1
	s_cbranch_execnz .LBB31_1666
	s_branch .LBB31_1667
.LBB31_1686:
	s_mov_b32 s0, -1
.LBB31_1687:
                                        ; implicit-def: $vgpr5
.LBB31_1688:
	s_and_b32 vcc_lo, exec_lo, s1
	s_mov_b32 s1, 0
	s_cbranch_vccz .LBB31_1690
; %bb.1689:
	v_cmp_ne_u16_e64 s0, 11, v10
	s_mov_b32 s1, -1
                                        ; implicit-def: $vgpr5
.LBB31_1690:
	s_delay_alu instid0(VALU_DEP_1)
	s_and_b32 vcc_lo, exec_lo, s0
	s_cbranch_vccnz .LBB31_1810
; %bb.1691:
	s_and_not1_b32 vcc_lo, exec_lo, s1
	s_cbranch_vccnz .LBB31_1693
.LBB31_1692:
	global_load_u8 v5, v[7:8], off
	s_mov_b32 s6, -1
	s_waitcnt vmcnt(0)
	v_cmp_ne_u16_e32 vcc_lo, 0, v5
	v_cndmask_b32_e64 v5, 0, 1.0, vcc_lo
.LBB31_1693:
	s_mov_b32 s0, 0
.LBB31_1694:
	s_delay_alu instid0(SALU_CYCLE_1)
	s_and_b32 vcc_lo, exec_lo, s0
	s_cbranch_vccz .LBB31_1743
; %bb.1695:
	v_cmp_gt_i16_e32 vcc_lo, 5, v10
	s_cbranch_vccnz .LBB31_1700
; %bb.1696:
	v_cmp_gt_i16_e32 vcc_lo, 8, v10
	s_cbranch_vccnz .LBB31_1701
; %bb.1697:
	v_cmp_gt_i16_e32 vcc_lo, 9, v10
	s_cbranch_vccnz .LBB31_1702
; %bb.1698:
	v_cmp_lt_i16_e32 vcc_lo, 9, v10
	s_cbranch_vccz .LBB31_1703
; %bb.1699:
	global_load_b64 v[11:12], v[7:8], off
	s_mov_b32 s0, 0
	s_waitcnt vmcnt(0)
	v_cvt_f32_f64_e32 v5, v[11:12]
	s_branch .LBB31_1704
.LBB31_1700:
	s_mov_b32 s0, -1
                                        ; implicit-def: $vgpr5
	s_branch .LBB31_1722
.LBB31_1701:
	s_mov_b32 s0, -1
                                        ; implicit-def: $vgpr5
	s_branch .LBB31_1710
.LBB31_1702:
	s_mov_b32 s0, -1
                                        ; implicit-def: $vgpr5
	s_branch .LBB31_1707
.LBB31_1703:
	s_mov_b32 s0, -1
                                        ; implicit-def: $vgpr5
.LBB31_1704:
	s_delay_alu instid0(SALU_CYCLE_1)
	s_and_not1_b32 vcc_lo, exec_lo, s0
	s_cbranch_vccnz .LBB31_1706
; %bb.1705:
	global_load_b32 v5, v[7:8], off
.LBB31_1706:
	s_mov_b32 s0, 0
.LBB31_1707:
	s_delay_alu instid0(SALU_CYCLE_1)
	s_and_not1_b32 vcc_lo, exec_lo, s0
	s_cbranch_vccnz .LBB31_1709
; %bb.1708:
	global_load_b32 v5, v[7:8], off
	s_waitcnt vmcnt(0)
	v_cvt_f32_f16_e32 v5, v5
.LBB31_1709:
	s_mov_b32 s0, 0
.LBB31_1710:
	s_delay_alu instid0(SALU_CYCLE_1)
	s_and_not1_b32 vcc_lo, exec_lo, s0
	s_cbranch_vccnz .LBB31_1721
; %bb.1711:
	v_cmp_gt_i16_e32 vcc_lo, 6, v10
	s_cbranch_vccnz .LBB31_1714
; %bb.1712:
	v_cmp_lt_i16_e32 vcc_lo, 6, v10
	s_cbranch_vccz .LBB31_1715
; %bb.1713:
	global_load_b64 v[11:12], v[7:8], off
	s_mov_b32 s0, 0
	s_waitcnt vmcnt(0)
	v_cvt_f32_f64_e32 v5, v[11:12]
	s_branch .LBB31_1716
.LBB31_1714:
	s_mov_b32 s0, -1
                                        ; implicit-def: $vgpr5
	s_branch .LBB31_1719
.LBB31_1715:
	s_mov_b32 s0, -1
                                        ; implicit-def: $vgpr5
.LBB31_1716:
	s_delay_alu instid0(SALU_CYCLE_1)
	s_and_not1_b32 vcc_lo, exec_lo, s0
	s_cbranch_vccnz .LBB31_1718
; %bb.1717:
	global_load_b32 v5, v[7:8], off
.LBB31_1718:
	s_mov_b32 s0, 0
.LBB31_1719:
	s_delay_alu instid0(SALU_CYCLE_1)
	s_and_not1_b32 vcc_lo, exec_lo, s0
	s_cbranch_vccnz .LBB31_1721
; %bb.1720:
	global_load_u16 v5, v[7:8], off
	s_waitcnt vmcnt(0)
	v_cvt_f32_f16_e32 v5, v5
.LBB31_1721:
	s_mov_b32 s0, 0
.LBB31_1722:
	s_delay_alu instid0(SALU_CYCLE_1)
	s_and_not1_b32 vcc_lo, exec_lo, s0
	s_cbranch_vccnz .LBB31_1742
; %bb.1723:
	v_cmp_gt_i16_e32 vcc_lo, 2, v10
	s_cbranch_vccnz .LBB31_1727
; %bb.1724:
	v_cmp_gt_i16_e32 vcc_lo, 3, v10
	s_cbranch_vccnz .LBB31_1728
; %bb.1725:
	v_cmp_lt_i16_e32 vcc_lo, 3, v10
	s_cbranch_vccz .LBB31_1729
; %bb.1726:
	global_load_b64 v[11:12], v[7:8], off
	s_mov_b32 s0, 0
	s_waitcnt vmcnt(0)
	v_xor_b32_e32 v5, v11, v12
	v_cls_i32_e32 v13, v12
	s_delay_alu instid0(VALU_DEP_2) | instskip(NEXT) | instid1(VALU_DEP_2)
	v_ashrrev_i32_e32 v5, 31, v5
	v_add_nc_u32_e32 v13, -1, v13
	s_delay_alu instid0(VALU_DEP_2) | instskip(NEXT) | instid1(VALU_DEP_1)
	v_add_nc_u32_e32 v5, 32, v5
	v_min_u32_e32 v5, v13, v5
	s_delay_alu instid0(VALU_DEP_1) | instskip(SKIP_1) | instid1(VALU_DEP_2)
	v_lshlrev_b64 v[11:12], v5, v[11:12]
	v_sub_nc_u32_e32 v5, 32, v5
	v_min_u32_e32 v11, 1, v11
	s_delay_alu instid0(VALU_DEP_1) | instskip(NEXT) | instid1(VALU_DEP_1)
	v_or_b32_e32 v11, v12, v11
	v_cvt_f32_i32_e32 v11, v11
	s_delay_alu instid0(VALU_DEP_1)
	v_ldexp_f32 v5, v11, v5
	s_branch .LBB31_1730
.LBB31_1727:
	s_mov_b32 s0, -1
                                        ; implicit-def: $vgpr5
	s_branch .LBB31_1736
.LBB31_1728:
	s_mov_b32 s0, -1
                                        ; implicit-def: $vgpr5
	s_branch .LBB31_1733
.LBB31_1729:
	s_mov_b32 s0, -1
                                        ; implicit-def: $vgpr5
.LBB31_1730:
	s_delay_alu instid0(SALU_CYCLE_1)
	s_and_not1_b32 vcc_lo, exec_lo, s0
	s_cbranch_vccnz .LBB31_1732
; %bb.1731:
	global_load_b32 v5, v[7:8], off
	s_waitcnt vmcnt(0)
	v_cvt_f32_i32_e32 v5, v5
.LBB31_1732:
	s_mov_b32 s0, 0
.LBB31_1733:
	s_delay_alu instid0(SALU_CYCLE_1)
	s_and_not1_b32 vcc_lo, exec_lo, s0
	s_cbranch_vccnz .LBB31_1735
; %bb.1734:
	global_load_i16 v5, v[7:8], off
	s_waitcnt vmcnt(0)
	v_cvt_f32_i32_e32 v5, v5
.LBB31_1735:
	s_mov_b32 s0, 0
.LBB31_1736:
	s_delay_alu instid0(SALU_CYCLE_1)
	s_and_not1_b32 vcc_lo, exec_lo, s0
	s_cbranch_vccnz .LBB31_1742
; %bb.1737:
	v_cmp_lt_i16_e32 vcc_lo, 0, v10
	s_mov_b32 s0, 0
	s_cbranch_vccz .LBB31_1739
; %bb.1738:
	global_load_i8 v5, v[7:8], off
	s_waitcnt vmcnt(0)
	v_cvt_f32_i32_e32 v5, v5
	s_branch .LBB31_1740
.LBB31_1739:
	s_mov_b32 s0, -1
                                        ; implicit-def: $vgpr5
.LBB31_1740:
	s_delay_alu instid0(SALU_CYCLE_1)
	s_and_not1_b32 vcc_lo, exec_lo, s0
	s_cbranch_vccnz .LBB31_1742
; %bb.1741:
	global_load_u8 v5, v[7:8], off
	s_waitcnt vmcnt(0)
	v_cvt_f32_ubyte0_e32 v5, v5
.LBB31_1742:
	s_mov_b32 s6, -1
.LBB31_1743:
	s_delay_alu instid0(SALU_CYCLE_1)
	s_and_not1_b32 vcc_lo, exec_lo, s6
	s_cbranch_vccnz .LBB31_1763
; %bb.1744:
	s_waitcnt vmcnt(0)
	s_delay_alu instid0(VALU_DEP_1) | instskip(SKIP_1) | instid1(VALU_DEP_1)
	v_trunc_f32_e32 v7, v5
	s_mov_b32 s6, exec_lo
	v_mul_f32_e64 v8, 0x2f800000, |v7|
	s_delay_alu instid0(VALU_DEP_1) | instskip(NEXT) | instid1(VALU_DEP_1)
	v_floor_f32_e32 v8, v8
	v_fma_f32 v10, 0xcf800000, v8, |v7|
	v_ashrrev_i32_e32 v7, 31, v7
	v_cvt_u32_f32_e32 v8, v8
	s_delay_alu instid0(VALU_DEP_3) | instskip(NEXT) | instid1(VALU_DEP_2)
	v_cvt_u32_f32_e32 v10, v10
	v_xor_b32_e32 v8, v8, v7
	s_delay_alu instid0(VALU_DEP_2) | instskip(NEXT) | instid1(VALU_DEP_1)
	v_xor_b32_e32 v10, v10, v7
	v_sub_co_u32 v10, vcc_lo, v10, v7
	s_delay_alu instid0(VALU_DEP_3) | instskip(SKIP_1) | instid1(VALU_DEP_2)
	v_sub_co_ci_u32_e32 v7, vcc_lo, v8, v7, vcc_lo
	v_cmp_class_f32_e64 vcc_lo, v5, 0x1f8
	v_dual_mov_b32 v8, 0 :: v_dual_cndmask_b32 v11, -1, v7
	s_delay_alu instid0(VALU_DEP_4) | instskip(NEXT) | instid1(VALU_DEP_1)
	v_cndmask_b32_e32 v10, -1, v10, vcc_lo
	v_cmpx_lt_i64_e32 -1, v[10:11]
	s_cbranch_execz .LBB31_1756
; %bb.1745:
	v_mov_b32_e32 v8, 1.0
	s_mov_b32 s7, exec_lo
	v_cmpx_lt_i64_e32 0, v[10:11]
	s_cbranch_execz .LBB31_1755
; %bb.1746:
                                        ; implicit-def: $vgpr8
	s_mov_b32 s0, exec_lo
	v_cmpx_ne_u64_e32 1, v[10:11]
	s_xor_b32 s10, exec_lo, s0
	s_cbranch_execz .LBB31_1752
; %bb.1747:
	v_mov_b32_e32 v8, 0x7fc00000
	s_mov_b32 s11, exec_lo
	v_cmpx_gt_u64_e32 0x81, v[10:11]
	s_cbranch_execz .LBB31_1751
; %bb.1748:
	s_waitcnt lgkmcnt(0)
	v_add_f32_e64 v5, s3, s3
	v_lshlrev_b64 v[10:11], 1, v[10:11]
	v_mov_b32_e32 v7, 1.0
	s_mov_b64 s[0:1], 2
	s_mov_b32 s12, 0
	v_mov_b32_e32 v8, v5
.LBB31_1749:                            ; =>This Inner Loop Header: Depth=1
	s_clz_i32_u32 s13, s1
	s_delay_alu instid0(SALU_CYCLE_1) | instskip(NEXT) | instid1(SALU_CYCLE_1)
	s_min_u32 s13, s13, 32
	s_lshl_b64 s[14:15], s[0:1], s13
	s_sub_i32 s13, 32, s13
	s_min_u32 s14, s14, 1
	s_delay_alu instid0(SALU_CYCLE_1) | instskip(SKIP_3) | instid1(SALU_CYCLE_1)
	s_or_b32 s14, s15, s14
	s_add_u32 s0, s0, 2
	v_cvt_f32_u32_e32 v12, s14
	s_addc_u32 s1, s1, 0
	v_cmp_ge_u64_e32 vcc_lo, s[0:1], v[10:11]
	s_delay_alu instid0(VALU_DEP_2) | instskip(SKIP_1) | instid1(VALU_DEP_1)
	v_ldexp_f32 v12, v12, s13
	s_or_b32 s12, vcc_lo, s12
	v_dual_mul_f32 v12, v7, v12 :: v_dual_mov_b32 v7, v8
	s_delay_alu instid0(VALU_DEP_1)
	v_fma_f32 v8, v5, v8, -v12
	s_and_not1_b32 exec_lo, exec_lo, s12
	s_cbranch_execnz .LBB31_1749
; %bb.1750:
	s_or_b32 exec_lo, exec_lo, s12
.LBB31_1751:
	s_delay_alu instid0(SALU_CYCLE_1)
	s_or_b32 exec_lo, exec_lo, s11
.LBB31_1752:
	s_and_not1_saveexec_b32 s0, s10
	s_cbranch_execz .LBB31_1754
; %bb.1753:
	s_waitcnt lgkmcnt(0)
	v_add_f32_e64 v8, s3, s3
.LBB31_1754:
	s_or_b32 exec_lo, exec_lo, s0
.LBB31_1755:
	s_delay_alu instid0(SALU_CYCLE_1)
	s_or_b32 exec_lo, exec_lo, s7
.LBB31_1756:
	s_delay_alu instid0(SALU_CYCLE_1) | instskip(SKIP_2) | instid1(VALU_DEP_1)
	s_or_b32 exec_lo, exec_lo, s6
	s_load_b32 s0, s[16:17], 0x160
	v_add_co_u32 v10, s1, s4, v3
	v_add_co_ci_u32_e64 v11, null, s5, 0, s1
	s_mov_b32 s6, 0
	s_waitcnt lgkmcnt(0)
	s_and_b32 s3, s0, 0xff
	s_delay_alu instid0(SALU_CYCLE_1) | instskip(NEXT) | instid1(VALU_DEP_1)
	v_cmp_lt_i16_e64 s0, s3, 11
	s_and_b32 vcc_lo, exec_lo, s0
	s_mov_b32 s0, -1
	s_cbranch_vccnz .LBB31_1884
; %bb.1757:
	v_cmp_gt_i16_e64 s0, s3, 25
	s_mov_b32 s7, -1
	s_mov_b32 s1, 0
	s_delay_alu instid0(VALU_DEP_1)
	s_and_b32 vcc_lo, exec_lo, s0
	s_mov_b32 s0, 0
	s_cbranch_vccz .LBB31_1840
; %bb.1758:
	v_cmp_gt_i16_e64 s0, s3, 28
	s_delay_alu instid0(VALU_DEP_1)
	s_and_b32 vcc_lo, exec_lo, s0
	s_cbranch_vccz .LBB31_1808
; %bb.1759:
	v_cmp_gt_i16_e64 s0, s3, 43
	s_delay_alu instid0(VALU_DEP_1)
	s_and_b32 vcc_lo, exec_lo, s0
	;; [unrolled: 5-line block ×3, first 2 shown]
	s_cbranch_vccz .LBB31_1812
; %bb.1761:
	v_cmp_eq_u16_e64 s6, s3, 46
	s_mov_b32 s0, -1
	s_mov_b32 s7, 0
	s_delay_alu instid0(VALU_DEP_1)
	s_and_b32 vcc_lo, exec_lo, s6
	s_mov_b32 s6, 0
	s_cbranch_vccz .LBB31_1813
; %bb.1762:
	v_bfe_u32 v3, v4, 16, 1
	v_cmp_o_f32_e32 vcc_lo, v4, v4
	s_mov_b32 s0, 0
	s_mov_b32 s6, -1
	s_delay_alu instid0(VALU_DEP_2) | instskip(NEXT) | instid1(VALU_DEP_1)
	v_add3_u32 v3, v4, v3, 0x7fff
	v_lshrrev_b32_e32 v3, 16, v3
	s_delay_alu instid0(VALU_DEP_1)
	v_cndmask_b32_e32 v3, 0x7fc0, v3, vcc_lo
	global_store_b32 v[10:11], v3, off
	s_branch .LBB31_1813
.LBB31_1763:
	s_mov_b32 s0, 0
	s_mov_b32 s1, 0
                                        ; implicit-def: $vgpr0_vgpr1
                                        ; implicit-def: $sgpr3
                                        ; implicit-def: $vgpr8
.LBB31_1764:
	s_and_b32 s4, s0, exec_lo
	s_and_not1_b32 s0, s8, exec_lo
	s_and_b32 s2, s2, exec_lo
	s_and_b32 s28, s1, exec_lo
	s_or_b32 s8, s0, s2
.LBB31_1765:
	s_or_b32 exec_lo, exec_lo, s9
	s_and_saveexec_b32 s0, s8
	s_cbranch_execz .LBB31_1768
; %bb.1766:
	; divergent unreachable
	s_or_b32 exec_lo, exec_lo, s0
	s_and_saveexec_b32 s0, s28
	s_delay_alu instid0(SALU_CYCLE_1)
	s_xor_b32 s0, exec_lo, s0
	s_cbranch_execnz .LBB31_1769
.LBB31_1767:
	s_or_b32 exec_lo, exec_lo, s0
	s_and_saveexec_b32 s0, s4
	s_cbranch_execnz .LBB31_1770
	s_branch .LBB31_1807
.LBB31_1768:
	s_or_b32 exec_lo, exec_lo, s0
	s_and_saveexec_b32 s0, s28
	s_delay_alu instid0(SALU_CYCLE_1)
	s_xor_b32 s0, exec_lo, s0
	s_cbranch_execz .LBB31_1767
.LBB31_1769:
	s_waitcnt vmcnt(0)
	v_cmp_neq_f32_e32 vcc_lo, 0, v8
	v_cndmask_b32_e64 v2, 0, 1, vcc_lo
	global_store_b8 v[0:1], v2, off
	s_or_b32 exec_lo, exec_lo, s0
	s_and_saveexec_b32 s0, s4
	s_cbranch_execz .LBB31_1807
.LBB31_1770:
	s_waitcnt lgkmcnt(0)
	v_cmp_lt_i16_e64 s0, s3, 5
	s_delay_alu instid0(VALU_DEP_1)
	s_and_b32 vcc_lo, exec_lo, s0
	s_mov_b32 s0, -1
	s_cbranch_vccnz .LBB31_1791
; %bb.1771:
	v_cmp_lt_i16_e64 s0, s3, 8
	s_delay_alu instid0(VALU_DEP_1)
	s_and_b32 vcc_lo, exec_lo, s0
	s_mov_b32 s0, -1
	s_cbranch_vccnz .LBB31_1781
; %bb.1772:
	;; [unrolled: 6-line block ×3, first 2 shown]
	v_cmp_gt_i16_e64 s0, s3, 9
	s_delay_alu instid0(VALU_DEP_1)
	s_and_b32 vcc_lo, exec_lo, s0
	s_mov_b32 s0, -1
	s_cbranch_vccz .LBB31_1775
; %bb.1774:
	s_waitcnt vmcnt(0)
	v_cvt_f64_f32_e32 v[2:3], v8
	v_mov_b32_e32 v4, 0
	s_mov_b32 s0, 0
	s_delay_alu instid0(VALU_DEP_1)
	v_mov_b32_e32 v5, v4
	global_store_b128 v[0:1], v[2:5], off
.LBB31_1775:
	s_and_not1_b32 vcc_lo, exec_lo, s0
	s_cbranch_vccnz .LBB31_1777
; %bb.1776:
	s_waitcnt vmcnt(0)
	v_mov_b32_e32 v9, 0
	global_store_b64 v[0:1], v[8:9], off
.LBB31_1777:
	s_mov_b32 s0, 0
.LBB31_1778:
	s_delay_alu instid0(SALU_CYCLE_1)
	s_and_not1_b32 vcc_lo, exec_lo, s0
	s_cbranch_vccnz .LBB31_1780
; %bb.1779:
	s_waitcnt vmcnt(0)
	v_cvt_f16_f32_e32 v2, v8
	s_delay_alu instid0(VALU_DEP_1)
	v_and_b32_e32 v2, 0xffff, v2
	global_store_b32 v[0:1], v2, off
.LBB31_1780:
	s_mov_b32 s0, 0
.LBB31_1781:
	s_delay_alu instid0(SALU_CYCLE_1)
	s_and_not1_b32 vcc_lo, exec_lo, s0
	s_cbranch_vccnz .LBB31_1790
; %bb.1782:
	v_cmp_lt_i16_e64 s0, s3, 6
	s_delay_alu instid0(VALU_DEP_1)
	s_and_b32 vcc_lo, exec_lo, s0
	s_mov_b32 s0, -1
	s_cbranch_vccnz .LBB31_1788
; %bb.1783:
	v_cmp_gt_i16_e64 s0, s3, 6
	s_delay_alu instid0(VALU_DEP_1)
	s_and_b32 vcc_lo, exec_lo, s0
	s_mov_b32 s0, -1
	s_cbranch_vccz .LBB31_1785
; %bb.1784:
	s_waitcnt vmcnt(0)
	v_cvt_f64_f32_e32 v[2:3], v8
	s_mov_b32 s0, 0
	global_store_b64 v[0:1], v[2:3], off
.LBB31_1785:
	s_and_not1_b32 vcc_lo, exec_lo, s0
	s_cbranch_vccnz .LBB31_1787
; %bb.1786:
	s_waitcnt vmcnt(0)
	global_store_b32 v[0:1], v8, off
.LBB31_1787:
	s_mov_b32 s0, 0
.LBB31_1788:
	s_delay_alu instid0(SALU_CYCLE_1)
	s_and_not1_b32 vcc_lo, exec_lo, s0
	s_cbranch_vccnz .LBB31_1790
; %bb.1789:
	s_waitcnt vmcnt(0)
	v_cvt_f16_f32_e32 v2, v8
	global_store_b16 v[0:1], v2, off
.LBB31_1790:
	s_mov_b32 s0, 0
.LBB31_1791:
	s_delay_alu instid0(SALU_CYCLE_1)
	s_and_not1_b32 vcc_lo, exec_lo, s0
	s_cbranch_vccnz .LBB31_1807
; %bb.1792:
	v_cmp_lt_i16_e64 s0, s3, 2
	s_delay_alu instid0(VALU_DEP_1)
	s_and_b32 vcc_lo, exec_lo, s0
	s_mov_b32 s0, -1
	s_cbranch_vccnz .LBB31_1802
; %bb.1793:
	v_cmp_lt_i16_e64 s0, s3, 3
	s_delay_alu instid0(VALU_DEP_1)
	s_and_b32 vcc_lo, exec_lo, s0
	s_mov_b32 s0, -1
	s_cbranch_vccnz .LBB31_1799
; %bb.1794:
	v_cmp_gt_i16_e64 s0, s3, 3
	s_delay_alu instid0(VALU_DEP_1)
	s_and_b32 vcc_lo, exec_lo, s0
	s_mov_b32 s0, -1
	s_cbranch_vccz .LBB31_1796
; %bb.1795:
	s_waitcnt vmcnt(0)
	v_trunc_f32_e32 v2, v8
	s_mov_b32 s0, 0
	s_delay_alu instid0(VALU_DEP_1) | instskip(SKIP_1) | instid1(VALU_DEP_2)
	v_mul_f32_e64 v3, 0x2f800000, |v2|
	v_ashrrev_i32_e32 v5, 31, v2
	v_floor_f32_e32 v3, v3
	s_delay_alu instid0(VALU_DEP_1) | instskip(SKIP_1) | instid1(VALU_DEP_2)
	v_fma_f32 v4, 0xcf800000, v3, |v2|
	v_cvt_u32_f32_e32 v3, v3
	v_cvt_u32_f32_e32 v2, v4
	s_delay_alu instid0(VALU_DEP_2) | instskip(NEXT) | instid1(VALU_DEP_2)
	v_xor_b32_e32 v3, v3, v5
	v_xor_b32_e32 v2, v2, v5
	s_delay_alu instid0(VALU_DEP_1) | instskip(NEXT) | instid1(VALU_DEP_3)
	v_sub_co_u32 v2, vcc_lo, v2, v5
	v_sub_co_ci_u32_e32 v3, vcc_lo, v3, v5, vcc_lo
	global_store_b64 v[0:1], v[2:3], off
.LBB31_1796:
	s_and_not1_b32 vcc_lo, exec_lo, s0
	s_cbranch_vccnz .LBB31_1798
; %bb.1797:
	s_waitcnt vmcnt(0)
	v_cvt_i32_f32_e32 v2, v8
	global_store_b32 v[0:1], v2, off
.LBB31_1798:
	s_mov_b32 s0, 0
.LBB31_1799:
	s_delay_alu instid0(SALU_CYCLE_1)
	s_and_not1_b32 vcc_lo, exec_lo, s0
	s_cbranch_vccnz .LBB31_1801
; %bb.1800:
	s_waitcnt vmcnt(0)
	v_cvt_i32_f32_e32 v2, v8
	global_store_b16 v[0:1], v2, off
.LBB31_1801:
	s_mov_b32 s0, 0
.LBB31_1802:
	s_delay_alu instid0(SALU_CYCLE_1)
	s_and_not1_b32 vcc_lo, exec_lo, s0
	s_cbranch_vccnz .LBB31_1807
; %bb.1803:
	v_cmp_gt_i16_e64 s0, s3, 0
	s_delay_alu instid0(VALU_DEP_1)
	s_and_b32 vcc_lo, exec_lo, s0
	s_mov_b32 s0, -1
	s_cbranch_vccz .LBB31_1805
; %bb.1804:
	s_waitcnt vmcnt(0)
	v_cvt_i32_f32_e32 v2, v8
	s_mov_b32 s0, 0
	global_store_b8 v[0:1], v2, off
.LBB31_1805:
	s_and_not1_b32 vcc_lo, exec_lo, s0
	s_cbranch_vccnz .LBB31_1807
; %bb.1806:
	s_waitcnt vmcnt(0)
	v_trunc_f32_e32 v2, v8
	s_delay_alu instid0(VALU_DEP_1) | instskip(NEXT) | instid1(VALU_DEP_1)
	v_mul_f32_e64 v3, 0x2f800000, |v2|
	v_floor_f32_e32 v3, v3
	s_delay_alu instid0(VALU_DEP_1) | instskip(SKIP_1) | instid1(VALU_DEP_2)
	v_fma_f32 v3, 0xcf800000, v3, |v2|
	v_ashrrev_i32_e32 v2, 31, v2
	v_cvt_u32_f32_e32 v3, v3
	s_delay_alu instid0(VALU_DEP_1) | instskip(NEXT) | instid1(VALU_DEP_1)
	v_xor_b32_e32 v3, v3, v2
	v_sub_nc_u32_e32 v2, v3, v2
	global_store_b8 v[0:1], v2, off
	s_nop 0
	s_sendmsg sendmsg(MSG_DEALLOC_VGPRS)
	s_endpgm
.LBB31_1807:
	s_nop 0
	s_sendmsg sendmsg(MSG_DEALLOC_VGPRS)
	s_endpgm
.LBB31_1808:
	s_mov_b32 s0, 0
	s_branch .LBB31_1823
.LBB31_1809:
	s_mov_b32 s0, 0
	s_branch .LBB31_1819
.LBB31_1810:
	s_cbranch_execnz .LBB31_1935
; %bb.1811:
	s_or_b32 s2, s2, exec_lo
                                        ; implicit-def: $vgpr5
	s_cbranch_execz .LBB31_1692
	s_branch .LBB31_1693
.LBB31_1812:
	s_mov_b32 s0, 0
.LBB31_1813:
	s_and_b32 vcc_lo, exec_lo, s7
	s_cbranch_vccz .LBB31_1818
; %bb.1814:
	v_cmp_eq_u16_e64 s0, s3, 44
	s_delay_alu instid0(VALU_DEP_1)
	s_and_b32 vcc_lo, exec_lo, s0
	s_mov_b32 s0, -1
	s_cbranch_vccz .LBB31_1818
; %bb.1815:
	v_bfe_u32 v5, v4, 23, 8
	v_mov_b32_e32 v3, 0xff
	s_mov_b32 s6, exec_lo
	s_delay_alu instid0(VALU_DEP_2)
	v_cmpx_ne_u32_e32 0xff, v5
; %bb.1816:
	v_and_b32_e32 v3, 0x400000, v4
	v_and_or_b32 v5, 0x3fffff, v4, v5
	s_delay_alu instid0(VALU_DEP_2) | instskip(NEXT) | instid1(VALU_DEP_2)
	v_cmp_ne_u32_e32 vcc_lo, 0, v3
	v_cmp_ne_u32_e64 s0, 0, v5
	v_lshrrev_b32_e32 v3, 23, v4
	s_delay_alu instid0(VALU_DEP_2) | instskip(NEXT) | instid1(SALU_CYCLE_1)
	s_and_b32 s0, vcc_lo, s0
	v_cndmask_b32_e64 v5, 0, 1, s0
	s_delay_alu instid0(VALU_DEP_1)
	v_add_nc_u32_e32 v3, v3, v5
; %bb.1817:
	s_or_b32 exec_lo, exec_lo, s6
	s_mov_b32 s0, 0
	s_mov_b32 s6, -1
	global_store_b8 v[10:11], v3, off
.LBB31_1818:
	s_mov_b32 s7, 0
.LBB31_1819:
	s_delay_alu instid0(SALU_CYCLE_1)
	s_and_b32 vcc_lo, exec_lo, s7
	s_cbranch_vccz .LBB31_1822
; %bb.1820:
	v_cmp_eq_u16_e64 s0, s3, 29
	s_delay_alu instid0(VALU_DEP_1)
	s_and_b32 vcc_lo, exec_lo, s0
	s_mov_b32 s0, -1
	s_cbranch_vccz .LBB31_1822
; %bb.1821:
	v_trunc_f32_e32 v3, v4
	s_mov_b32 s0, 0
	s_mov_b32 s6, -1
	s_mov_b32 s7, 0
	s_delay_alu instid0(VALU_DEP_1) | instskip(NEXT) | instid1(VALU_DEP_1)
	v_mul_f32_e32 v5, 0x2f800000, v3
	v_floor_f32_e32 v5, v5
	s_delay_alu instid0(VALU_DEP_1) | instskip(SKIP_1) | instid1(VALU_DEP_2)
	v_fmamk_f32 v3, v5, 0xcf800000, v3
	v_cvt_u32_f32_e32 v13, v5
	v_cvt_u32_f32_e32 v12, v3
	global_store_b64 v[10:11], v[12:13], off
	s_branch .LBB31_1823
.LBB31_1822:
	s_mov_b32 s7, 0
.LBB31_1823:
	s_delay_alu instid0(SALU_CYCLE_1)
	s_and_b32 vcc_lo, exec_lo, s7
	s_cbranch_vccz .LBB31_1839
; %bb.1824:
	v_cmp_lt_i16_e64 s6, s3, 27
	s_delay_alu instid0(VALU_DEP_1)
	s_and_b32 vcc_lo, exec_lo, s6
	s_mov_b32 s6, -1
	s_cbranch_vccnz .LBB31_1830
; %bb.1825:
	v_cmp_gt_i16_e64 s6, s3, 27
	v_cvt_u32_f32_e32 v3, v4
	s_delay_alu instid0(VALU_DEP_2)
	s_and_b32 vcc_lo, exec_lo, s6
	s_mov_b32 s6, -1
	s_cbranch_vccz .LBB31_1827
; %bb.1826:
	s_mov_b32 s6, 0
	global_store_b32 v[10:11], v3, off
.LBB31_1827:
	s_and_not1_b32 vcc_lo, exec_lo, s6
	s_cbranch_vccnz .LBB31_1829
; %bb.1828:
	global_store_b16 v[10:11], v3, off
.LBB31_1829:
	s_mov_b32 s6, 0
.LBB31_1830:
	s_delay_alu instid0(SALU_CYCLE_1)
	s_and_not1_b32 vcc_lo, exec_lo, s6
	s_cbranch_vccnz .LBB31_1838
; %bb.1831:
	v_and_b32_e32 v3, 0x7fffffff, v4
	v_mov_b32_e32 v5, 0x80
	s_mov_b32 s6, exec_lo
	s_delay_alu instid0(VALU_DEP_2)
	v_cmpx_gt_u32_e32 0x43800000, v3
	s_cbranch_execz .LBB31_1837
; %bb.1832:
	v_cmp_lt_u32_e32 vcc_lo, 0x3bffffff, v3
	s_mov_b32 s7, 0
                                        ; implicit-def: $vgpr3
	s_and_saveexec_b32 s10, vcc_lo
	s_delay_alu instid0(SALU_CYCLE_1)
	s_xor_b32 s10, exec_lo, s10
	s_cbranch_execz .LBB31_1932
; %bb.1833:
	v_bfe_u32 v3, v4, 20, 1
	s_mov_b32 s7, exec_lo
	s_delay_alu instid0(VALU_DEP_1) | instskip(NEXT) | instid1(VALU_DEP_1)
	v_add3_u32 v3, v4, v3, 0x487ffff
	v_lshrrev_b32_e32 v3, 20, v3
	s_or_saveexec_b32 s10, s10
                                        ; implicit-def: $sgpr11
	s_delay_alu instid0(SALU_CYCLE_1)
	s_xor_b32 exec_lo, exec_lo, s10
	s_cbranch_execnz .LBB31_1933
.LBB31_1834:
	s_or_b32 exec_lo, exec_lo, s10
	v_mov_b32_e32 v5, s11
	s_and_saveexec_b32 s10, s7
.LBB31_1835:
	v_lshrrev_b32_e32 v5, 24, v4
	s_delay_alu instid0(VALU_DEP_1)
	v_and_or_b32 v5, 0x80, v5, v3
.LBB31_1836:
	s_or_b32 exec_lo, exec_lo, s10
.LBB31_1837:
	s_delay_alu instid0(SALU_CYCLE_1)
	s_or_b32 exec_lo, exec_lo, s6
	global_store_b8 v[10:11], v5, off
.LBB31_1838:
	s_mov_b32 s6, -1
.LBB31_1839:
	s_mov_b32 s7, 0
.LBB31_1840:
	s_delay_alu instid0(SALU_CYCLE_1)
	s_and_b32 vcc_lo, exec_lo, s7
	s_cbranch_vccz .LBB31_1880
; %bb.1841:
	v_cmp_gt_i16_e64 s1, s3, 22
	s_delay_alu instid0(VALU_DEP_1)
	s_and_b32 vcc_lo, exec_lo, s1
	s_mov_b32 s1, -1
	s_cbranch_vccz .LBB31_1873
; %bb.1842:
	v_cmp_lt_i16_e64 s1, s3, 24
	s_delay_alu instid0(VALU_DEP_1)
	s_and_b32 vcc_lo, exec_lo, s1
	s_mov_b32 s1, -1
	s_cbranch_vccnz .LBB31_1862
; %bb.1843:
	v_cmp_gt_i16_e64 s1, s3, 24
	s_delay_alu instid0(VALU_DEP_1)
	s_and_b32 vcc_lo, exec_lo, s1
	s_mov_b32 s1, -1
	s_cbranch_vccz .LBB31_1851
; %bb.1844:
	v_and_b32_e32 v3, 0x7fffffff, v4
	v_mov_b32_e32 v5, 0x80
	s_mov_b32 s1, exec_lo
	s_delay_alu instid0(VALU_DEP_2)
	v_cmpx_gt_u32_e32 0x47800000, v3
	s_cbranch_execz .LBB31_1850
; %bb.1845:
	v_cmp_lt_u32_e32 vcc_lo, 0x37ffffff, v3
	s_mov_b32 s6, 0
                                        ; implicit-def: $vgpr3
	s_and_saveexec_b32 s7, vcc_lo
	s_delay_alu instid0(SALU_CYCLE_1)
	s_xor_b32 s7, exec_lo, s7
	s_cbranch_execz .LBB31_1939
; %bb.1846:
	v_bfe_u32 v3, v4, 21, 1
	s_mov_b32 s6, exec_lo
	s_delay_alu instid0(VALU_DEP_1) | instskip(NEXT) | instid1(VALU_DEP_1)
	v_add3_u32 v3, v4, v3, 0x88fffff
	v_lshrrev_b32_e32 v3, 21, v3
	s_or_saveexec_b32 s7, s7
                                        ; implicit-def: $sgpr10
	s_delay_alu instid0(SALU_CYCLE_1)
	s_xor_b32 exec_lo, exec_lo, s7
	s_cbranch_execnz .LBB31_1940
.LBB31_1847:
	s_or_b32 exec_lo, exec_lo, s7
	v_mov_b32_e32 v5, s10
	s_and_saveexec_b32 s7, s6
.LBB31_1848:
	v_lshrrev_b32_e32 v5, 24, v4
	s_delay_alu instid0(VALU_DEP_1)
	v_and_or_b32 v5, 0x80, v5, v3
.LBB31_1849:
	s_or_b32 exec_lo, exec_lo, s7
.LBB31_1850:
	s_delay_alu instid0(SALU_CYCLE_1)
	s_or_b32 exec_lo, exec_lo, s1
	s_mov_b32 s1, 0
	global_store_b8 v[10:11], v5, off
.LBB31_1851:
	s_and_b32 vcc_lo, exec_lo, s1
	s_cbranch_vccz .LBB31_1861
; %bb.1852:
	v_and_b32_e32 v5, 0x7fffffff, v4
	s_mov_b32 s1, exec_lo
                                        ; implicit-def: $vgpr3
	s_delay_alu instid0(VALU_DEP_1)
	v_cmpx_gt_u32_e32 0x43f00000, v5
	s_xor_b32 s1, exec_lo, s1
	s_cbranch_execz .LBB31_1858
; %bb.1853:
	s_mov_b32 s6, exec_lo
                                        ; implicit-def: $vgpr3
	v_cmpx_lt_u32_e32 0x3c7fffff, v5
	s_xor_b32 s6, exec_lo, s6
; %bb.1854:
	v_bfe_u32 v3, v4, 20, 1
	s_delay_alu instid0(VALU_DEP_1) | instskip(NEXT) | instid1(VALU_DEP_1)
	v_add3_u32 v3, v4, v3, 0x407ffff
	v_and_b32_e32 v5, 0xff00000, v3
	v_lshrrev_b32_e32 v3, 20, v3
	s_delay_alu instid0(VALU_DEP_2) | instskip(NEXT) | instid1(VALU_DEP_2)
	v_cmp_ne_u32_e32 vcc_lo, 0x7f00000, v5
	v_cndmask_b32_e32 v3, 0x7e, v3, vcc_lo
; %bb.1855:
	s_and_not1_saveexec_b32 s6, s6
; %bb.1856:
	v_add_f32_e64 v3, 0x46800000, |v4|
; %bb.1857:
	s_or_b32 exec_lo, exec_lo, s6
                                        ; implicit-def: $vgpr5
.LBB31_1858:
	s_and_not1_saveexec_b32 s1, s1
; %bb.1859:
	v_mov_b32_e32 v3, 0x7f
	v_cmp_lt_u32_e32 vcc_lo, 0x7f800000, v5
	s_delay_alu instid0(VALU_DEP_2)
	v_cndmask_b32_e32 v3, 0x7e, v3, vcc_lo
; %bb.1860:
	s_or_b32 exec_lo, exec_lo, s1
	v_lshrrev_b32_e32 v5, 24, v4
	s_delay_alu instid0(VALU_DEP_1)
	v_and_or_b32 v3, 0x80, v5, v3
	global_store_b8 v[10:11], v3, off
.LBB31_1861:
	s_mov_b32 s1, 0
.LBB31_1862:
	s_delay_alu instid0(SALU_CYCLE_1)
	s_and_not1_b32 vcc_lo, exec_lo, s1
	s_cbranch_vccnz .LBB31_1872
; %bb.1863:
	v_and_b32_e32 v5, 0x7fffffff, v4
	s_mov_b32 s1, exec_lo
                                        ; implicit-def: $vgpr3
	s_delay_alu instid0(VALU_DEP_1)
	v_cmpx_gt_u32_e32 0x47800000, v5
	s_xor_b32 s1, exec_lo, s1
	s_cbranch_execz .LBB31_1869
; %bb.1864:
	s_mov_b32 s6, exec_lo
                                        ; implicit-def: $vgpr3
	v_cmpx_lt_u32_e32 0x387fffff, v5
	s_xor_b32 s6, exec_lo, s6
; %bb.1865:
	v_bfe_u32 v3, v4, 21, 1
	s_delay_alu instid0(VALU_DEP_1) | instskip(NEXT) | instid1(VALU_DEP_1)
	v_add3_u32 v3, v4, v3, 0x80fffff
	v_lshrrev_b32_e32 v3, 21, v3
; %bb.1866:
	s_and_not1_saveexec_b32 s6, s6
; %bb.1867:
	v_add_f32_e64 v3, 0x43000000, |v4|
; %bb.1868:
	s_or_b32 exec_lo, exec_lo, s6
                                        ; implicit-def: $vgpr5
.LBB31_1869:
	s_and_not1_saveexec_b32 s1, s1
; %bb.1870:
	v_mov_b32_e32 v3, 0x7f
	v_cmp_lt_u32_e32 vcc_lo, 0x7f800000, v5
	s_delay_alu instid0(VALU_DEP_2)
	v_cndmask_b32_e32 v3, 0x7c, v3, vcc_lo
; %bb.1871:
	s_or_b32 exec_lo, exec_lo, s1
	v_lshrrev_b32_e32 v5, 24, v4
	s_delay_alu instid0(VALU_DEP_1)
	v_and_or_b32 v3, 0x80, v5, v3
	global_store_b8 v[10:11], v3, off
.LBB31_1872:
	s_mov_b32 s1, 0
	s_mov_b32 s6, -1
.LBB31_1873:
	s_and_not1_b32 vcc_lo, exec_lo, s1
	s_mov_b32 s1, 0
	s_cbranch_vccnz .LBB31_1880
; %bb.1874:
	v_cmp_gt_i16_e64 s1, s3, 14
	s_delay_alu instid0(VALU_DEP_1)
	s_and_b32 vcc_lo, exec_lo, s1
	s_mov_b32 s1, -1
	s_cbranch_vccz .LBB31_1878
; %bb.1875:
	v_cmp_eq_u16_e64 s0, s3, 15
	s_delay_alu instid0(VALU_DEP_1)
	s_and_b32 vcc_lo, exec_lo, s0
	s_mov_b32 s0, -1
	s_cbranch_vccz .LBB31_1877
; %bb.1876:
	v_bfe_u32 v3, v4, 16, 1
	v_cmp_o_f32_e32 vcc_lo, v4, v4
	s_mov_b32 s0, 0
	s_mov_b32 s6, -1
	s_delay_alu instid0(VALU_DEP_2) | instskip(NEXT) | instid1(VALU_DEP_1)
	v_add3_u32 v3, v4, v3, 0x7fff
	v_lshrrev_b32_e32 v3, 16, v3
	s_delay_alu instid0(VALU_DEP_1)
	v_cndmask_b32_e32 v3, 0x7fc0, v3, vcc_lo
	global_store_b16 v[10:11], v3, off
.LBB31_1877:
	s_mov_b32 s1, 0
.LBB31_1878:
	s_delay_alu instid0(SALU_CYCLE_1)
	s_and_b32 vcc_lo, exec_lo, s1
	s_mov_b32 s1, 0
	s_cbranch_vccz .LBB31_1880
; %bb.1879:
	v_cmp_ne_u16_e64 s0, s3, 11
	s_mov_b32 s1, -1
.LBB31_1880:
	s_delay_alu instid0(VALU_DEP_1)
	s_and_b32 vcc_lo, exec_lo, s0
	s_cbranch_vccnz .LBB31_1937
; %bb.1881:
	s_and_not1_b32 vcc_lo, exec_lo, s1
	s_cbranch_vccnz .LBB31_1883
.LBB31_1882:
	v_cmp_neq_f32_e32 vcc_lo, 0, v4
	s_mov_b32 s6, -1
	v_cndmask_b32_e64 v3, 0, 1, vcc_lo
	global_store_b8 v[10:11], v3, off
.LBB31_1883:
	s_mov_b32 s0, 0
.LBB31_1884:
	s_delay_alu instid0(SALU_CYCLE_1)
	s_and_b32 vcc_lo, exec_lo, s0
	s_cbranch_vccz .LBB31_1923
; %bb.1885:
	v_cmp_lt_i16_e64 s0, s3, 5
	s_delay_alu instid0(VALU_DEP_1)
	s_and_b32 vcc_lo, exec_lo, s0
	s_mov_b32 s0, -1
	s_cbranch_vccnz .LBB31_1906
; %bb.1886:
	v_cmp_lt_i16_e64 s0, s3, 8
	s_delay_alu instid0(VALU_DEP_1)
	s_and_b32 vcc_lo, exec_lo, s0
	s_mov_b32 s0, -1
	s_cbranch_vccnz .LBB31_1896
	;; [unrolled: 6-line block ×3, first 2 shown]
; %bb.1888:
	v_cmp_gt_i16_e64 s0, s3, 9
	s_delay_alu instid0(VALU_DEP_1)
	s_and_b32 vcc_lo, exec_lo, s0
	s_mov_b32 s0, -1
	s_cbranch_vccz .LBB31_1890
; %bb.1889:
	v_cvt_f64_f32_e32 v[12:13], v4
	v_mov_b32_e32 v14, 0
	s_mov_b32 s0, 0
	s_delay_alu instid0(VALU_DEP_1)
	v_mov_b32_e32 v15, v14
	global_store_b128 v[10:11], v[12:15], off
.LBB31_1890:
	s_and_not1_b32 vcc_lo, exec_lo, s0
	s_cbranch_vccnz .LBB31_1892
; %bb.1891:
	v_mov_b32_e32 v5, 0
	global_store_b64 v[10:11], v[4:5], off
.LBB31_1892:
	s_mov_b32 s0, 0
.LBB31_1893:
	s_delay_alu instid0(SALU_CYCLE_1)
	s_and_not1_b32 vcc_lo, exec_lo, s0
	s_cbranch_vccnz .LBB31_1895
; %bb.1894:
	v_cvt_f16_f32_e32 v3, v4
	s_delay_alu instid0(VALU_DEP_1)
	v_and_b32_e32 v3, 0xffff, v3
	global_store_b32 v[10:11], v3, off
.LBB31_1895:
	s_mov_b32 s0, 0
.LBB31_1896:
	s_delay_alu instid0(SALU_CYCLE_1)
	s_and_not1_b32 vcc_lo, exec_lo, s0
	s_cbranch_vccnz .LBB31_1905
; %bb.1897:
	v_cmp_lt_i16_e64 s0, s3, 6
	s_delay_alu instid0(VALU_DEP_1)
	s_and_b32 vcc_lo, exec_lo, s0
	s_mov_b32 s0, -1
	s_cbranch_vccnz .LBB31_1903
; %bb.1898:
	v_cmp_gt_i16_e64 s0, s3, 6
	s_delay_alu instid0(VALU_DEP_1)
	s_and_b32 vcc_lo, exec_lo, s0
	s_mov_b32 s0, -1
	s_cbranch_vccz .LBB31_1900
; %bb.1899:
	v_cvt_f64_f32_e32 v[12:13], v4
	s_mov_b32 s0, 0
	global_store_b64 v[10:11], v[12:13], off
.LBB31_1900:
	s_and_not1_b32 vcc_lo, exec_lo, s0
	s_cbranch_vccnz .LBB31_1902
; %bb.1901:
	global_store_b32 v[10:11], v4, off
.LBB31_1902:
	s_mov_b32 s0, 0
.LBB31_1903:
	s_delay_alu instid0(SALU_CYCLE_1)
	s_and_not1_b32 vcc_lo, exec_lo, s0
	s_cbranch_vccnz .LBB31_1905
; %bb.1904:
	v_cvt_f16_f32_e32 v3, v4
	global_store_b16 v[10:11], v3, off
.LBB31_1905:
	s_mov_b32 s0, 0
.LBB31_1906:
	s_delay_alu instid0(SALU_CYCLE_1)
	s_and_not1_b32 vcc_lo, exec_lo, s0
	s_cbranch_vccnz .LBB31_1922
; %bb.1907:
	v_cmp_lt_i16_e64 s0, s3, 2
	s_delay_alu instid0(VALU_DEP_1)
	s_and_b32 vcc_lo, exec_lo, s0
	s_mov_b32 s0, -1
	s_cbranch_vccnz .LBB31_1917
; %bb.1908:
	v_cmp_lt_i16_e64 s0, s3, 3
	s_delay_alu instid0(VALU_DEP_1)
	s_and_b32 vcc_lo, exec_lo, s0
	s_mov_b32 s0, -1
	s_cbranch_vccnz .LBB31_1914
; %bb.1909:
	v_cmp_gt_i16_e64 s0, s3, 3
	s_delay_alu instid0(VALU_DEP_1)
	s_and_b32 vcc_lo, exec_lo, s0
	s_mov_b32 s0, -1
	s_cbranch_vccz .LBB31_1911
; %bb.1910:
	v_trunc_f32_e32 v3, v4
	s_mov_b32 s0, 0
	s_delay_alu instid0(VALU_DEP_1) | instskip(NEXT) | instid1(VALU_DEP_1)
	v_mul_f32_e64 v5, 0x2f800000, |v3|
	v_floor_f32_e32 v5, v5
	s_delay_alu instid0(VALU_DEP_1) | instskip(SKIP_2) | instid1(VALU_DEP_3)
	v_fma_f32 v7, 0xcf800000, v5, |v3|
	v_ashrrev_i32_e32 v3, 31, v3
	v_cvt_u32_f32_e32 v5, v5
	v_cvt_u32_f32_e32 v7, v7
	s_delay_alu instid0(VALU_DEP_2) | instskip(NEXT) | instid1(VALU_DEP_2)
	v_xor_b32_e32 v5, v5, v3
	v_xor_b32_e32 v7, v7, v3
	s_delay_alu instid0(VALU_DEP_1) | instskip(NEXT) | instid1(VALU_DEP_3)
	v_sub_co_u32 v12, vcc_lo, v7, v3
	v_sub_co_ci_u32_e32 v13, vcc_lo, v5, v3, vcc_lo
	global_store_b64 v[10:11], v[12:13], off
.LBB31_1911:
	s_and_not1_b32 vcc_lo, exec_lo, s0
	s_cbranch_vccnz .LBB31_1913
; %bb.1912:
	v_cvt_i32_f32_e32 v3, v4
	global_store_b32 v[10:11], v3, off
.LBB31_1913:
	s_mov_b32 s0, 0
.LBB31_1914:
	s_delay_alu instid0(SALU_CYCLE_1)
	s_and_not1_b32 vcc_lo, exec_lo, s0
	s_cbranch_vccnz .LBB31_1916
; %bb.1915:
	v_cvt_i32_f32_e32 v3, v4
	global_store_b16 v[10:11], v3, off
.LBB31_1916:
	s_mov_b32 s0, 0
.LBB31_1917:
	s_delay_alu instid0(SALU_CYCLE_1)
	s_and_not1_b32 vcc_lo, exec_lo, s0
	s_cbranch_vccnz .LBB31_1922
; %bb.1918:
	v_cmp_gt_i16_e64 s0, s3, 0
	s_delay_alu instid0(VALU_DEP_1)
	s_and_b32 vcc_lo, exec_lo, s0
	s_mov_b32 s0, -1
	s_cbranch_vccz .LBB31_1920
; %bb.1919:
	v_cvt_i32_f32_e32 v3, v4
	s_mov_b32 s0, 0
	global_store_b8 v[10:11], v3, off
.LBB31_1920:
	s_and_not1_b32 vcc_lo, exec_lo, s0
	s_cbranch_vccnz .LBB31_1922
; %bb.1921:
	v_trunc_f32_e32 v3, v4
	s_delay_alu instid0(VALU_DEP_1) | instskip(NEXT) | instid1(VALU_DEP_1)
	v_mul_f32_e64 v4, 0x2f800000, |v3|
	v_floor_f32_e32 v4, v4
	s_delay_alu instid0(VALU_DEP_1) | instskip(SKIP_1) | instid1(VALU_DEP_2)
	v_fma_f32 v4, 0xcf800000, v4, |v3|
	v_ashrrev_i32_e32 v3, 31, v3
	v_cvt_u32_f32_e32 v4, v4
	s_delay_alu instid0(VALU_DEP_1) | instskip(NEXT) | instid1(VALU_DEP_1)
	v_xor_b32_e32 v4, v4, v3
	v_sub_nc_u32_e32 v3, v4, v3
	global_store_b8 v[10:11], v3, off
.LBB31_1922:
	s_mov_b32 s6, -1
.LBB31_1923:
	s_delay_alu instid0(SALU_CYCLE_1)
	s_and_not1_b32 vcc_lo, exec_lo, s6
	s_cbranch_vccnz .LBB31_2190
; %bb.1924:
	v_cmp_lt_i16_e64 s0, s3, 11
	v_add_co_u32 v2, s1, s4, v2
	s_delay_alu instid0(VALU_DEP_1) | instskip(SKIP_1) | instid1(VALU_DEP_3)
	v_add_co_ci_u32_e64 v3, null, s5, 0, s1
	s_mov_b32 s6, 0
	s_and_b32 vcc_lo, exec_lo, s0
	s_mov_b32 s0, -1
	s_cbranch_vccnz .LBB31_2013
; %bb.1925:
	v_cmp_gt_i16_e64 s0, s3, 25
	s_mov_b32 s7, -1
	s_mov_b32 s1, 0
	s_delay_alu instid0(VALU_DEP_1)
	s_and_b32 vcc_lo, exec_lo, s0
	s_mov_b32 s0, 0
	s_cbranch_vccz .LBB31_1969
; %bb.1926:
	v_cmp_gt_i16_e64 s0, s3, 28
	s_delay_alu instid0(VALU_DEP_1)
	s_and_b32 vcc_lo, exec_lo, s0
	s_cbranch_vccz .LBB31_1931
; %bb.1927:
	v_cmp_gt_i16_e64 s0, s3, 43
	s_delay_alu instid0(VALU_DEP_1)
	s_and_b32 vcc_lo, exec_lo, s0
	;; [unrolled: 5-line block ×3, first 2 shown]
	s_cbranch_vccz .LBB31_1941
; %bb.1929:
	v_cmp_eq_u16_e64 s6, s3, 46
	s_mov_b32 s0, -1
	s_mov_b32 s7, 0
	s_delay_alu instid0(VALU_DEP_1)
	s_and_b32 vcc_lo, exec_lo, s6
	s_mov_b32 s6, 0
	s_cbranch_vccz .LBB31_1942
; %bb.1930:
	v_bfe_u32 v4, v6, 16, 1
	v_cmp_o_f32_e32 vcc_lo, v6, v6
	s_mov_b32 s0, 0
	s_mov_b32 s6, -1
	s_delay_alu instid0(VALU_DEP_2) | instskip(NEXT) | instid1(VALU_DEP_1)
	v_add3_u32 v4, v6, v4, 0x7fff
	v_lshrrev_b32_e32 v4, 16, v4
	s_delay_alu instid0(VALU_DEP_1)
	v_cndmask_b32_e32 v4, 0x7fc0, v4, vcc_lo
	global_store_b32 v[2:3], v4, off
	s_branch .LBB31_1942
.LBB31_1931:
	s_mov_b32 s0, 0
	s_branch .LBB31_1952
.LBB31_1932:
	s_or_saveexec_b32 s10, s10
                                        ; implicit-def: $sgpr11
	s_delay_alu instid0(SALU_CYCLE_1)
	s_xor_b32 exec_lo, exec_lo, s10
	s_cbranch_execz .LBB31_1834
.LBB31_1933:
	v_add_f32_e64 v3, 0x46000000, |v4|
	s_and_not1_b32 s7, s7, exec_lo
	s_mov_b32 s11, 0
	s_delay_alu instid0(VALU_DEP_1) | instskip(NEXT) | instid1(VALU_DEP_1)
	v_and_b32_e32 v3, 0xff, v3
	v_cmp_ne_u32_e32 vcc_lo, 0, v3
	s_and_b32 s12, vcc_lo, exec_lo
	s_delay_alu instid0(SALU_CYCLE_1)
	s_or_b32 s7, s7, s12
	s_or_b32 exec_lo, exec_lo, s10
	v_mov_b32_e32 v5, s11
	s_and_saveexec_b32 s10, s7
	s_cbranch_execnz .LBB31_1835
	s_branch .LBB31_1836
.LBB31_1934:
	s_mov_b32 s0, 0
	s_branch .LBB31_1948
.LBB31_1935:
	s_trap 2
	s_sendmsg_rtn_b32 s0, sendmsg(MSG_RTN_GET_DOORBELL)
	s_mov_b32 ttmp2, m0
	s_waitcnt lgkmcnt(0)
	s_and_b32 s0, s0, 0x3ff
	s_delay_alu instid0(SALU_CYCLE_1) | instskip(NEXT) | instid1(SALU_CYCLE_1)
	s_bitset1_b32 s0, 10
	s_mov_b32 m0, s0
	s_sendmsg sendmsg(MSG_INTERRUPT)
	s_mov_b32 m0, ttmp2
.LBB31_1936:                            ; =>This Inner Loop Header: Depth=1
	s_sethalt 5
	s_branch .LBB31_1936
.LBB31_1937:
	s_cbranch_execnz .LBB31_2064
; %bb.1938:
	s_or_b32 s2, s2, exec_lo
	s_cbranch_execz .LBB31_1882
	s_branch .LBB31_1883
.LBB31_1939:
	s_or_saveexec_b32 s7, s7
                                        ; implicit-def: $sgpr10
	s_delay_alu instid0(SALU_CYCLE_1)
	s_xor_b32 exec_lo, exec_lo, s7
	s_cbranch_execz .LBB31_1847
.LBB31_1940:
	v_add_f32_e64 v3, 0x42800000, |v4|
	s_and_not1_b32 s6, s6, exec_lo
	s_mov_b32 s10, 0
	s_delay_alu instid0(VALU_DEP_1) | instskip(NEXT) | instid1(VALU_DEP_1)
	v_and_b32_e32 v3, 0xff, v3
	v_cmp_ne_u32_e32 vcc_lo, 0, v3
	s_and_b32 s11, vcc_lo, exec_lo
	s_delay_alu instid0(SALU_CYCLE_1)
	s_or_b32 s6, s6, s11
	s_or_b32 exec_lo, exec_lo, s7
	v_mov_b32_e32 v5, s10
	s_and_saveexec_b32 s7, s6
	s_cbranch_execnz .LBB31_1848
	s_branch .LBB31_1849
.LBB31_1941:
	s_mov_b32 s0, 0
.LBB31_1942:
	s_and_b32 vcc_lo, exec_lo, s7
	s_cbranch_vccz .LBB31_1947
; %bb.1943:
	v_cmp_eq_u16_e64 s0, s3, 44
	s_delay_alu instid0(VALU_DEP_1)
	s_and_b32 vcc_lo, exec_lo, s0
	s_mov_b32 s0, -1
	s_cbranch_vccz .LBB31_1947
; %bb.1944:
	v_bfe_u32 v5, v6, 23, 8
	v_mov_b32_e32 v4, 0xff
	s_mov_b32 s6, exec_lo
	s_delay_alu instid0(VALU_DEP_2)
	v_cmpx_ne_u32_e32 0xff, v5
; %bb.1945:
	v_and_b32_e32 v4, 0x400000, v6
	v_and_or_b32 v5, 0x3fffff, v6, v5
	s_delay_alu instid0(VALU_DEP_2) | instskip(NEXT) | instid1(VALU_DEP_2)
	v_cmp_ne_u32_e32 vcc_lo, 0, v4
	v_cmp_ne_u32_e64 s0, 0, v5
	v_lshrrev_b32_e32 v4, 23, v6
	s_delay_alu instid0(VALU_DEP_2) | instskip(NEXT) | instid1(SALU_CYCLE_1)
	s_and_b32 s0, vcc_lo, s0
	v_cndmask_b32_e64 v5, 0, 1, s0
	s_delay_alu instid0(VALU_DEP_1)
	v_add_nc_u32_e32 v4, v4, v5
; %bb.1946:
	s_or_b32 exec_lo, exec_lo, s6
	s_mov_b32 s0, 0
	s_mov_b32 s6, -1
	global_store_b8 v[2:3], v4, off
.LBB31_1947:
	s_mov_b32 s7, 0
.LBB31_1948:
	s_delay_alu instid0(SALU_CYCLE_1)
	s_and_b32 vcc_lo, exec_lo, s7
	s_cbranch_vccz .LBB31_1951
; %bb.1949:
	v_cmp_eq_u16_e64 s0, s3, 29
	s_delay_alu instid0(VALU_DEP_1)
	s_and_b32 vcc_lo, exec_lo, s0
	s_mov_b32 s0, -1
	s_cbranch_vccz .LBB31_1951
; %bb.1950:
	v_trunc_f32_e32 v4, v6
	s_mov_b32 s0, 0
	s_mov_b32 s6, -1
	s_mov_b32 s7, 0
	s_delay_alu instid0(VALU_DEP_1) | instskip(NEXT) | instid1(VALU_DEP_1)
	v_mul_f32_e32 v5, 0x2f800000, v4
	v_floor_f32_e32 v5, v5
	s_delay_alu instid0(VALU_DEP_1) | instskip(SKIP_1) | instid1(VALU_DEP_2)
	v_fmamk_f32 v4, v5, 0xcf800000, v4
	v_cvt_u32_f32_e32 v5, v5
	v_cvt_u32_f32_e32 v4, v4
	global_store_b64 v[2:3], v[4:5], off
	s_branch .LBB31_1952
.LBB31_1951:
	s_mov_b32 s7, 0
.LBB31_1952:
	s_delay_alu instid0(SALU_CYCLE_1)
	s_and_b32 vcc_lo, exec_lo, s7
	s_cbranch_vccz .LBB31_1968
; %bb.1953:
	v_cmp_lt_i16_e64 s6, s3, 27
	s_delay_alu instid0(VALU_DEP_1)
	s_and_b32 vcc_lo, exec_lo, s6
	s_mov_b32 s6, -1
	s_cbranch_vccnz .LBB31_1959
; %bb.1954:
	v_cmp_gt_i16_e64 s6, s3, 27
	v_cvt_u32_f32_e32 v4, v6
	s_delay_alu instid0(VALU_DEP_2)
	s_and_b32 vcc_lo, exec_lo, s6
	s_mov_b32 s6, -1
	s_cbranch_vccz .LBB31_1956
; %bb.1955:
	s_mov_b32 s6, 0
	global_store_b32 v[2:3], v4, off
.LBB31_1956:
	s_and_not1_b32 vcc_lo, exec_lo, s6
	s_cbranch_vccnz .LBB31_1958
; %bb.1957:
	global_store_b16 v[2:3], v4, off
.LBB31_1958:
	s_mov_b32 s6, 0
.LBB31_1959:
	s_delay_alu instid0(SALU_CYCLE_1)
	s_and_not1_b32 vcc_lo, exec_lo, s6
	s_cbranch_vccnz .LBB31_1967
; %bb.1960:
	v_and_b32_e32 v4, 0x7fffffff, v6
	v_mov_b32_e32 v5, 0x80
	s_mov_b32 s6, exec_lo
	s_delay_alu instid0(VALU_DEP_2)
	v_cmpx_gt_u32_e32 0x43800000, v4
	s_cbranch_execz .LBB31_1966
; %bb.1961:
	v_cmp_lt_u32_e32 vcc_lo, 0x3bffffff, v4
	s_mov_b32 s7, 0
                                        ; implicit-def: $vgpr4
	s_and_saveexec_b32 s10, vcc_lo
	s_delay_alu instid0(SALU_CYCLE_1)
	s_xor_b32 s10, exec_lo, s10
	s_cbranch_execz .LBB31_2061
; %bb.1962:
	v_bfe_u32 v4, v6, 20, 1
	s_mov_b32 s7, exec_lo
	s_delay_alu instid0(VALU_DEP_1) | instskip(NEXT) | instid1(VALU_DEP_1)
	v_add3_u32 v4, v6, v4, 0x487ffff
	v_lshrrev_b32_e32 v4, 20, v4
	s_or_saveexec_b32 s10, s10
                                        ; implicit-def: $sgpr11
	s_delay_alu instid0(SALU_CYCLE_1)
	s_xor_b32 exec_lo, exec_lo, s10
	s_cbranch_execnz .LBB31_2062
.LBB31_1963:
	s_or_b32 exec_lo, exec_lo, s10
	v_mov_b32_e32 v5, s11
	s_and_saveexec_b32 s10, s7
.LBB31_1964:
	v_lshrrev_b32_e32 v5, 24, v6
	s_delay_alu instid0(VALU_DEP_1)
	v_and_or_b32 v5, 0x80, v5, v4
.LBB31_1965:
	s_or_b32 exec_lo, exec_lo, s10
.LBB31_1966:
	s_delay_alu instid0(SALU_CYCLE_1)
	s_or_b32 exec_lo, exec_lo, s6
	global_store_b8 v[2:3], v5, off
.LBB31_1967:
	s_mov_b32 s6, -1
.LBB31_1968:
	s_mov_b32 s7, 0
.LBB31_1969:
	s_delay_alu instid0(SALU_CYCLE_1)
	s_and_b32 vcc_lo, exec_lo, s7
	s_cbranch_vccz .LBB31_2009
; %bb.1970:
	v_cmp_gt_i16_e64 s1, s3, 22
	s_delay_alu instid0(VALU_DEP_1)
	s_and_b32 vcc_lo, exec_lo, s1
	s_mov_b32 s1, -1
	s_cbranch_vccz .LBB31_2002
; %bb.1971:
	v_cmp_lt_i16_e64 s1, s3, 24
	s_delay_alu instid0(VALU_DEP_1)
	s_and_b32 vcc_lo, exec_lo, s1
	s_mov_b32 s1, -1
	s_cbranch_vccnz .LBB31_1991
; %bb.1972:
	v_cmp_gt_i16_e64 s1, s3, 24
	s_delay_alu instid0(VALU_DEP_1)
	s_and_b32 vcc_lo, exec_lo, s1
	s_mov_b32 s1, -1
	s_cbranch_vccz .LBB31_1980
; %bb.1973:
	v_and_b32_e32 v4, 0x7fffffff, v6
	v_mov_b32_e32 v5, 0x80
	s_mov_b32 s1, exec_lo
	s_delay_alu instid0(VALU_DEP_2)
	v_cmpx_gt_u32_e32 0x47800000, v4
	s_cbranch_execz .LBB31_1979
; %bb.1974:
	v_cmp_lt_u32_e32 vcc_lo, 0x37ffffff, v4
	s_mov_b32 s6, 0
                                        ; implicit-def: $vgpr4
	s_and_saveexec_b32 s7, vcc_lo
	s_delay_alu instid0(SALU_CYCLE_1)
	s_xor_b32 s7, exec_lo, s7
	s_cbranch_execz .LBB31_2068
; %bb.1975:
	v_bfe_u32 v4, v6, 21, 1
	s_mov_b32 s6, exec_lo
	s_delay_alu instid0(VALU_DEP_1) | instskip(NEXT) | instid1(VALU_DEP_1)
	v_add3_u32 v4, v6, v4, 0x88fffff
	v_lshrrev_b32_e32 v4, 21, v4
	s_or_saveexec_b32 s7, s7
                                        ; implicit-def: $sgpr10
	s_delay_alu instid0(SALU_CYCLE_1)
	s_xor_b32 exec_lo, exec_lo, s7
	s_cbranch_execnz .LBB31_2069
.LBB31_1976:
	s_or_b32 exec_lo, exec_lo, s7
	v_mov_b32_e32 v5, s10
	s_and_saveexec_b32 s7, s6
.LBB31_1977:
	v_lshrrev_b32_e32 v5, 24, v6
	s_delay_alu instid0(VALU_DEP_1)
	v_and_or_b32 v5, 0x80, v5, v4
.LBB31_1978:
	s_or_b32 exec_lo, exec_lo, s7
.LBB31_1979:
	s_delay_alu instid0(SALU_CYCLE_1)
	s_or_b32 exec_lo, exec_lo, s1
	s_mov_b32 s1, 0
	global_store_b8 v[2:3], v5, off
.LBB31_1980:
	s_and_b32 vcc_lo, exec_lo, s1
	s_cbranch_vccz .LBB31_1990
; %bb.1981:
	v_and_b32_e32 v5, 0x7fffffff, v6
	s_mov_b32 s1, exec_lo
                                        ; implicit-def: $vgpr4
	s_delay_alu instid0(VALU_DEP_1)
	v_cmpx_gt_u32_e32 0x43f00000, v5
	s_xor_b32 s1, exec_lo, s1
	s_cbranch_execz .LBB31_1987
; %bb.1982:
	s_mov_b32 s6, exec_lo
                                        ; implicit-def: $vgpr4
	v_cmpx_lt_u32_e32 0x3c7fffff, v5
	s_xor_b32 s6, exec_lo, s6
; %bb.1983:
	v_bfe_u32 v4, v6, 20, 1
	s_delay_alu instid0(VALU_DEP_1) | instskip(NEXT) | instid1(VALU_DEP_1)
	v_add3_u32 v4, v6, v4, 0x407ffff
	v_and_b32_e32 v5, 0xff00000, v4
	v_lshrrev_b32_e32 v4, 20, v4
	s_delay_alu instid0(VALU_DEP_2) | instskip(NEXT) | instid1(VALU_DEP_2)
	v_cmp_ne_u32_e32 vcc_lo, 0x7f00000, v5
	v_cndmask_b32_e32 v4, 0x7e, v4, vcc_lo
; %bb.1984:
	s_and_not1_saveexec_b32 s6, s6
; %bb.1985:
	v_add_f32_e64 v4, 0x46800000, |v6|
; %bb.1986:
	s_or_b32 exec_lo, exec_lo, s6
                                        ; implicit-def: $vgpr5
.LBB31_1987:
	s_and_not1_saveexec_b32 s1, s1
; %bb.1988:
	v_mov_b32_e32 v4, 0x7f
	v_cmp_lt_u32_e32 vcc_lo, 0x7f800000, v5
	s_delay_alu instid0(VALU_DEP_2)
	v_cndmask_b32_e32 v4, 0x7e, v4, vcc_lo
; %bb.1989:
	s_or_b32 exec_lo, exec_lo, s1
	v_lshrrev_b32_e32 v5, 24, v6
	s_delay_alu instid0(VALU_DEP_1)
	v_and_or_b32 v4, 0x80, v5, v4
	global_store_b8 v[2:3], v4, off
.LBB31_1990:
	s_mov_b32 s1, 0
.LBB31_1991:
	s_delay_alu instid0(SALU_CYCLE_1)
	s_and_not1_b32 vcc_lo, exec_lo, s1
	s_cbranch_vccnz .LBB31_2001
; %bb.1992:
	v_and_b32_e32 v5, 0x7fffffff, v6
	s_mov_b32 s1, exec_lo
                                        ; implicit-def: $vgpr4
	s_delay_alu instid0(VALU_DEP_1)
	v_cmpx_gt_u32_e32 0x47800000, v5
	s_xor_b32 s1, exec_lo, s1
	s_cbranch_execz .LBB31_1998
; %bb.1993:
	s_mov_b32 s6, exec_lo
                                        ; implicit-def: $vgpr4
	v_cmpx_lt_u32_e32 0x387fffff, v5
	s_xor_b32 s6, exec_lo, s6
; %bb.1994:
	v_bfe_u32 v4, v6, 21, 1
	s_delay_alu instid0(VALU_DEP_1) | instskip(NEXT) | instid1(VALU_DEP_1)
	v_add3_u32 v4, v6, v4, 0x80fffff
	v_lshrrev_b32_e32 v4, 21, v4
; %bb.1995:
	s_and_not1_saveexec_b32 s6, s6
; %bb.1996:
	v_add_f32_e64 v4, 0x43000000, |v6|
; %bb.1997:
	s_or_b32 exec_lo, exec_lo, s6
                                        ; implicit-def: $vgpr5
.LBB31_1998:
	s_and_not1_saveexec_b32 s1, s1
; %bb.1999:
	v_mov_b32_e32 v4, 0x7f
	v_cmp_lt_u32_e32 vcc_lo, 0x7f800000, v5
	s_delay_alu instid0(VALU_DEP_2)
	v_cndmask_b32_e32 v4, 0x7c, v4, vcc_lo
; %bb.2000:
	s_or_b32 exec_lo, exec_lo, s1
	v_lshrrev_b32_e32 v5, 24, v6
	s_delay_alu instid0(VALU_DEP_1)
	v_and_or_b32 v4, 0x80, v5, v4
	global_store_b8 v[2:3], v4, off
.LBB31_2001:
	s_mov_b32 s1, 0
	s_mov_b32 s6, -1
.LBB31_2002:
	s_and_not1_b32 vcc_lo, exec_lo, s1
	s_mov_b32 s1, 0
	s_cbranch_vccnz .LBB31_2009
; %bb.2003:
	v_cmp_gt_i16_e64 s1, s3, 14
	s_delay_alu instid0(VALU_DEP_1)
	s_and_b32 vcc_lo, exec_lo, s1
	s_mov_b32 s1, -1
	s_cbranch_vccz .LBB31_2007
; %bb.2004:
	v_cmp_eq_u16_e64 s0, s3, 15
	s_delay_alu instid0(VALU_DEP_1)
	s_and_b32 vcc_lo, exec_lo, s0
	s_mov_b32 s0, -1
	s_cbranch_vccz .LBB31_2006
; %bb.2005:
	v_bfe_u32 v4, v6, 16, 1
	v_cmp_o_f32_e32 vcc_lo, v6, v6
	s_mov_b32 s0, 0
	s_mov_b32 s6, -1
	s_delay_alu instid0(VALU_DEP_2) | instskip(NEXT) | instid1(VALU_DEP_1)
	v_add3_u32 v4, v6, v4, 0x7fff
	v_lshrrev_b32_e32 v4, 16, v4
	s_delay_alu instid0(VALU_DEP_1)
	v_cndmask_b32_e32 v4, 0x7fc0, v4, vcc_lo
	global_store_b16 v[2:3], v4, off
.LBB31_2006:
	s_mov_b32 s1, 0
.LBB31_2007:
	s_delay_alu instid0(SALU_CYCLE_1)
	s_and_b32 vcc_lo, exec_lo, s1
	s_mov_b32 s1, 0
	s_cbranch_vccz .LBB31_2009
; %bb.2008:
	v_cmp_ne_u16_e64 s0, s3, 11
	s_mov_b32 s1, -1
.LBB31_2009:
	s_delay_alu instid0(VALU_DEP_1)
	s_and_b32 vcc_lo, exec_lo, s0
	s_cbranch_vccnz .LBB31_2066
; %bb.2010:
	s_and_not1_b32 vcc_lo, exec_lo, s1
	s_cbranch_vccnz .LBB31_2012
.LBB31_2011:
	v_cmp_neq_f32_e32 vcc_lo, 0, v6
	s_mov_b32 s6, -1
	v_cndmask_b32_e64 v4, 0, 1, vcc_lo
	global_store_b8 v[2:3], v4, off
.LBB31_2012:
	s_mov_b32 s0, 0
.LBB31_2013:
	s_delay_alu instid0(SALU_CYCLE_1)
	s_and_b32 vcc_lo, exec_lo, s0
	s_cbranch_vccz .LBB31_2052
; %bb.2014:
	v_cmp_lt_i16_e64 s0, s3, 5
	s_delay_alu instid0(VALU_DEP_1)
	s_and_b32 vcc_lo, exec_lo, s0
	s_mov_b32 s0, -1
	s_cbranch_vccnz .LBB31_2035
; %bb.2015:
	v_cmp_lt_i16_e64 s0, s3, 8
	s_delay_alu instid0(VALU_DEP_1)
	s_and_b32 vcc_lo, exec_lo, s0
	s_mov_b32 s0, -1
	s_cbranch_vccnz .LBB31_2025
	;; [unrolled: 6-line block ×3, first 2 shown]
; %bb.2017:
	v_cmp_gt_i16_e64 s0, s3, 9
	s_delay_alu instid0(VALU_DEP_1)
	s_and_b32 vcc_lo, exec_lo, s0
	s_mov_b32 s0, -1
	s_cbranch_vccz .LBB31_2019
; %bb.2018:
	v_cvt_f64_f32_e32 v[10:11], v6
	v_mov_b32_e32 v12, 0
	s_mov_b32 s0, 0
	s_delay_alu instid0(VALU_DEP_1)
	v_mov_b32_e32 v13, v12
	global_store_b128 v[2:3], v[10:13], off
.LBB31_2019:
	s_and_not1_b32 vcc_lo, exec_lo, s0
	s_cbranch_vccnz .LBB31_2021
; %bb.2020:
	v_mov_b32_e32 v7, 0
	global_store_b64 v[2:3], v[6:7], off
.LBB31_2021:
	s_mov_b32 s0, 0
.LBB31_2022:
	s_delay_alu instid0(SALU_CYCLE_1)
	s_and_not1_b32 vcc_lo, exec_lo, s0
	s_cbranch_vccnz .LBB31_2024
; %bb.2023:
	v_cvt_f16_f32_e32 v4, v6
	s_delay_alu instid0(VALU_DEP_1)
	v_and_b32_e32 v4, 0xffff, v4
	global_store_b32 v[2:3], v4, off
.LBB31_2024:
	s_mov_b32 s0, 0
.LBB31_2025:
	s_delay_alu instid0(SALU_CYCLE_1)
	s_and_not1_b32 vcc_lo, exec_lo, s0
	s_cbranch_vccnz .LBB31_2034
; %bb.2026:
	v_cmp_lt_i16_e64 s0, s3, 6
	s_delay_alu instid0(VALU_DEP_1)
	s_and_b32 vcc_lo, exec_lo, s0
	s_mov_b32 s0, -1
	s_cbranch_vccnz .LBB31_2032
; %bb.2027:
	v_cmp_gt_i16_e64 s0, s3, 6
	s_delay_alu instid0(VALU_DEP_1)
	s_and_b32 vcc_lo, exec_lo, s0
	s_mov_b32 s0, -1
	s_cbranch_vccz .LBB31_2029
; %bb.2028:
	v_cvt_f64_f32_e32 v[4:5], v6
	s_mov_b32 s0, 0
	global_store_b64 v[2:3], v[4:5], off
.LBB31_2029:
	s_and_not1_b32 vcc_lo, exec_lo, s0
	s_cbranch_vccnz .LBB31_2031
; %bb.2030:
	global_store_b32 v[2:3], v6, off
.LBB31_2031:
	s_mov_b32 s0, 0
.LBB31_2032:
	s_delay_alu instid0(SALU_CYCLE_1)
	s_and_not1_b32 vcc_lo, exec_lo, s0
	s_cbranch_vccnz .LBB31_2034
; %bb.2033:
	v_cvt_f16_f32_e32 v4, v6
	global_store_b16 v[2:3], v4, off
.LBB31_2034:
	s_mov_b32 s0, 0
.LBB31_2035:
	s_delay_alu instid0(SALU_CYCLE_1)
	s_and_not1_b32 vcc_lo, exec_lo, s0
	s_cbranch_vccnz .LBB31_2051
; %bb.2036:
	v_cmp_lt_i16_e64 s0, s3, 2
	s_delay_alu instid0(VALU_DEP_1)
	s_and_b32 vcc_lo, exec_lo, s0
	s_mov_b32 s0, -1
	s_cbranch_vccnz .LBB31_2046
; %bb.2037:
	v_cmp_lt_i16_e64 s0, s3, 3
	s_delay_alu instid0(VALU_DEP_1)
	s_and_b32 vcc_lo, exec_lo, s0
	s_mov_b32 s0, -1
	s_cbranch_vccnz .LBB31_2043
; %bb.2038:
	v_cmp_gt_i16_e64 s0, s3, 3
	s_delay_alu instid0(VALU_DEP_1)
	s_and_b32 vcc_lo, exec_lo, s0
	s_mov_b32 s0, -1
	s_cbranch_vccz .LBB31_2040
; %bb.2039:
	v_trunc_f32_e32 v4, v6
	s_mov_b32 s0, 0
	s_delay_alu instid0(VALU_DEP_1) | instskip(SKIP_1) | instid1(VALU_DEP_2)
	v_mul_f32_e64 v5, 0x2f800000, |v4|
	v_ashrrev_i32_e32 v10, 31, v4
	v_floor_f32_e32 v5, v5
	s_delay_alu instid0(VALU_DEP_1) | instskip(SKIP_1) | instid1(VALU_DEP_2)
	v_fma_f32 v7, 0xcf800000, v5, |v4|
	v_cvt_u32_f32_e32 v5, v5
	v_cvt_u32_f32_e32 v4, v7
	s_delay_alu instid0(VALU_DEP_2) | instskip(NEXT) | instid1(VALU_DEP_2)
	v_xor_b32_e32 v5, v5, v10
	v_xor_b32_e32 v4, v4, v10
	s_delay_alu instid0(VALU_DEP_1) | instskip(NEXT) | instid1(VALU_DEP_3)
	v_sub_co_u32 v4, vcc_lo, v4, v10
	v_sub_co_ci_u32_e32 v5, vcc_lo, v5, v10, vcc_lo
	global_store_b64 v[2:3], v[4:5], off
.LBB31_2040:
	s_and_not1_b32 vcc_lo, exec_lo, s0
	s_cbranch_vccnz .LBB31_2042
; %bb.2041:
	v_cvt_i32_f32_e32 v4, v6
	global_store_b32 v[2:3], v4, off
.LBB31_2042:
	s_mov_b32 s0, 0
.LBB31_2043:
	s_delay_alu instid0(SALU_CYCLE_1)
	s_and_not1_b32 vcc_lo, exec_lo, s0
	s_cbranch_vccnz .LBB31_2045
; %bb.2044:
	v_cvt_i32_f32_e32 v4, v6
	global_store_b16 v[2:3], v4, off
.LBB31_2045:
	s_mov_b32 s0, 0
.LBB31_2046:
	s_delay_alu instid0(SALU_CYCLE_1)
	s_and_not1_b32 vcc_lo, exec_lo, s0
	s_cbranch_vccnz .LBB31_2051
; %bb.2047:
	v_cmp_gt_i16_e64 s0, s3, 0
	s_delay_alu instid0(VALU_DEP_1)
	s_and_b32 vcc_lo, exec_lo, s0
	s_mov_b32 s0, -1
	s_cbranch_vccz .LBB31_2049
; %bb.2048:
	v_cvt_i32_f32_e32 v4, v6
	s_mov_b32 s0, 0
	global_store_b8 v[2:3], v4, off
.LBB31_2049:
	s_and_not1_b32 vcc_lo, exec_lo, s0
	s_cbranch_vccnz .LBB31_2051
; %bb.2050:
	v_trunc_f32_e32 v4, v6
	s_delay_alu instid0(VALU_DEP_1) | instskip(NEXT) | instid1(VALU_DEP_1)
	v_mul_f32_e64 v5, 0x2f800000, |v4|
	v_floor_f32_e32 v5, v5
	s_delay_alu instid0(VALU_DEP_1) | instskip(SKIP_1) | instid1(VALU_DEP_2)
	v_fma_f32 v5, 0xcf800000, v5, |v4|
	v_ashrrev_i32_e32 v4, 31, v4
	v_cvt_u32_f32_e32 v5, v5
	s_delay_alu instid0(VALU_DEP_1) | instskip(NEXT) | instid1(VALU_DEP_1)
	v_xor_b32_e32 v5, v5, v4
	v_sub_nc_u32_e32 v4, v5, v4
	global_store_b8 v[2:3], v4, off
.LBB31_2051:
	s_mov_b32 s6, -1
.LBB31_2052:
	s_delay_alu instid0(SALU_CYCLE_1)
	s_and_not1_b32 vcc_lo, exec_lo, s6
	s_cbranch_vccnz .LBB31_2190
; %bb.2053:
	v_cmp_lt_i16_e64 s0, s3, 11
	v_add_co_u32 v1, s1, s4, v1
	s_delay_alu instid0(VALU_DEP_1) | instskip(SKIP_1) | instid1(VALU_DEP_3)
	v_add_co_ci_u32_e64 v2, null, s5, 0, s1
	s_mov_b32 s6, 0
	s_and_b32 vcc_lo, exec_lo, s0
	s_mov_b32 s0, -1
	s_cbranch_vccnz .LBB31_2142
; %bb.2054:
	v_cmp_gt_i16_e64 s0, s3, 25
	s_mov_b32 s7, -1
	s_mov_b32 s1, 0
	s_delay_alu instid0(VALU_DEP_1)
	s_and_b32 vcc_lo, exec_lo, s0
	s_mov_b32 s0, 0
	s_cbranch_vccz .LBB31_2098
; %bb.2055:
	v_cmp_gt_i16_e64 s0, s3, 28
	s_delay_alu instid0(VALU_DEP_1)
	s_and_b32 vcc_lo, exec_lo, s0
	s_cbranch_vccz .LBB31_2060
; %bb.2056:
	v_cmp_gt_i16_e64 s0, s3, 43
	s_delay_alu instid0(VALU_DEP_1)
	s_and_b32 vcc_lo, exec_lo, s0
	;; [unrolled: 5-line block ×3, first 2 shown]
	s_cbranch_vccz .LBB31_2070
; %bb.2058:
	v_cmp_eq_u16_e64 s6, s3, 46
	s_mov_b32 s0, -1
	s_mov_b32 s7, 0
	s_delay_alu instid0(VALU_DEP_1)
	s_and_b32 vcc_lo, exec_lo, s6
	s_mov_b32 s6, 0
	s_cbranch_vccz .LBB31_2071
; %bb.2059:
	v_bfe_u32 v3, v9, 16, 1
	v_cmp_o_f32_e32 vcc_lo, v9, v9
	s_mov_b32 s0, 0
	s_mov_b32 s6, -1
	s_delay_alu instid0(VALU_DEP_2) | instskip(NEXT) | instid1(VALU_DEP_1)
	v_add3_u32 v3, v9, v3, 0x7fff
	v_lshrrev_b32_e32 v3, 16, v3
	s_delay_alu instid0(VALU_DEP_1)
	v_cndmask_b32_e32 v3, 0x7fc0, v3, vcc_lo
	global_store_b32 v[1:2], v3, off
	s_branch .LBB31_2071
.LBB31_2060:
	s_mov_b32 s0, 0
	s_branch .LBB31_2081
.LBB31_2061:
	s_or_saveexec_b32 s10, s10
                                        ; implicit-def: $sgpr11
	s_delay_alu instid0(SALU_CYCLE_1)
	s_xor_b32 exec_lo, exec_lo, s10
	s_cbranch_execz .LBB31_1963
.LBB31_2062:
	v_add_f32_e64 v4, 0x46000000, |v6|
	s_and_not1_b32 s7, s7, exec_lo
	s_mov_b32 s11, 0
	s_delay_alu instid0(VALU_DEP_1) | instskip(NEXT) | instid1(VALU_DEP_1)
	v_and_b32_e32 v4, 0xff, v4
	v_cmp_ne_u32_e32 vcc_lo, 0, v4
	s_and_b32 s12, vcc_lo, exec_lo
	s_delay_alu instid0(SALU_CYCLE_1)
	s_or_b32 s7, s7, s12
	s_or_b32 exec_lo, exec_lo, s10
	v_mov_b32_e32 v5, s11
	s_and_saveexec_b32 s10, s7
	s_cbranch_execnz .LBB31_1964
	s_branch .LBB31_1965
.LBB31_2063:
	s_mov_b32 s0, 0
	s_branch .LBB31_2077
.LBB31_2064:
	s_trap 2
	s_sendmsg_rtn_b32 s0, sendmsg(MSG_RTN_GET_DOORBELL)
	s_mov_b32 ttmp2, m0
	s_waitcnt lgkmcnt(0)
	s_and_b32 s0, s0, 0x3ff
	s_delay_alu instid0(SALU_CYCLE_1) | instskip(NEXT) | instid1(SALU_CYCLE_1)
	s_bitset1_b32 s0, 10
	s_mov_b32 m0, s0
	s_sendmsg sendmsg(MSG_INTERRUPT)
	s_mov_b32 m0, ttmp2
.LBB31_2065:                            ; =>This Inner Loop Header: Depth=1
	s_sethalt 5
	s_branch .LBB31_2065
.LBB31_2066:
	s_cbranch_execnz .LBB31_2195
; %bb.2067:
	s_or_b32 s2, s2, exec_lo
	s_cbranch_execz .LBB31_2011
	s_branch .LBB31_2012
.LBB31_2068:
	s_or_saveexec_b32 s7, s7
                                        ; implicit-def: $sgpr10
	s_delay_alu instid0(SALU_CYCLE_1)
	s_xor_b32 exec_lo, exec_lo, s7
	s_cbranch_execz .LBB31_1976
.LBB31_2069:
	v_add_f32_e64 v4, 0x42800000, |v6|
	s_and_not1_b32 s6, s6, exec_lo
	s_mov_b32 s10, 0
	s_delay_alu instid0(VALU_DEP_1) | instskip(NEXT) | instid1(VALU_DEP_1)
	v_and_b32_e32 v4, 0xff, v4
	v_cmp_ne_u32_e32 vcc_lo, 0, v4
	s_and_b32 s11, vcc_lo, exec_lo
	s_delay_alu instid0(SALU_CYCLE_1)
	s_or_b32 s6, s6, s11
	s_or_b32 exec_lo, exec_lo, s7
	v_mov_b32_e32 v5, s10
	s_and_saveexec_b32 s7, s6
	s_cbranch_execnz .LBB31_1977
	s_branch .LBB31_1978
.LBB31_2070:
	s_mov_b32 s0, 0
.LBB31_2071:
	s_and_b32 vcc_lo, exec_lo, s7
	s_cbranch_vccz .LBB31_2076
; %bb.2072:
	v_cmp_eq_u16_e64 s0, s3, 44
	s_delay_alu instid0(VALU_DEP_1)
	s_and_b32 vcc_lo, exec_lo, s0
	s_mov_b32 s0, -1
	s_cbranch_vccz .LBB31_2076
; %bb.2073:
	v_bfe_u32 v4, v9, 23, 8
	v_mov_b32_e32 v3, 0xff
	s_mov_b32 s6, exec_lo
	s_delay_alu instid0(VALU_DEP_2)
	v_cmpx_ne_u32_e32 0xff, v4
; %bb.2074:
	v_and_b32_e32 v3, 0x400000, v9
	v_and_or_b32 v4, 0x3fffff, v9, v4
	s_delay_alu instid0(VALU_DEP_2) | instskip(NEXT) | instid1(VALU_DEP_2)
	v_cmp_ne_u32_e32 vcc_lo, 0, v3
	v_cmp_ne_u32_e64 s0, 0, v4
	v_lshrrev_b32_e32 v3, 23, v9
	s_delay_alu instid0(VALU_DEP_2) | instskip(NEXT) | instid1(SALU_CYCLE_1)
	s_and_b32 s0, vcc_lo, s0
	v_cndmask_b32_e64 v4, 0, 1, s0
	s_delay_alu instid0(VALU_DEP_1)
	v_add_nc_u32_e32 v3, v3, v4
; %bb.2075:
	s_or_b32 exec_lo, exec_lo, s6
	s_mov_b32 s0, 0
	s_mov_b32 s6, -1
	global_store_b8 v[1:2], v3, off
.LBB31_2076:
	s_mov_b32 s7, 0
.LBB31_2077:
	s_delay_alu instid0(SALU_CYCLE_1)
	s_and_b32 vcc_lo, exec_lo, s7
	s_cbranch_vccz .LBB31_2080
; %bb.2078:
	v_cmp_eq_u16_e64 s0, s3, 29
	s_delay_alu instid0(VALU_DEP_1)
	s_and_b32 vcc_lo, exec_lo, s0
	s_mov_b32 s0, -1
	s_cbranch_vccz .LBB31_2080
; %bb.2079:
	v_trunc_f32_e32 v3, v9
	s_mov_b32 s0, 0
	s_mov_b32 s6, -1
	s_mov_b32 s7, 0
	s_delay_alu instid0(VALU_DEP_1) | instskip(NEXT) | instid1(VALU_DEP_1)
	v_mul_f32_e32 v4, 0x2f800000, v3
	v_floor_f32_e32 v4, v4
	s_delay_alu instid0(VALU_DEP_1) | instskip(SKIP_1) | instid1(VALU_DEP_2)
	v_fmamk_f32 v3, v4, 0xcf800000, v3
	v_cvt_u32_f32_e32 v4, v4
	v_cvt_u32_f32_e32 v3, v3
	global_store_b64 v[1:2], v[3:4], off
	s_branch .LBB31_2081
.LBB31_2080:
	s_mov_b32 s7, 0
.LBB31_2081:
	s_delay_alu instid0(SALU_CYCLE_1)
	s_and_b32 vcc_lo, exec_lo, s7
	s_cbranch_vccz .LBB31_2097
; %bb.2082:
	v_cmp_lt_i16_e64 s6, s3, 27
	s_delay_alu instid0(VALU_DEP_1)
	s_and_b32 vcc_lo, exec_lo, s6
	s_mov_b32 s6, -1
	s_cbranch_vccnz .LBB31_2088
; %bb.2083:
	v_cmp_gt_i16_e64 s6, s3, 27
	v_cvt_u32_f32_e32 v3, v9
	s_delay_alu instid0(VALU_DEP_2)
	s_and_b32 vcc_lo, exec_lo, s6
	s_mov_b32 s6, -1
	s_cbranch_vccz .LBB31_2085
; %bb.2084:
	s_mov_b32 s6, 0
	global_store_b32 v[1:2], v3, off
.LBB31_2085:
	s_and_not1_b32 vcc_lo, exec_lo, s6
	s_cbranch_vccnz .LBB31_2087
; %bb.2086:
	global_store_b16 v[1:2], v3, off
.LBB31_2087:
	s_mov_b32 s6, 0
.LBB31_2088:
	s_delay_alu instid0(SALU_CYCLE_1)
	s_and_not1_b32 vcc_lo, exec_lo, s6
	s_cbranch_vccnz .LBB31_2096
; %bb.2089:
	v_and_b32_e32 v3, 0x7fffffff, v9
	v_mov_b32_e32 v4, 0x80
	s_mov_b32 s6, exec_lo
	s_delay_alu instid0(VALU_DEP_2)
	v_cmpx_gt_u32_e32 0x43800000, v3
	s_cbranch_execz .LBB31_2095
; %bb.2090:
	v_cmp_lt_u32_e32 vcc_lo, 0x3bffffff, v3
	s_mov_b32 s7, 0
                                        ; implicit-def: $vgpr3
	s_and_saveexec_b32 s10, vcc_lo
	s_delay_alu instid0(SALU_CYCLE_1)
	s_xor_b32 s10, exec_lo, s10
	s_cbranch_execz .LBB31_2192
; %bb.2091:
	v_bfe_u32 v3, v9, 20, 1
	s_mov_b32 s7, exec_lo
	s_delay_alu instid0(VALU_DEP_1) | instskip(NEXT) | instid1(VALU_DEP_1)
	v_add3_u32 v3, v9, v3, 0x487ffff
	v_lshrrev_b32_e32 v3, 20, v3
	s_or_saveexec_b32 s10, s10
                                        ; implicit-def: $sgpr11
	s_delay_alu instid0(SALU_CYCLE_1)
	s_xor_b32 exec_lo, exec_lo, s10
	s_cbranch_execnz .LBB31_2193
.LBB31_2092:
	s_or_b32 exec_lo, exec_lo, s10
	v_mov_b32_e32 v4, s11
	s_and_saveexec_b32 s10, s7
.LBB31_2093:
	v_lshrrev_b32_e32 v4, 24, v9
	s_delay_alu instid0(VALU_DEP_1)
	v_and_or_b32 v4, 0x80, v4, v3
.LBB31_2094:
	s_or_b32 exec_lo, exec_lo, s10
.LBB31_2095:
	s_delay_alu instid0(SALU_CYCLE_1)
	s_or_b32 exec_lo, exec_lo, s6
	global_store_b8 v[1:2], v4, off
.LBB31_2096:
	s_mov_b32 s6, -1
.LBB31_2097:
	s_mov_b32 s7, 0
.LBB31_2098:
	s_delay_alu instid0(SALU_CYCLE_1)
	s_and_b32 vcc_lo, exec_lo, s7
	s_cbranch_vccz .LBB31_2138
; %bb.2099:
	v_cmp_gt_i16_e64 s1, s3, 22
	s_delay_alu instid0(VALU_DEP_1)
	s_and_b32 vcc_lo, exec_lo, s1
	s_mov_b32 s1, -1
	s_cbranch_vccz .LBB31_2131
; %bb.2100:
	v_cmp_lt_i16_e64 s1, s3, 24
	s_delay_alu instid0(VALU_DEP_1)
	s_and_b32 vcc_lo, exec_lo, s1
	s_mov_b32 s1, -1
	s_cbranch_vccnz .LBB31_2120
; %bb.2101:
	v_cmp_gt_i16_e64 s1, s3, 24
	s_delay_alu instid0(VALU_DEP_1)
	s_and_b32 vcc_lo, exec_lo, s1
	s_mov_b32 s1, -1
	s_cbranch_vccz .LBB31_2109
; %bb.2102:
	v_and_b32_e32 v3, 0x7fffffff, v9
	v_mov_b32_e32 v4, 0x80
	s_mov_b32 s1, exec_lo
	s_delay_alu instid0(VALU_DEP_2)
	v_cmpx_gt_u32_e32 0x47800000, v3
	s_cbranch_execz .LBB31_2108
; %bb.2103:
	v_cmp_lt_u32_e32 vcc_lo, 0x37ffffff, v3
	s_mov_b32 s6, 0
                                        ; implicit-def: $vgpr3
	s_and_saveexec_b32 s7, vcc_lo
	s_delay_alu instid0(SALU_CYCLE_1)
	s_xor_b32 s7, exec_lo, s7
	s_cbranch_execz .LBB31_2199
; %bb.2104:
	v_bfe_u32 v3, v9, 21, 1
	s_mov_b32 s6, exec_lo
	s_delay_alu instid0(VALU_DEP_1) | instskip(NEXT) | instid1(VALU_DEP_1)
	v_add3_u32 v3, v9, v3, 0x88fffff
	v_lshrrev_b32_e32 v3, 21, v3
	s_or_saveexec_b32 s7, s7
                                        ; implicit-def: $sgpr10
	s_delay_alu instid0(SALU_CYCLE_1)
	s_xor_b32 exec_lo, exec_lo, s7
	s_cbranch_execnz .LBB31_2200
.LBB31_2105:
	s_or_b32 exec_lo, exec_lo, s7
	v_mov_b32_e32 v4, s10
	s_and_saveexec_b32 s7, s6
.LBB31_2106:
	v_lshrrev_b32_e32 v4, 24, v9
	s_delay_alu instid0(VALU_DEP_1)
	v_and_or_b32 v4, 0x80, v4, v3
.LBB31_2107:
	s_or_b32 exec_lo, exec_lo, s7
.LBB31_2108:
	s_delay_alu instid0(SALU_CYCLE_1)
	s_or_b32 exec_lo, exec_lo, s1
	s_mov_b32 s1, 0
	global_store_b8 v[1:2], v4, off
.LBB31_2109:
	s_and_b32 vcc_lo, exec_lo, s1
	s_cbranch_vccz .LBB31_2119
; %bb.2110:
	v_and_b32_e32 v4, 0x7fffffff, v9
	s_mov_b32 s1, exec_lo
                                        ; implicit-def: $vgpr3
	s_delay_alu instid0(VALU_DEP_1)
	v_cmpx_gt_u32_e32 0x43f00000, v4
	s_xor_b32 s1, exec_lo, s1
	s_cbranch_execz .LBB31_2116
; %bb.2111:
	s_mov_b32 s6, exec_lo
                                        ; implicit-def: $vgpr3
	v_cmpx_lt_u32_e32 0x3c7fffff, v4
	s_xor_b32 s6, exec_lo, s6
; %bb.2112:
	v_bfe_u32 v3, v9, 20, 1
	s_delay_alu instid0(VALU_DEP_1) | instskip(NEXT) | instid1(VALU_DEP_1)
	v_add3_u32 v3, v9, v3, 0x407ffff
	v_and_b32_e32 v4, 0xff00000, v3
	v_lshrrev_b32_e32 v3, 20, v3
	s_delay_alu instid0(VALU_DEP_2) | instskip(NEXT) | instid1(VALU_DEP_2)
	v_cmp_ne_u32_e32 vcc_lo, 0x7f00000, v4
	v_cndmask_b32_e32 v3, 0x7e, v3, vcc_lo
; %bb.2113:
	s_and_not1_saveexec_b32 s6, s6
; %bb.2114:
	v_add_f32_e64 v3, 0x46800000, |v9|
; %bb.2115:
	s_or_b32 exec_lo, exec_lo, s6
                                        ; implicit-def: $vgpr4
.LBB31_2116:
	s_and_not1_saveexec_b32 s1, s1
; %bb.2117:
	v_mov_b32_e32 v3, 0x7f
	v_cmp_lt_u32_e32 vcc_lo, 0x7f800000, v4
	s_delay_alu instid0(VALU_DEP_2)
	v_cndmask_b32_e32 v3, 0x7e, v3, vcc_lo
; %bb.2118:
	s_or_b32 exec_lo, exec_lo, s1
	v_lshrrev_b32_e32 v4, 24, v9
	s_delay_alu instid0(VALU_DEP_1)
	v_and_or_b32 v3, 0x80, v4, v3
	global_store_b8 v[1:2], v3, off
.LBB31_2119:
	s_mov_b32 s1, 0
.LBB31_2120:
	s_delay_alu instid0(SALU_CYCLE_1)
	s_and_not1_b32 vcc_lo, exec_lo, s1
	s_cbranch_vccnz .LBB31_2130
; %bb.2121:
	v_and_b32_e32 v4, 0x7fffffff, v9
	s_mov_b32 s1, exec_lo
                                        ; implicit-def: $vgpr3
	s_delay_alu instid0(VALU_DEP_1)
	v_cmpx_gt_u32_e32 0x47800000, v4
	s_xor_b32 s1, exec_lo, s1
	s_cbranch_execz .LBB31_2127
; %bb.2122:
	s_mov_b32 s6, exec_lo
                                        ; implicit-def: $vgpr3
	v_cmpx_lt_u32_e32 0x387fffff, v4
	s_xor_b32 s6, exec_lo, s6
; %bb.2123:
	v_bfe_u32 v3, v9, 21, 1
	s_delay_alu instid0(VALU_DEP_1) | instskip(NEXT) | instid1(VALU_DEP_1)
	v_add3_u32 v3, v9, v3, 0x80fffff
	v_lshrrev_b32_e32 v3, 21, v3
; %bb.2124:
	s_and_not1_saveexec_b32 s6, s6
; %bb.2125:
	v_add_f32_e64 v3, 0x43000000, |v9|
; %bb.2126:
	s_or_b32 exec_lo, exec_lo, s6
                                        ; implicit-def: $vgpr4
.LBB31_2127:
	s_and_not1_saveexec_b32 s1, s1
; %bb.2128:
	v_mov_b32_e32 v3, 0x7f
	v_cmp_lt_u32_e32 vcc_lo, 0x7f800000, v4
	s_delay_alu instid0(VALU_DEP_2)
	v_cndmask_b32_e32 v3, 0x7c, v3, vcc_lo
; %bb.2129:
	s_or_b32 exec_lo, exec_lo, s1
	v_lshrrev_b32_e32 v4, 24, v9
	s_delay_alu instid0(VALU_DEP_1)
	v_and_or_b32 v3, 0x80, v4, v3
	global_store_b8 v[1:2], v3, off
.LBB31_2130:
	s_mov_b32 s1, 0
	s_mov_b32 s6, -1
.LBB31_2131:
	s_and_not1_b32 vcc_lo, exec_lo, s1
	s_mov_b32 s1, 0
	s_cbranch_vccnz .LBB31_2138
; %bb.2132:
	v_cmp_gt_i16_e64 s1, s3, 14
	s_delay_alu instid0(VALU_DEP_1)
	s_and_b32 vcc_lo, exec_lo, s1
	s_mov_b32 s1, -1
	s_cbranch_vccz .LBB31_2136
; %bb.2133:
	v_cmp_eq_u16_e64 s0, s3, 15
	s_delay_alu instid0(VALU_DEP_1)
	s_and_b32 vcc_lo, exec_lo, s0
	s_mov_b32 s0, -1
	s_cbranch_vccz .LBB31_2135
; %bb.2134:
	v_bfe_u32 v3, v9, 16, 1
	v_cmp_o_f32_e32 vcc_lo, v9, v9
	s_mov_b32 s0, 0
	s_mov_b32 s6, -1
	s_delay_alu instid0(VALU_DEP_2) | instskip(NEXT) | instid1(VALU_DEP_1)
	v_add3_u32 v3, v9, v3, 0x7fff
	v_lshrrev_b32_e32 v3, 16, v3
	s_delay_alu instid0(VALU_DEP_1)
	v_cndmask_b32_e32 v3, 0x7fc0, v3, vcc_lo
	global_store_b16 v[1:2], v3, off
.LBB31_2135:
	s_mov_b32 s1, 0
.LBB31_2136:
	s_delay_alu instid0(SALU_CYCLE_1)
	s_and_b32 vcc_lo, exec_lo, s1
	s_mov_b32 s1, 0
	s_cbranch_vccz .LBB31_2138
; %bb.2137:
	v_cmp_ne_u16_e64 s0, s3, 11
	s_mov_b32 s1, -1
.LBB31_2138:
	s_delay_alu instid0(VALU_DEP_1)
	s_and_b32 vcc_lo, exec_lo, s0
	s_cbranch_vccnz .LBB31_2197
; %bb.2139:
	s_and_not1_b32 vcc_lo, exec_lo, s1
	s_cbranch_vccnz .LBB31_2141
.LBB31_2140:
	v_cmp_neq_f32_e32 vcc_lo, 0, v9
	s_mov_b32 s6, -1
	v_cndmask_b32_e64 v3, 0, 1, vcc_lo
	global_store_b8 v[1:2], v3, off
.LBB31_2141:
	s_mov_b32 s0, 0
.LBB31_2142:
	s_delay_alu instid0(SALU_CYCLE_1)
	s_and_b32 vcc_lo, exec_lo, s0
	s_cbranch_vccz .LBB31_2181
; %bb.2143:
	v_cmp_lt_i16_e64 s0, s3, 5
	s_delay_alu instid0(VALU_DEP_1)
	s_and_b32 vcc_lo, exec_lo, s0
	s_mov_b32 s0, -1
	s_cbranch_vccnz .LBB31_2164
; %bb.2144:
	v_cmp_lt_i16_e64 s0, s3, 8
	s_delay_alu instid0(VALU_DEP_1)
	s_and_b32 vcc_lo, exec_lo, s0
	s_mov_b32 s0, -1
	s_cbranch_vccnz .LBB31_2154
	;; [unrolled: 6-line block ×3, first 2 shown]
; %bb.2146:
	v_cmp_gt_i16_e64 s0, s3, 9
	s_delay_alu instid0(VALU_DEP_1)
	s_and_b32 vcc_lo, exec_lo, s0
	s_mov_b32 s0, -1
	s_cbranch_vccz .LBB31_2148
; %bb.2147:
	v_cvt_f64_f32_e32 v[3:4], v9
	v_mov_b32_e32 v5, 0
	s_mov_b32 s0, 0
	s_delay_alu instid0(VALU_DEP_1)
	v_mov_b32_e32 v6, v5
	global_store_b128 v[1:2], v[3:6], off
.LBB31_2148:
	s_and_not1_b32 vcc_lo, exec_lo, s0
	s_cbranch_vccnz .LBB31_2150
; %bb.2149:
	v_mov_b32_e32 v10, 0
	global_store_b64 v[1:2], v[9:10], off
.LBB31_2150:
	s_mov_b32 s0, 0
.LBB31_2151:
	s_delay_alu instid0(SALU_CYCLE_1)
	s_and_not1_b32 vcc_lo, exec_lo, s0
	s_cbranch_vccnz .LBB31_2153
; %bb.2152:
	v_cvt_f16_f32_e32 v3, v9
	s_delay_alu instid0(VALU_DEP_1)
	v_and_b32_e32 v3, 0xffff, v3
	global_store_b32 v[1:2], v3, off
.LBB31_2153:
	s_mov_b32 s0, 0
.LBB31_2154:
	s_delay_alu instid0(SALU_CYCLE_1)
	s_and_not1_b32 vcc_lo, exec_lo, s0
	s_cbranch_vccnz .LBB31_2163
; %bb.2155:
	v_cmp_lt_i16_e64 s0, s3, 6
	s_delay_alu instid0(VALU_DEP_1)
	s_and_b32 vcc_lo, exec_lo, s0
	s_mov_b32 s0, -1
	s_cbranch_vccnz .LBB31_2161
; %bb.2156:
	v_cmp_gt_i16_e64 s0, s3, 6
	s_delay_alu instid0(VALU_DEP_1)
	s_and_b32 vcc_lo, exec_lo, s0
	s_mov_b32 s0, -1
	s_cbranch_vccz .LBB31_2158
; %bb.2157:
	v_cvt_f64_f32_e32 v[3:4], v9
	s_mov_b32 s0, 0
	global_store_b64 v[1:2], v[3:4], off
.LBB31_2158:
	s_and_not1_b32 vcc_lo, exec_lo, s0
	s_cbranch_vccnz .LBB31_2160
; %bb.2159:
	global_store_b32 v[1:2], v9, off
.LBB31_2160:
	s_mov_b32 s0, 0
.LBB31_2161:
	s_delay_alu instid0(SALU_CYCLE_1)
	s_and_not1_b32 vcc_lo, exec_lo, s0
	s_cbranch_vccnz .LBB31_2163
; %bb.2162:
	v_cvt_f16_f32_e32 v3, v9
	global_store_b16 v[1:2], v3, off
.LBB31_2163:
	s_mov_b32 s0, 0
.LBB31_2164:
	s_delay_alu instid0(SALU_CYCLE_1)
	s_and_not1_b32 vcc_lo, exec_lo, s0
	s_cbranch_vccnz .LBB31_2180
; %bb.2165:
	v_cmp_lt_i16_e64 s0, s3, 2
	s_delay_alu instid0(VALU_DEP_1)
	s_and_b32 vcc_lo, exec_lo, s0
	s_mov_b32 s0, -1
	s_cbranch_vccnz .LBB31_2175
; %bb.2166:
	v_cmp_lt_i16_e64 s0, s3, 3
	s_delay_alu instid0(VALU_DEP_1)
	s_and_b32 vcc_lo, exec_lo, s0
	s_mov_b32 s0, -1
	s_cbranch_vccnz .LBB31_2172
; %bb.2167:
	v_cmp_gt_i16_e64 s0, s3, 3
	s_delay_alu instid0(VALU_DEP_1)
	s_and_b32 vcc_lo, exec_lo, s0
	s_mov_b32 s0, -1
	s_cbranch_vccz .LBB31_2169
; %bb.2168:
	v_trunc_f32_e32 v3, v9
	s_mov_b32 s0, 0
	s_delay_alu instid0(VALU_DEP_1) | instskip(SKIP_1) | instid1(VALU_DEP_2)
	v_mul_f32_e64 v4, 0x2f800000, |v3|
	v_ashrrev_i32_e32 v6, 31, v3
	v_floor_f32_e32 v4, v4
	s_delay_alu instid0(VALU_DEP_1) | instskip(SKIP_1) | instid1(VALU_DEP_2)
	v_fma_f32 v5, 0xcf800000, v4, |v3|
	v_cvt_u32_f32_e32 v4, v4
	v_cvt_u32_f32_e32 v3, v5
	s_delay_alu instid0(VALU_DEP_2) | instskip(NEXT) | instid1(VALU_DEP_2)
	v_xor_b32_e32 v4, v4, v6
	v_xor_b32_e32 v3, v3, v6
	s_delay_alu instid0(VALU_DEP_1) | instskip(NEXT) | instid1(VALU_DEP_3)
	v_sub_co_u32 v3, vcc_lo, v3, v6
	v_sub_co_ci_u32_e32 v4, vcc_lo, v4, v6, vcc_lo
	global_store_b64 v[1:2], v[3:4], off
.LBB31_2169:
	s_and_not1_b32 vcc_lo, exec_lo, s0
	s_cbranch_vccnz .LBB31_2171
; %bb.2170:
	v_cvt_i32_f32_e32 v3, v9
	global_store_b32 v[1:2], v3, off
.LBB31_2171:
	s_mov_b32 s0, 0
.LBB31_2172:
	s_delay_alu instid0(SALU_CYCLE_1)
	s_and_not1_b32 vcc_lo, exec_lo, s0
	s_cbranch_vccnz .LBB31_2174
; %bb.2173:
	v_cvt_i32_f32_e32 v3, v9
	global_store_b16 v[1:2], v3, off
.LBB31_2174:
	s_mov_b32 s0, 0
.LBB31_2175:
	s_delay_alu instid0(SALU_CYCLE_1)
	s_and_not1_b32 vcc_lo, exec_lo, s0
	s_cbranch_vccnz .LBB31_2180
; %bb.2176:
	v_cmp_gt_i16_e64 s0, s3, 0
	s_delay_alu instid0(VALU_DEP_1)
	s_and_b32 vcc_lo, exec_lo, s0
	s_mov_b32 s0, -1
	s_cbranch_vccz .LBB31_2178
; %bb.2177:
	v_cvt_i32_f32_e32 v3, v9
	s_mov_b32 s0, 0
	global_store_b8 v[1:2], v3, off
.LBB31_2178:
	s_and_not1_b32 vcc_lo, exec_lo, s0
	s_cbranch_vccnz .LBB31_2180
; %bb.2179:
	v_trunc_f32_e32 v3, v9
	s_delay_alu instid0(VALU_DEP_1) | instskip(NEXT) | instid1(VALU_DEP_1)
	v_mul_f32_e64 v4, 0x2f800000, |v3|
	v_floor_f32_e32 v4, v4
	s_delay_alu instid0(VALU_DEP_1) | instskip(SKIP_1) | instid1(VALU_DEP_2)
	v_fma_f32 v4, 0xcf800000, v4, |v3|
	v_ashrrev_i32_e32 v3, 31, v3
	v_cvt_u32_f32_e32 v4, v4
	s_delay_alu instid0(VALU_DEP_1) | instskip(NEXT) | instid1(VALU_DEP_1)
	v_xor_b32_e32 v4, v4, v3
	v_sub_nc_u32_e32 v3, v4, v3
	global_store_b8 v[1:2], v3, off
.LBB31_2180:
	s_mov_b32 s6, -1
.LBB31_2181:
	s_delay_alu instid0(SALU_CYCLE_1)
	s_and_not1_b32 vcc_lo, exec_lo, s6
	s_cbranch_vccnz .LBB31_2190
; %bb.2182:
	v_cmp_lt_i16_e64 s0, s3, 11
	v_add_co_u32 v0, s4, s4, v0
	s_delay_alu instid0(VALU_DEP_1) | instskip(SKIP_1) | instid1(VALU_DEP_3)
	v_add_co_ci_u32_e64 v1, null, s5, 0, s4
	s_mov_b32 s1, 0
	s_and_b32 vcc_lo, exec_lo, s0
	s_mov_b32 s0, -1
	s_cbranch_vccnz .LBB31_1764
; %bb.2183:
	v_cmp_gt_i16_e64 s0, s3, 25
	s_mov_b32 s4, -1
	s_delay_alu instid0(VALU_DEP_1)
	s_and_b32 vcc_lo, exec_lo, s0
	s_mov_b32 s0, 0
	s_cbranch_vccz .LBB31_2228
; %bb.2184:
	v_cmp_gt_i16_e64 s0, s3, 28
	s_delay_alu instid0(VALU_DEP_1)
	s_and_b32 vcc_lo, exec_lo, s0
	s_cbranch_vccz .LBB31_2191
; %bb.2185:
	v_cmp_gt_i16_e64 s0, s3, 43
	s_delay_alu instid0(VALU_DEP_1)
	s_and_b32 vcc_lo, exec_lo, s0
	;; [unrolled: 5-line block ×3, first 2 shown]
	s_cbranch_vccz .LBB31_2201
; %bb.2187:
	v_cmp_eq_u16_e64 s0, s3, 46
	s_delay_alu instid0(VALU_DEP_1)
	s_and_b32 vcc_lo, exec_lo, s0
	s_mov_b32 s0, -1
	s_cbranch_vccz .LBB31_2189
; %bb.2188:
	v_bfe_u32 v2, v8, 16, 1
	v_cmp_o_f32_e32 vcc_lo, v8, v8
	s_mov_b32 s0, 0
	s_delay_alu instid0(VALU_DEP_2) | instskip(NEXT) | instid1(VALU_DEP_1)
	v_add3_u32 v2, v8, v2, 0x7fff
	v_lshrrev_b32_e32 v2, 16, v2
	s_delay_alu instid0(VALU_DEP_1)
	v_cndmask_b32_e32 v2, 0x7fc0, v2, vcc_lo
	global_store_b32 v[0:1], v2, off
.LBB31_2189:
	s_mov_b32 s4, 0
	s_branch .LBB31_2202
.LBB31_2190:
	s_mov_b32 s0, 0
	s_mov_b32 s1, 0
                                        ; implicit-def: $vgpr0_vgpr1
                                        ; implicit-def: $sgpr3
	s_branch .LBB31_1764
.LBB31_2191:
	s_mov_b32 s0, 0
	s_branch .LBB31_2212
.LBB31_2192:
	s_or_saveexec_b32 s10, s10
                                        ; implicit-def: $sgpr11
	s_delay_alu instid0(SALU_CYCLE_1)
	s_xor_b32 exec_lo, exec_lo, s10
	s_cbranch_execz .LBB31_2092
.LBB31_2193:
	v_add_f32_e64 v3, 0x46000000, |v9|
	s_and_not1_b32 s7, s7, exec_lo
	s_mov_b32 s11, 0
	s_delay_alu instid0(VALU_DEP_1) | instskip(NEXT) | instid1(VALU_DEP_1)
	v_and_b32_e32 v3, 0xff, v3
	v_cmp_ne_u32_e32 vcc_lo, 0, v3
	s_and_b32 s12, vcc_lo, exec_lo
	s_delay_alu instid0(SALU_CYCLE_1)
	s_or_b32 s7, s7, s12
	s_or_b32 exec_lo, exec_lo, s10
	v_mov_b32_e32 v4, s11
	s_and_saveexec_b32 s10, s7
	s_cbranch_execnz .LBB31_2093
	s_branch .LBB31_2094
.LBB31_2194:
	s_mov_b32 s0, 0
	s_branch .LBB31_2208
.LBB31_2195:
	s_trap 2
	s_sendmsg_rtn_b32 s0, sendmsg(MSG_RTN_GET_DOORBELL)
	s_mov_b32 ttmp2, m0
	s_waitcnt lgkmcnt(0)
	s_and_b32 s0, s0, 0x3ff
	s_delay_alu instid0(SALU_CYCLE_1) | instskip(NEXT) | instid1(SALU_CYCLE_1)
	s_bitset1_b32 s0, 10
	s_mov_b32 m0, s0
	s_sendmsg sendmsg(MSG_INTERRUPT)
	s_mov_b32 m0, ttmp2
.LBB31_2196:                            ; =>This Inner Loop Header: Depth=1
	s_sethalt 5
	s_branch .LBB31_2196
.LBB31_2197:
	s_cbranch_execnz .LBB31_2272
; %bb.2198:
	s_or_b32 s2, s2, exec_lo
	s_cbranch_execz .LBB31_2140
	s_branch .LBB31_2141
.LBB31_2199:
	s_or_saveexec_b32 s7, s7
                                        ; implicit-def: $sgpr10
	s_delay_alu instid0(SALU_CYCLE_1)
	s_xor_b32 exec_lo, exec_lo, s7
	s_cbranch_execz .LBB31_2105
.LBB31_2200:
	v_add_f32_e64 v3, 0x42800000, |v9|
	s_and_not1_b32 s6, s6, exec_lo
	s_mov_b32 s10, 0
	s_delay_alu instid0(VALU_DEP_1) | instskip(NEXT) | instid1(VALU_DEP_1)
	v_and_b32_e32 v3, 0xff, v3
	v_cmp_ne_u32_e32 vcc_lo, 0, v3
	s_and_b32 s11, vcc_lo, exec_lo
	s_delay_alu instid0(SALU_CYCLE_1)
	s_or_b32 s6, s6, s11
	s_or_b32 exec_lo, exec_lo, s7
	v_mov_b32_e32 v4, s10
	s_and_saveexec_b32 s7, s6
	s_cbranch_execnz .LBB31_2106
	s_branch .LBB31_2107
.LBB31_2201:
	s_mov_b32 s0, 0
.LBB31_2202:
	s_and_b32 vcc_lo, exec_lo, s4
	s_cbranch_vccz .LBB31_2207
; %bb.2203:
	v_cmp_eq_u16_e64 s0, s3, 44
	s_delay_alu instid0(VALU_DEP_1)
	s_and_b32 vcc_lo, exec_lo, s0
	s_mov_b32 s0, -1
	s_cbranch_vccz .LBB31_2207
; %bb.2204:
	v_bfe_u32 v3, v8, 23, 8
	v_mov_b32_e32 v2, 0xff
	s_mov_b32 s4, exec_lo
	s_delay_alu instid0(VALU_DEP_2)
	v_cmpx_ne_u32_e32 0xff, v3
; %bb.2205:
	v_and_b32_e32 v2, 0x400000, v8
	v_and_or_b32 v3, 0x3fffff, v8, v3
	s_delay_alu instid0(VALU_DEP_2) | instskip(NEXT) | instid1(VALU_DEP_2)
	v_cmp_ne_u32_e32 vcc_lo, 0, v2
	v_cmp_ne_u32_e64 s0, 0, v3
	v_lshrrev_b32_e32 v2, 23, v8
	s_delay_alu instid0(VALU_DEP_2) | instskip(NEXT) | instid1(SALU_CYCLE_1)
	s_and_b32 s0, vcc_lo, s0
	v_cndmask_b32_e64 v3, 0, 1, s0
	s_delay_alu instid0(VALU_DEP_1)
	v_add_nc_u32_e32 v2, v2, v3
; %bb.2206:
	s_or_b32 exec_lo, exec_lo, s4
	s_mov_b32 s0, 0
	global_store_b8 v[0:1], v2, off
.LBB31_2207:
	s_mov_b32 s4, 0
.LBB31_2208:
	s_delay_alu instid0(SALU_CYCLE_1)
	s_and_b32 vcc_lo, exec_lo, s4
	s_cbranch_vccz .LBB31_2211
; %bb.2209:
	v_cmp_eq_u16_e64 s0, s3, 29
	s_delay_alu instid0(VALU_DEP_1)
	s_and_b32 vcc_lo, exec_lo, s0
	s_mov_b32 s0, -1
	s_cbranch_vccz .LBB31_2211
; %bb.2210:
	v_trunc_f32_e32 v2, v8
	s_mov_b32 s0, 0
	s_delay_alu instid0(VALU_DEP_1) | instskip(NEXT) | instid1(VALU_DEP_1)
	v_mul_f32_e32 v3, 0x2f800000, v2
	v_floor_f32_e32 v3, v3
	s_delay_alu instid0(VALU_DEP_1) | instskip(SKIP_1) | instid1(VALU_DEP_2)
	v_fmamk_f32 v2, v3, 0xcf800000, v2
	v_cvt_u32_f32_e32 v3, v3
	v_cvt_u32_f32_e32 v2, v2
	global_store_b64 v[0:1], v[2:3], off
.LBB31_2211:
	s_mov_b32 s4, 0
.LBB31_2212:
	s_delay_alu instid0(SALU_CYCLE_1)
	s_and_b32 vcc_lo, exec_lo, s4
	s_cbranch_vccz .LBB31_2227
; %bb.2213:
	v_cmp_lt_i16_e64 s4, s3, 27
	s_delay_alu instid0(VALU_DEP_1)
	s_and_b32 vcc_lo, exec_lo, s4
	s_mov_b32 s4, -1
	s_cbranch_vccnz .LBB31_2219
; %bb.2214:
	v_cmp_gt_i16_e64 s4, s3, 27
	v_cvt_u32_f32_e32 v2, v8
	s_delay_alu instid0(VALU_DEP_2)
	s_and_b32 vcc_lo, exec_lo, s4
	s_mov_b32 s4, -1
	s_cbranch_vccz .LBB31_2216
; %bb.2215:
	s_mov_b32 s4, 0
	global_store_b32 v[0:1], v2, off
.LBB31_2216:
	s_and_not1_b32 vcc_lo, exec_lo, s4
	s_cbranch_vccnz .LBB31_2218
; %bb.2217:
	global_store_b16 v[0:1], v2, off
.LBB31_2218:
	s_mov_b32 s4, 0
.LBB31_2219:
	s_delay_alu instid0(SALU_CYCLE_1)
	s_and_not1_b32 vcc_lo, exec_lo, s4
	s_cbranch_vccnz .LBB31_2227
; %bb.2220:
	v_and_b32_e32 v2, 0x7fffffff, v8
	v_mov_b32_e32 v3, 0x80
	s_mov_b32 s4, exec_lo
	s_delay_alu instid0(VALU_DEP_2)
	v_cmpx_gt_u32_e32 0x43800000, v2
	s_cbranch_execz .LBB31_2226
; %bb.2221:
	v_cmp_lt_u32_e32 vcc_lo, 0x3bffffff, v2
	s_mov_b32 s5, 0
                                        ; implicit-def: $vgpr2
	s_and_saveexec_b32 s6, vcc_lo
	s_delay_alu instid0(SALU_CYCLE_1)
	s_xor_b32 s6, exec_lo, s6
	s_cbranch_execz .LBB31_2270
; %bb.2222:
	v_bfe_u32 v2, v8, 20, 1
	s_mov_b32 s5, exec_lo
	s_delay_alu instid0(VALU_DEP_1) | instskip(NEXT) | instid1(VALU_DEP_1)
	v_add3_u32 v2, v8, v2, 0x487ffff
	v_lshrrev_b32_e32 v2, 20, v2
	s_or_saveexec_b32 s6, s6
                                        ; implicit-def: $sgpr7
	s_delay_alu instid0(SALU_CYCLE_1)
	s_xor_b32 exec_lo, exec_lo, s6
	s_cbranch_execnz .LBB31_2271
.LBB31_2223:
	s_or_b32 exec_lo, exec_lo, s6
	v_mov_b32_e32 v3, s7
	s_and_saveexec_b32 s6, s5
.LBB31_2224:
	v_lshrrev_b32_e32 v3, 24, v8
	s_delay_alu instid0(VALU_DEP_1)
	v_and_or_b32 v3, 0x80, v3, v2
.LBB31_2225:
	s_or_b32 exec_lo, exec_lo, s6
.LBB31_2226:
	s_delay_alu instid0(SALU_CYCLE_1)
	s_or_b32 exec_lo, exec_lo, s4
	global_store_b8 v[0:1], v3, off
.LBB31_2227:
	s_mov_b32 s4, 0
.LBB31_2228:
	s_delay_alu instid0(SALU_CYCLE_1)
	s_and_b32 vcc_lo, exec_lo, s4
	s_cbranch_vccz .LBB31_2268
; %bb.2229:
	v_cmp_gt_i16_e64 s1, s3, 22
	s_delay_alu instid0(VALU_DEP_1)
	s_and_b32 vcc_lo, exec_lo, s1
	s_mov_b32 s1, -1
	s_cbranch_vccz .LBB31_2261
; %bb.2230:
	v_cmp_lt_i16_e64 s1, s3, 24
	s_delay_alu instid0(VALU_DEP_1)
	s_and_b32 vcc_lo, exec_lo, s1
	s_mov_b32 s1, -1
	s_cbranch_vccnz .LBB31_2250
; %bb.2231:
	v_cmp_gt_i16_e64 s1, s3, 24
	s_delay_alu instid0(VALU_DEP_1)
	s_and_b32 vcc_lo, exec_lo, s1
	s_mov_b32 s1, -1
	s_cbranch_vccz .LBB31_2239
; %bb.2232:
	v_and_b32_e32 v2, 0x7fffffff, v8
	v_mov_b32_e32 v3, 0x80
	s_mov_b32 s1, exec_lo
	s_delay_alu instid0(VALU_DEP_2)
	v_cmpx_gt_u32_e32 0x47800000, v2
	s_cbranch_execz .LBB31_2238
; %bb.2233:
	v_cmp_lt_u32_e32 vcc_lo, 0x37ffffff, v2
	s_mov_b32 s4, 0
                                        ; implicit-def: $vgpr2
	s_and_saveexec_b32 s5, vcc_lo
	s_delay_alu instid0(SALU_CYCLE_1)
	s_xor_b32 s5, exec_lo, s5
	s_cbranch_execz .LBB31_2276
; %bb.2234:
	v_bfe_u32 v2, v8, 21, 1
	s_mov_b32 s4, exec_lo
	s_delay_alu instid0(VALU_DEP_1) | instskip(NEXT) | instid1(VALU_DEP_1)
	v_add3_u32 v2, v8, v2, 0x88fffff
	v_lshrrev_b32_e32 v2, 21, v2
	s_or_saveexec_b32 s5, s5
                                        ; implicit-def: $sgpr6
	s_delay_alu instid0(SALU_CYCLE_1)
	s_xor_b32 exec_lo, exec_lo, s5
	s_cbranch_execnz .LBB31_2277
.LBB31_2235:
	s_or_b32 exec_lo, exec_lo, s5
	v_mov_b32_e32 v3, s6
	s_and_saveexec_b32 s5, s4
.LBB31_2236:
	v_lshrrev_b32_e32 v3, 24, v8
	s_delay_alu instid0(VALU_DEP_1)
	v_and_or_b32 v3, 0x80, v3, v2
.LBB31_2237:
	s_or_b32 exec_lo, exec_lo, s5
.LBB31_2238:
	s_delay_alu instid0(SALU_CYCLE_1)
	s_or_b32 exec_lo, exec_lo, s1
	s_mov_b32 s1, 0
	global_store_b8 v[0:1], v3, off
.LBB31_2239:
	s_and_b32 vcc_lo, exec_lo, s1
	s_cbranch_vccz .LBB31_2249
; %bb.2240:
	v_and_b32_e32 v3, 0x7fffffff, v8
	s_mov_b32 s1, exec_lo
                                        ; implicit-def: $vgpr2
	s_delay_alu instid0(VALU_DEP_1)
	v_cmpx_gt_u32_e32 0x43f00000, v3
	s_xor_b32 s1, exec_lo, s1
	s_cbranch_execz .LBB31_2246
; %bb.2241:
	s_mov_b32 s4, exec_lo
                                        ; implicit-def: $vgpr2
	v_cmpx_lt_u32_e32 0x3c7fffff, v3
	s_xor_b32 s4, exec_lo, s4
; %bb.2242:
	v_bfe_u32 v2, v8, 20, 1
	s_delay_alu instid0(VALU_DEP_1) | instskip(NEXT) | instid1(VALU_DEP_1)
	v_add3_u32 v2, v8, v2, 0x407ffff
	v_and_b32_e32 v3, 0xff00000, v2
	v_lshrrev_b32_e32 v2, 20, v2
	s_delay_alu instid0(VALU_DEP_2) | instskip(NEXT) | instid1(VALU_DEP_2)
	v_cmp_ne_u32_e32 vcc_lo, 0x7f00000, v3
	v_cndmask_b32_e32 v2, 0x7e, v2, vcc_lo
; %bb.2243:
	s_and_not1_saveexec_b32 s4, s4
; %bb.2244:
	v_add_f32_e64 v2, 0x46800000, |v8|
; %bb.2245:
	s_or_b32 exec_lo, exec_lo, s4
                                        ; implicit-def: $vgpr3
.LBB31_2246:
	s_and_not1_saveexec_b32 s1, s1
; %bb.2247:
	v_mov_b32_e32 v2, 0x7f
	v_cmp_lt_u32_e32 vcc_lo, 0x7f800000, v3
	s_delay_alu instid0(VALU_DEP_2)
	v_cndmask_b32_e32 v2, 0x7e, v2, vcc_lo
; %bb.2248:
	s_or_b32 exec_lo, exec_lo, s1
	v_lshrrev_b32_e32 v3, 24, v8
	s_delay_alu instid0(VALU_DEP_1)
	v_and_or_b32 v2, 0x80, v3, v2
	global_store_b8 v[0:1], v2, off
.LBB31_2249:
	s_mov_b32 s1, 0
.LBB31_2250:
	s_delay_alu instid0(SALU_CYCLE_1)
	s_and_not1_b32 vcc_lo, exec_lo, s1
	s_cbranch_vccnz .LBB31_2260
; %bb.2251:
	v_and_b32_e32 v3, 0x7fffffff, v8
	s_mov_b32 s1, exec_lo
                                        ; implicit-def: $vgpr2
	s_delay_alu instid0(VALU_DEP_1)
	v_cmpx_gt_u32_e32 0x47800000, v3
	s_xor_b32 s1, exec_lo, s1
	s_cbranch_execz .LBB31_2257
; %bb.2252:
	s_mov_b32 s4, exec_lo
                                        ; implicit-def: $vgpr2
	v_cmpx_lt_u32_e32 0x387fffff, v3
	s_xor_b32 s4, exec_lo, s4
; %bb.2253:
	v_bfe_u32 v2, v8, 21, 1
	s_delay_alu instid0(VALU_DEP_1) | instskip(NEXT) | instid1(VALU_DEP_1)
	v_add3_u32 v2, v8, v2, 0x80fffff
	v_lshrrev_b32_e32 v2, 21, v2
; %bb.2254:
	s_and_not1_saveexec_b32 s4, s4
; %bb.2255:
	v_add_f32_e64 v2, 0x43000000, |v8|
; %bb.2256:
	s_or_b32 exec_lo, exec_lo, s4
                                        ; implicit-def: $vgpr3
.LBB31_2257:
	s_and_not1_saveexec_b32 s1, s1
; %bb.2258:
	v_mov_b32_e32 v2, 0x7f
	v_cmp_lt_u32_e32 vcc_lo, 0x7f800000, v3
	s_delay_alu instid0(VALU_DEP_2)
	v_cndmask_b32_e32 v2, 0x7c, v2, vcc_lo
; %bb.2259:
	s_or_b32 exec_lo, exec_lo, s1
	v_lshrrev_b32_e32 v3, 24, v8
	s_delay_alu instid0(VALU_DEP_1)
	v_and_or_b32 v2, 0x80, v3, v2
	global_store_b8 v[0:1], v2, off
.LBB31_2260:
	s_mov_b32 s1, 0
.LBB31_2261:
	s_delay_alu instid0(SALU_CYCLE_1)
	s_and_not1_b32 vcc_lo, exec_lo, s1
	s_mov_b32 s1, 0
	s_cbranch_vccnz .LBB31_2268
; %bb.2262:
	v_cmp_gt_i16_e64 s1, s3, 14
	s_delay_alu instid0(VALU_DEP_1)
	s_and_b32 vcc_lo, exec_lo, s1
	s_mov_b32 s1, -1
	s_cbranch_vccz .LBB31_2266
; %bb.2263:
	v_cmp_eq_u16_e64 s0, s3, 15
	s_delay_alu instid0(VALU_DEP_1)
	s_and_b32 vcc_lo, exec_lo, s0
	s_mov_b32 s0, -1
	s_cbranch_vccz .LBB31_2265
; %bb.2264:
	v_bfe_u32 v2, v8, 16, 1
	v_cmp_o_f32_e32 vcc_lo, v8, v8
	s_mov_b32 s0, 0
	s_delay_alu instid0(VALU_DEP_2) | instskip(NEXT) | instid1(VALU_DEP_1)
	v_add3_u32 v2, v8, v2, 0x7fff
	v_lshrrev_b32_e32 v2, 16, v2
	s_delay_alu instid0(VALU_DEP_1)
	v_cndmask_b32_e32 v2, 0x7fc0, v2, vcc_lo
	global_store_b16 v[0:1], v2, off
.LBB31_2265:
	s_mov_b32 s1, 0
.LBB31_2266:
	s_delay_alu instid0(SALU_CYCLE_1)
	s_and_b32 vcc_lo, exec_lo, s1
	s_mov_b32 s1, 0
	s_cbranch_vccz .LBB31_2268
; %bb.2267:
	v_cmp_ne_u16_e64 s0, s3, 11
	s_mov_b32 s1, -1
.LBB31_2268:
	s_delay_alu instid0(VALU_DEP_1)
	s_and_b32 vcc_lo, exec_lo, s0
	s_cbranch_vccnz .LBB31_2274
.LBB31_2269:
	s_mov_b32 s0, 0
	s_branch .LBB31_1764
.LBB31_2270:
	s_or_saveexec_b32 s6, s6
                                        ; implicit-def: $sgpr7
	s_delay_alu instid0(SALU_CYCLE_1)
	s_xor_b32 exec_lo, exec_lo, s6
	s_cbranch_execz .LBB31_2223
.LBB31_2271:
	v_add_f32_e64 v2, 0x46000000, |v8|
	s_and_not1_b32 s5, s5, exec_lo
	s_mov_b32 s7, 0
	s_delay_alu instid0(VALU_DEP_1) | instskip(NEXT) | instid1(VALU_DEP_1)
	v_and_b32_e32 v2, 0xff, v2
	v_cmp_ne_u32_e32 vcc_lo, 0, v2
	s_and_b32 s10, vcc_lo, exec_lo
	s_delay_alu instid0(SALU_CYCLE_1)
	s_or_b32 s5, s5, s10
	s_or_b32 exec_lo, exec_lo, s6
	v_mov_b32_e32 v3, s7
	s_and_saveexec_b32 s6, s5
	s_cbranch_execnz .LBB31_2224
	s_branch .LBB31_2225
.LBB31_2272:
	s_trap 2
	s_sendmsg_rtn_b32 s0, sendmsg(MSG_RTN_GET_DOORBELL)
	s_mov_b32 ttmp2, m0
	s_waitcnt lgkmcnt(0)
	s_and_b32 s0, s0, 0x3ff
	s_delay_alu instid0(SALU_CYCLE_1) | instskip(NEXT) | instid1(SALU_CYCLE_1)
	s_bitset1_b32 s0, 10
	s_mov_b32 m0, s0
	s_sendmsg sendmsg(MSG_INTERRUPT)
	s_mov_b32 m0, ttmp2
.LBB31_2273:                            ; =>This Inner Loop Header: Depth=1
	s_sethalt 5
	s_branch .LBB31_2273
.LBB31_2274:
	s_cbranch_execnz .LBB31_2278
; %bb.2275:
	s_mov_b32 s1, 0
	s_or_b32 s2, s2, exec_lo
	s_branch .LBB31_2269
.LBB31_2276:
	s_or_saveexec_b32 s5, s5
                                        ; implicit-def: $sgpr6
	s_delay_alu instid0(SALU_CYCLE_1)
	s_xor_b32 exec_lo, exec_lo, s5
	s_cbranch_execz .LBB31_2235
.LBB31_2277:
	v_add_f32_e64 v2, 0x42800000, |v8|
	s_and_not1_b32 s4, s4, exec_lo
	s_mov_b32 s6, 0
	s_delay_alu instid0(VALU_DEP_1) | instskip(NEXT) | instid1(VALU_DEP_1)
	v_and_b32_e32 v2, 0xff, v2
	v_cmp_ne_u32_e32 vcc_lo, 0, v2
	s_and_b32 s7, vcc_lo, exec_lo
	s_delay_alu instid0(SALU_CYCLE_1)
	s_or_b32 s4, s4, s7
	s_or_b32 exec_lo, exec_lo, s5
	v_mov_b32_e32 v3, s6
	s_and_saveexec_b32 s5, s4
	s_cbranch_execnz .LBB31_2236
	s_branch .LBB31_2237
.LBB31_2278:
	s_trap 2
	s_sendmsg_rtn_b32 s0, sendmsg(MSG_RTN_GET_DOORBELL)
	s_mov_b32 ttmp2, m0
	s_waitcnt lgkmcnt(0)
	s_and_b32 s0, s0, 0x3ff
	s_delay_alu instid0(SALU_CYCLE_1) | instskip(NEXT) | instid1(SALU_CYCLE_1)
	s_bitset1_b32 s0, 10
	s_mov_b32 m0, s0
	s_sendmsg sendmsg(MSG_INTERRUPT)
	s_mov_b32 m0, ttmp2
.LBB31_2279:                            ; =>This Inner Loop Header: Depth=1
	s_sethalt 5
	s_branch .LBB31_2279
	.section	.rodata,"a",@progbits
	.p2align	6, 0x0
	.amdhsa_kernel _ZN2at6native32elementwise_kernel_manual_unrollILi128ELi4EZNS0_15gpu_kernel_implINS0_13AUnaryFunctorIfffZZZNS0_12_GLOBAL__N_132hermite_polynomial_h_kernel_cudaERNS_18TensorIteratorBaseEENKUlvE_clEvENKUlvE0_clEvEUlffE_EEEEvS6_RKT_EUlibE0_EEviT1_
		.amdhsa_group_segment_fixed_size 0
		.amdhsa_private_segment_fixed_size 0
		.amdhsa_kernarg_size 368
		.amdhsa_user_sgpr_count 15
		.amdhsa_user_sgpr_dispatch_ptr 0
		.amdhsa_user_sgpr_queue_ptr 0
		.amdhsa_user_sgpr_kernarg_segment_ptr 1
		.amdhsa_user_sgpr_dispatch_id 0
		.amdhsa_user_sgpr_private_segment_size 0
		.amdhsa_wavefront_size32 1
		.amdhsa_uses_dynamic_stack 0
		.amdhsa_enable_private_segment 0
		.amdhsa_system_sgpr_workgroup_id_x 1
		.amdhsa_system_sgpr_workgroup_id_y 0
		.amdhsa_system_sgpr_workgroup_id_z 0
		.amdhsa_system_sgpr_workgroup_info 0
		.amdhsa_system_vgpr_workitem_id 0
		.amdhsa_next_free_vgpr 18
		.amdhsa_next_free_sgpr 68
		.amdhsa_reserve_vcc 1
		.amdhsa_float_round_mode_32 0
		.amdhsa_float_round_mode_16_64 0
		.amdhsa_float_denorm_mode_32 3
		.amdhsa_float_denorm_mode_16_64 3
		.amdhsa_dx10_clamp 1
		.amdhsa_ieee_mode 1
		.amdhsa_fp16_overflow 0
		.amdhsa_workgroup_processor_mode 1
		.amdhsa_memory_ordered 1
		.amdhsa_forward_progress 0
		.amdhsa_shared_vgpr_count 0
		.amdhsa_exception_fp_ieee_invalid_op 0
		.amdhsa_exception_fp_denorm_src 0
		.amdhsa_exception_fp_ieee_div_zero 0
		.amdhsa_exception_fp_ieee_overflow 0
		.amdhsa_exception_fp_ieee_underflow 0
		.amdhsa_exception_fp_ieee_inexact 0
		.amdhsa_exception_int_div_zero 0
	.end_amdhsa_kernel
	.section	.text._ZN2at6native32elementwise_kernel_manual_unrollILi128ELi4EZNS0_15gpu_kernel_implINS0_13AUnaryFunctorIfffZZZNS0_12_GLOBAL__N_132hermite_polynomial_h_kernel_cudaERNS_18TensorIteratorBaseEENKUlvE_clEvENKUlvE0_clEvEUlffE_EEEEvS6_RKT_EUlibE0_EEviT1_,"axG",@progbits,_ZN2at6native32elementwise_kernel_manual_unrollILi128ELi4EZNS0_15gpu_kernel_implINS0_13AUnaryFunctorIfffZZZNS0_12_GLOBAL__N_132hermite_polynomial_h_kernel_cudaERNS_18TensorIteratorBaseEENKUlvE_clEvENKUlvE0_clEvEUlffE_EEEEvS6_RKT_EUlibE0_EEviT1_,comdat
.Lfunc_end31:
	.size	_ZN2at6native32elementwise_kernel_manual_unrollILi128ELi4EZNS0_15gpu_kernel_implINS0_13AUnaryFunctorIfffZZZNS0_12_GLOBAL__N_132hermite_polynomial_h_kernel_cudaERNS_18TensorIteratorBaseEENKUlvE_clEvENKUlvE0_clEvEUlffE_EEEEvS6_RKT_EUlibE0_EEviT1_, .Lfunc_end31-_ZN2at6native32elementwise_kernel_manual_unrollILi128ELi4EZNS0_15gpu_kernel_implINS0_13AUnaryFunctorIfffZZZNS0_12_GLOBAL__N_132hermite_polynomial_h_kernel_cudaERNS_18TensorIteratorBaseEENKUlvE_clEvENKUlvE0_clEvEUlffE_EEEEvS6_RKT_EUlibE0_EEviT1_
                                        ; -- End function
	.section	.AMDGPU.csdata,"",@progbits
; Kernel info:
; codeLenInByte = 45584
; NumSgprs: 70
; NumVgprs: 18
; ScratchSize: 0
; MemoryBound: 1
; FloatMode: 240
; IeeeMode: 1
; LDSByteSize: 0 bytes/workgroup (compile time only)
; SGPRBlocks: 8
; VGPRBlocks: 2
; NumSGPRsForWavesPerEU: 70
; NumVGPRsForWavesPerEU: 18
; Occupancy: 16
; WaveLimiterHint : 1
; COMPUTE_PGM_RSRC2:SCRATCH_EN: 0
; COMPUTE_PGM_RSRC2:USER_SGPR: 15
; COMPUTE_PGM_RSRC2:TRAP_HANDLER: 0
; COMPUTE_PGM_RSRC2:TGID_X_EN: 1
; COMPUTE_PGM_RSRC2:TGID_Y_EN: 0
; COMPUTE_PGM_RSRC2:TGID_Z_EN: 0
; COMPUTE_PGM_RSRC2:TIDIG_COMP_CNT: 0
	.section	.text._ZN2at6native29vectorized_elementwise_kernelILi16ENS0_13BUnaryFunctorIfffZZZNS0_12_GLOBAL__N_132hermite_polynomial_h_kernel_cudaERNS_18TensorIteratorBaseEENKUlvE_clEvENKUlvE0_clEvEUlffE_EESt5arrayIPcLm2EEEEviT0_T1_,"axG",@progbits,_ZN2at6native29vectorized_elementwise_kernelILi16ENS0_13BUnaryFunctorIfffZZZNS0_12_GLOBAL__N_132hermite_polynomial_h_kernel_cudaERNS_18TensorIteratorBaseEENKUlvE_clEvENKUlvE0_clEvEUlffE_EESt5arrayIPcLm2EEEEviT0_T1_,comdat
	.globl	_ZN2at6native29vectorized_elementwise_kernelILi16ENS0_13BUnaryFunctorIfffZZZNS0_12_GLOBAL__N_132hermite_polynomial_h_kernel_cudaERNS_18TensorIteratorBaseEENKUlvE_clEvENKUlvE0_clEvEUlffE_EESt5arrayIPcLm2EEEEviT0_T1_ ; -- Begin function _ZN2at6native29vectorized_elementwise_kernelILi16ENS0_13BUnaryFunctorIfffZZZNS0_12_GLOBAL__N_132hermite_polynomial_h_kernel_cudaERNS_18TensorIteratorBaseEENKUlvE_clEvENKUlvE0_clEvEUlffE_EESt5arrayIPcLm2EEEEviT0_T1_
	.p2align	8
	.type	_ZN2at6native29vectorized_elementwise_kernelILi16ENS0_13BUnaryFunctorIfffZZZNS0_12_GLOBAL__N_132hermite_polynomial_h_kernel_cudaERNS_18TensorIteratorBaseEENKUlvE_clEvENKUlvE0_clEvEUlffE_EESt5arrayIPcLm2EEEEviT0_T1_,@function
_ZN2at6native29vectorized_elementwise_kernelILi16ENS0_13BUnaryFunctorIfffZZZNS0_12_GLOBAL__N_132hermite_polynomial_h_kernel_cudaERNS_18TensorIteratorBaseEENKUlvE_clEvENKUlvE0_clEvEUlffE_EESt5arrayIPcLm2EEEEviT0_T1_: ; @_ZN2at6native29vectorized_elementwise_kernelILi16ENS0_13BUnaryFunctorIfffZZZNS0_12_GLOBAL__N_132hermite_polynomial_h_kernel_cudaERNS_18TensorIteratorBaseEENKUlvE_clEvENKUlvE0_clEvEUlffE_EESt5arrayIPcLm2EEEEviT0_T1_
; %bb.0:
	s_clause 0x2
	s_load_b32 s3, s[0:1], 0x8
	s_load_b32 s8, s[0:1], 0x0
	s_load_b128 s[4:7], s[0:1], 0x10
	s_lshl_b32 s2, s15, 10
	s_mov_b32 s0, -1
	s_waitcnt lgkmcnt(0)
	v_trunc_f32_e32 v9, s3
	v_cmp_class_f32_e64 s15, s3, 0x1f8
	s_sub_i32 s14, s8, s2
	s_delay_alu instid0(SALU_CYCLE_1) | instskip(NEXT) | instid1(VALU_DEP_2)
	s_cmpk_gt_i32 s14, 0x3ff
	v_mul_f32_e64 v10, 0x2f800000, |v9|
	s_cbranch_scc0 .LBB32_38
; %bb.1:
	s_ashr_i32 s3, s2, 31
	v_lshlrev_b32_e32 v11, 4, v0
	s_lshl_b64 s[0:1], s[2:3], 2
	v_floor_f32_e32 v5, v10
	s_add_u32 s8, s6, s0
	s_addc_u32 s9, s7, s1
	v_readfirstlane_b32 s3, v9
	global_load_b128 v[1:4], v11, s[8:9]
	v_fma_f32 v6, 0xcf800000, v5, |v9|
	v_cvt_u32_f32_e32 v5, v5
	s_ashr_i32 s10, s3, 31
	s_delay_alu instid0(VALU_DEP_2) | instskip(NEXT) | instid1(VALU_DEP_2)
	v_cvt_u32_f32_e32 v6, v6
	v_readfirstlane_b32 s9, v5
	s_mov_b32 s11, s10
	v_mov_b32_e32 v5, 0
	s_delay_alu instid0(VALU_DEP_3) | instskip(NEXT) | instid1(VALU_DEP_1)
	v_readfirstlane_b32 s8, v6
	s_xor_b64 s[8:9], s[8:9], s[10:11]
	s_delay_alu instid0(SALU_CYCLE_1) | instskip(SKIP_4) | instid1(SALU_CYCLE_1)
	s_sub_u32 s3, s8, s10
	s_subb_u32 s8, s9, s10
	s_and_b32 s9, s15, exec_lo
	s_cselect_b32 s11, s8, -1
	s_cselect_b32 s10, s3, -1
	v_cmp_lt_i64_e64 s8, s[10:11], 0
	v_cmp_gt_i64_e64 s16, s[10:11], -1
	v_cmp_gt_u64_e64 s3, 0x81, s[10:11]
	v_cmp_lt_i64_e64 s12, s[10:11], 1
	s_delay_alu instid0(VALU_DEP_4)
	s_and_b32 vcc_lo, exec_lo, s8
	s_lshl_b64 s[8:9], s[10:11], 1
	s_cbranch_vccnz .LBB32_10
; %bb.2:
	v_mov_b32_e32 v5, 1.0
	s_delay_alu instid0(VALU_DEP_2)
	s_and_b32 vcc_lo, exec_lo, s12
	s_cbranch_vccnz .LBB32_10
; %bb.3:
	s_cmp_lg_u64 s[10:11], 1
	s_cbranch_scc0 .LBB32_8
; %bb.4:
	v_mov_b32_e32 v5, 0x7fc00000
	s_and_not1_b32 vcc_lo, exec_lo, s3
	s_cbranch_vccnz .LBB32_7
; %bb.5:
	s_waitcnt vmcnt(0)
	v_dual_add_f32 v6, v1, v1 :: v_dual_mov_b32 v7, 1.0
	s_mov_b64 s[12:13], 2
	s_delay_alu instid0(VALU_DEP_1)
	v_mov_b32_e32 v5, v6
	.p2align	6
.LBB32_6:                               ; =>This Inner Loop Header: Depth=1
	s_clz_i32_u32 s17, s13
	s_delay_alu instid0(SALU_CYCLE_1) | instskip(NEXT) | instid1(SALU_CYCLE_1)
	s_min_u32 s17, s17, 32
	s_lshl_b64 s[18:19], s[12:13], s17
	s_sub_i32 s17, 32, s17
	s_min_u32 s18, s18, 1
	s_delay_alu instid0(SALU_CYCLE_1) | instskip(SKIP_3) | instid1(VALU_DEP_1)
	s_or_b32 s18, s19, s18
	s_add_u32 s12, s12, 2
	v_cvt_f32_u32_e32 v8, s18
	s_addc_u32 s13, s13, 0
	v_ldexp_f32 v8, v8, s17
	v_cmp_lt_u64_e64 s17, s[12:13], s[8:9]
	s_delay_alu instid0(VALU_DEP_2) | instskip(NEXT) | instid1(VALU_DEP_2)
	v_dual_mul_f32 v8, v7, v8 :: v_dual_mov_b32 v7, v5
	s_and_b32 vcc_lo, exec_lo, s17
	s_delay_alu instid0(VALU_DEP_1)
	v_fma_f32 v5, v6, v5, -v8
	s_cbranch_vccnz .LBB32_6
.LBB32_7:
	s_cbranch_execz .LBB32_9
	s_branch .LBB32_10
.LBB32_8:
                                        ; implicit-def: $vgpr5
.LBB32_9:
	s_waitcnt vmcnt(0)
	v_add_f32_e32 v5, v1, v1
.LBB32_10:
	s_waitcnt vmcnt(0)
	v_cndmask_b32_e64 v1, 0, 1, s16
	v_mov_b32_e32 v6, 0
	s_and_not1_b32 vcc_lo, exec_lo, s16
	s_cbranch_vccnz .LBB32_19
; %bb.11:
	v_cmp_lt_i64_e64 s12, s[10:11], 1
	v_mov_b32_e32 v6, 1.0
	s_delay_alu instid0(VALU_DEP_2)
	s_and_b32 vcc_lo, exec_lo, s12
	s_cbranch_vccnz .LBB32_19
; %bb.12:
	s_cmp_lg_u64 s[10:11], 1
	s_cbranch_scc0 .LBB32_17
; %bb.13:
	v_mov_b32_e32 v6, 0x7fc00000
	s_and_not1_b32 vcc_lo, exec_lo, s3
	s_cbranch_vccnz .LBB32_16
; %bb.14:
	v_dual_add_f32 v7, v2, v2 :: v_dual_mov_b32 v8, 1.0
	s_mov_b64 s[12:13], 2
	s_delay_alu instid0(VALU_DEP_1)
	v_mov_b32_e32 v6, v7
	.p2align	6
.LBB32_15:                              ; =>This Inner Loop Header: Depth=1
	s_clz_i32_u32 s16, s13
	s_delay_alu instid0(SALU_CYCLE_1) | instskip(NEXT) | instid1(SALU_CYCLE_1)
	s_min_u32 s18, s16, 32
	s_lshl_b64 s[16:17], s[12:13], s18
	s_delay_alu instid0(SALU_CYCLE_1) | instskip(NEXT) | instid1(SALU_CYCLE_1)
	s_min_u32 s16, s16, 1
	s_or_b32 s16, s17, s16
	s_delay_alu instid0(SALU_CYCLE_1) | instskip(SKIP_3) | instid1(VALU_DEP_1)
	v_cvt_f32_u32_e32 v12, s16
	s_sub_i32 s16, 32, s18
	s_add_u32 s12, s12, 2
	s_addc_u32 s13, s13, 0
	v_ldexp_f32 v12, v12, s16
	v_cmp_lt_u64_e64 s16, s[12:13], s[8:9]
	s_delay_alu instid0(VALU_DEP_2) | instskip(SKIP_1) | instid1(VALU_DEP_3)
	v_mul_f32_e32 v12, v8, v12
	v_mov_b32_e32 v8, v6
	s_and_b32 vcc_lo, exec_lo, s16
	s_delay_alu instid0(VALU_DEP_2)
	v_fma_f32 v6, v7, v6, -v12
	s_cbranch_vccnz .LBB32_15
.LBB32_16:
	s_cbranch_execz .LBB32_18
	s_branch .LBB32_19
.LBB32_17:
.LBB32_18:
	v_add_f32_e32 v6, v2, v2
.LBB32_19:
	s_delay_alu instid0(VALU_DEP_2)
	v_cmp_ne_u32_e32 vcc_lo, 1, v1
	v_mov_b32_e32 v7, 0
	s_cbranch_vccnz .LBB32_28
; %bb.20:
	v_cmp_lt_i64_e64 s12, s[10:11], 1
	v_mov_b32_e32 v7, 1.0
	s_delay_alu instid0(VALU_DEP_2)
	s_and_b32 vcc_lo, exec_lo, s12
	s_cbranch_vccnz .LBB32_28
; %bb.21:
	s_cmp_lg_u64 s[10:11], 1
	s_cbranch_scc0 .LBB32_26
; %bb.22:
	v_mov_b32_e32 v7, 0x7fc00000
	s_and_not1_b32 vcc_lo, exec_lo, s3
	s_cbranch_vccnz .LBB32_25
; %bb.23:
	v_add_f32_e32 v2, v3, v3
	v_mov_b32_e32 v8, 1.0
	s_mov_b64 s[12:13], 2
	s_delay_alu instid0(VALU_DEP_2)
	v_mov_b32_e32 v7, v2
	.p2align	6
.LBB32_24:                              ; =>This Inner Loop Header: Depth=1
	s_clz_i32_u32 s16, s13
	s_delay_alu instid0(SALU_CYCLE_1) | instskip(NEXT) | instid1(SALU_CYCLE_1)
	s_min_u32 s18, s16, 32
	s_lshl_b64 s[16:17], s[12:13], s18
	s_delay_alu instid0(SALU_CYCLE_1) | instskip(NEXT) | instid1(SALU_CYCLE_1)
	s_min_u32 s16, s16, 1
	s_or_b32 s16, s17, s16
	s_delay_alu instid0(SALU_CYCLE_1) | instskip(SKIP_3) | instid1(VALU_DEP_1)
	v_cvt_f32_u32_e32 v12, s16
	s_sub_i32 s16, 32, s18
	s_add_u32 s12, s12, 2
	s_addc_u32 s13, s13, 0
	v_ldexp_f32 v12, v12, s16
	v_cmp_lt_u64_e64 s16, s[12:13], s[8:9]
	s_delay_alu instid0(VALU_DEP_2) | instskip(SKIP_1) | instid1(VALU_DEP_3)
	v_mul_f32_e32 v12, v8, v12
	v_mov_b32_e32 v8, v7
	s_and_b32 vcc_lo, exec_lo, s16
	s_delay_alu instid0(VALU_DEP_2)
	v_fma_f32 v7, v2, v7, -v12
	s_cbranch_vccnz .LBB32_24
.LBB32_25:
	s_cbranch_execz .LBB32_27
	s_branch .LBB32_28
.LBB32_26:
.LBB32_27:
	v_add_f32_e32 v7, v3, v3
.LBB32_28:
	v_cmp_ne_u32_e32 vcc_lo, 1, v1
	v_mov_b32_e32 v8, 0
	s_cbranch_vccnz .LBB32_37
; %bb.29:
	v_cmp_lt_i64_e64 s12, s[10:11], 1
	v_mov_b32_e32 v8, 1.0
	s_delay_alu instid0(VALU_DEP_2)
	s_and_b32 vcc_lo, exec_lo, s12
	s_cbranch_vccnz .LBB32_37
; %bb.30:
	s_cmp_lg_u64 s[10:11], 1
	s_cbranch_scc0 .LBB32_35
; %bb.31:
	v_mov_b32_e32 v8, 0x7fc00000
	s_and_not1_b32 vcc_lo, exec_lo, s3
	s_cbranch_vccnz .LBB32_34
; %bb.32:
	v_dual_add_f32 v1, v4, v4 :: v_dual_mov_b32 v2, 1.0
	s_mov_b64 s[10:11], 2
	s_delay_alu instid0(VALU_DEP_1)
	v_mov_b32_e32 v8, v1
	.p2align	6
.LBB32_33:                              ; =>This Inner Loop Header: Depth=1
	s_clz_i32_u32 s3, s11
	s_delay_alu instid0(SALU_CYCLE_1) | instskip(NEXT) | instid1(SALU_CYCLE_1)
	s_min_u32 s3, s3, 32
	s_lshl_b64 s[12:13], s[10:11], s3
	s_sub_i32 s3, 32, s3
	s_min_u32 s12, s12, 1
	s_delay_alu instid0(SALU_CYCLE_1) | instskip(SKIP_3) | instid1(VALU_DEP_1)
	s_or_b32 s12, s13, s12
	s_add_u32 s10, s10, 2
	v_cvt_f32_u32_e32 v3, s12
	s_addc_u32 s11, s11, 0
	v_ldexp_f32 v3, v3, s3
	v_cmp_lt_u64_e64 s3, s[10:11], s[8:9]
	s_delay_alu instid0(VALU_DEP_2) | instskip(NEXT) | instid1(VALU_DEP_2)
	v_dual_mul_f32 v3, v2, v3 :: v_dual_mov_b32 v2, v8
	s_and_b32 vcc_lo, exec_lo, s3
	s_delay_alu instid0(VALU_DEP_1)
	v_fma_f32 v8, v1, v8, -v3
	s_cbranch_vccnz .LBB32_33
.LBB32_34:
	s_cbranch_execz .LBB32_36
	s_branch .LBB32_37
.LBB32_35:
.LBB32_36:
	v_add_f32_e32 v8, v4, v4
.LBB32_37:
	s_add_u32 s8, s4, s0
	s_addc_u32 s9, s5, s1
	s_mov_b32 s0, 0
	global_store_b128 v11, v[5:8], s[8:9]
.LBB32_38:
	s_and_b32 vcc_lo, exec_lo, s0
	s_cbranch_vccz .LBB32_96
; %bb.39:
	v_cmp_gt_i32_e64 s0, s14, v0
	v_dual_mov_b32 v11, 0 :: v_dual_mov_b32 v12, 0
	v_or_b32_e32 v5, s2, v0
	v_or_b32_e32 v7, 0x100, v0
	v_mov_b32_e32 v1, v0
	s_and_saveexec_b32 s1, s0
	s_cbranch_execz .LBB32_41
; %bb.40:
	v_mov_b32_e32 v6, 0
	s_delay_alu instid0(VALU_DEP_1) | instskip(NEXT) | instid1(VALU_DEP_1)
	v_lshlrev_b64 v[1:2], 2, v[5:6]
	v_add_co_u32 v1, vcc_lo, s6, v1
	s_delay_alu instid0(VALU_DEP_2)
	v_add_co_ci_u32_e32 v2, vcc_lo, s7, v2, vcc_lo
	global_load_b32 v12, v[1:2], off
	v_or_b32_e32 v1, 0x100, v0
.LBB32_41:
	s_or_b32 exec_lo, exec_lo, s1
	s_delay_alu instid0(SALU_CYCLE_1) | instskip(NEXT) | instid1(VALU_DEP_1)
	s_mov_b32 s1, exec_lo
	v_cmpx_gt_i32_e64 s14, v1
	s_cbranch_execz .LBB32_43
; %bb.42:
	v_dual_mov_b32 v3, 0 :: v_dual_add_nc_u32 v2, s2, v1
	v_add_nc_u32_e32 v1, 0x100, v1
	s_delay_alu instid0(VALU_DEP_2) | instskip(NEXT) | instid1(VALU_DEP_1)
	v_lshlrev_b64 v[2:3], 2, v[2:3]
	v_add_co_u32 v2, vcc_lo, s6, v2
	s_delay_alu instid0(VALU_DEP_2)
	v_add_co_ci_u32_e32 v3, vcc_lo, s7, v3, vcc_lo
	global_load_b32 v11, v[2:3], off
.LBB32_43:
	s_or_b32 exec_lo, exec_lo, s1
	v_mov_b32_e32 v6, 0
	v_mov_b32_e32 v8, 0
	s_mov_b32 s1, exec_lo
	v_cmpx_gt_i32_e64 s14, v1
	s_cbranch_execz .LBB32_45
; %bb.44:
	v_dual_mov_b32 v3, 0 :: v_dual_add_nc_u32 v2, s2, v1
	v_add_nc_u32_e32 v1, 0x100, v1
	s_delay_alu instid0(VALU_DEP_2) | instskip(NEXT) | instid1(VALU_DEP_1)
	v_lshlrev_b64 v[2:3], 2, v[2:3]
	v_add_co_u32 v2, vcc_lo, s6, v2
	s_delay_alu instid0(VALU_DEP_2)
	v_add_co_ci_u32_e32 v3, vcc_lo, s7, v3, vcc_lo
	global_load_b32 v8, v[2:3], off
.LBB32_45:
	s_or_b32 exec_lo, exec_lo, s1
	s_delay_alu instid0(SALU_CYCLE_1)
	s_mov_b32 s1, exec_lo
	v_cmpx_gt_i32_e64 s14, v1
	s_cbranch_execz .LBB32_47
; %bb.46:
	v_dual_mov_b32 v2, 0 :: v_dual_add_nc_u32 v1, s2, v1
	s_delay_alu instid0(VALU_DEP_1) | instskip(NEXT) | instid1(VALU_DEP_1)
	v_lshlrev_b64 v[1:2], 2, v[1:2]
	v_add_co_u32 v1, vcc_lo, s6, v1
	s_delay_alu instid0(VALU_DEP_2)
	v_add_co_ci_u32_e32 v2, vcc_lo, s7, v2, vcc_lo
	global_load_b32 v6, v[1:2], off
.LBB32_47:
	s_or_b32 exec_lo, exec_lo, s1
	v_floor_f32_e32 v1, v10
	v_readfirstlane_b32 s1, v9
	s_delay_alu instid0(VALU_DEP_2) | instskip(SKIP_1) | instid1(VALU_DEP_3)
	v_fma_f32 v2, 0xcf800000, v1, |v9|
	v_cvt_u32_f32_e32 v1, v1
	s_ashr_i32 s8, s1, 31
	s_delay_alu instid0(SALU_CYCLE_1) | instskip(NEXT) | instid1(VALU_DEP_2)
	s_mov_b32 s9, s8
	v_cvt_u32_f32_e32 v2, v2
	s_delay_alu instid0(VALU_DEP_2) | instskip(NEXT) | instid1(VALU_DEP_2)
	v_readfirstlane_b32 s7, v1
	v_readfirstlane_b32 s6, v2
                                        ; implicit-def: $vgpr1_vgpr2_vgpr3_vgpr4
	s_delay_alu instid0(VALU_DEP_1) | instskip(NEXT) | instid1(SALU_CYCLE_1)
	s_xor_b64 s[6:7], s[6:7], s[8:9]
	s_sub_u32 s1, s6, s8
	s_subb_u32 s3, s7, s8
	s_and_b32 s6, s15, exec_lo
	s_cselect_b32 s9, s3, -1
	s_cselect_b32 s8, s1, -1
	s_delay_alu instid0(SALU_CYCLE_1) | instskip(SKIP_2) | instid1(VALU_DEP_2)
	v_cmp_gt_i64_e64 s10, s[8:9], -1
	v_cmp_gt_u64_e64 s1, 0x81, s[8:9]
	s_lshl_b64 s[6:7], s[8:9], 1
	v_cndmask_b32_e64 v9, 0, 1, s10
	s_and_saveexec_b32 s3, s0
	s_cbranch_execz .LBB32_58
; %bb.48:
	v_mov_b32_e32 v1, 0
	s_and_not1_b32 vcc_lo, exec_lo, s10
	s_cbranch_vccnz .LBB32_58
; %bb.49:
	v_cmp_lt_i64_e64 s10, s[8:9], 1
	v_mov_b32_e32 v1, 1.0
	s_delay_alu instid0(VALU_DEP_2)
	s_and_b32 vcc_lo, exec_lo, s10
	s_cbranch_vccnz .LBB32_58
; %bb.50:
	s_cmp_lg_u64 s[8:9], 1
	s_cbranch_scc0 .LBB32_55
; %bb.51:
	v_mov_b32_e32 v1, 0x7fc00000
	s_and_not1_b32 vcc_lo, exec_lo, s1
	s_cbranch_vccnz .LBB32_54
; %bb.52:
	s_waitcnt vmcnt(0)
	v_dual_add_f32 v2, v12, v12 :: v_dual_mov_b32 v3, 1.0
	s_mov_b64 s[10:11], 2
	s_delay_alu instid0(VALU_DEP_1)
	v_mov_b32_e32 v1, v2
	.p2align	6
.LBB32_53:                              ; =>This Inner Loop Header: Depth=1
	s_clz_i32_u32 s12, s11
	s_delay_alu instid0(SALU_CYCLE_1) | instskip(NEXT) | instid1(SALU_CYCLE_1)
	s_min_u32 s15, s12, 32
	s_lshl_b64 s[12:13], s[10:11], s15
	s_delay_alu instid0(SALU_CYCLE_1) | instskip(NEXT) | instid1(SALU_CYCLE_1)
	s_min_u32 s12, s12, 1
	s_or_b32 s12, s13, s12
	s_delay_alu instid0(SALU_CYCLE_1) | instskip(SKIP_3) | instid1(VALU_DEP_1)
	v_cvt_f32_u32_e32 v4, s12
	s_sub_i32 s12, 32, s15
	s_add_u32 s10, s10, 2
	s_addc_u32 s11, s11, 0
	v_ldexp_f32 v4, v4, s12
	v_cmp_lt_u64_e64 s12, s[10:11], s[6:7]
	s_delay_alu instid0(VALU_DEP_2) | instskip(NEXT) | instid1(VALU_DEP_2)
	v_dual_mul_f32 v4, v3, v4 :: v_dual_mov_b32 v3, v1
	s_and_b32 vcc_lo, exec_lo, s12
	s_delay_alu instid0(VALU_DEP_1)
	v_fma_f32 v1, v2, v1, -v4
	s_cbranch_vccnz .LBB32_53
.LBB32_54:
	s_mov_b32 s10, 0
	s_branch .LBB32_56
.LBB32_55:
	s_mov_b32 s10, -1
                                        ; implicit-def: $vgpr1
.LBB32_56:
	s_delay_alu instid0(SALU_CYCLE_1)
	s_and_not1_b32 vcc_lo, exec_lo, s10
	s_cbranch_vccnz .LBB32_58
; %bb.57:
	s_waitcnt vmcnt(0)
	v_add_f32_e32 v1, v12, v12
.LBB32_58:
	s_or_b32 exec_lo, exec_lo, s3
	s_delay_alu instid0(SALU_CYCLE_1)
	s_mov_b32 s3, exec_lo
	v_cmpx_gt_i32_e64 s14, v7
	s_cbranch_execz .LBB32_69
; %bb.59:
	v_cmp_ne_u32_e32 vcc_lo, 1, v9
	v_mov_b32_e32 v2, 0
	s_cbranch_vccnz .LBB32_69
; %bb.60:
	v_cmp_lt_i64_e64 s10, s[8:9], 1
	v_mov_b32_e32 v2, 1.0
	s_delay_alu instid0(VALU_DEP_2)
	s_and_b32 vcc_lo, exec_lo, s10
	s_cbranch_vccnz .LBB32_69
; %bb.61:
	s_cmp_lg_u64 s[8:9], 1
	s_cbranch_scc0 .LBB32_66
; %bb.62:
	v_mov_b32_e32 v2, 0x7fc00000
	s_and_not1_b32 vcc_lo, exec_lo, s1
	s_cbranch_vccnz .LBB32_65
; %bb.63:
	s_waitcnt vmcnt(0)
	v_add_f32_e32 v10, v11, v11
	v_mov_b32_e32 v12, 1.0
	s_mov_b64 s[10:11], 2
	s_delay_alu instid0(VALU_DEP_2)
	v_mov_b32_e32 v2, v10
	.p2align	6
.LBB32_64:                              ; =>This Inner Loop Header: Depth=1
	s_clz_i32_u32 s12, s11
	s_delay_alu instid0(SALU_CYCLE_1) | instskip(NEXT) | instid1(SALU_CYCLE_1)
	s_min_u32 s15, s12, 32
	s_lshl_b64 s[12:13], s[10:11], s15
	s_delay_alu instid0(SALU_CYCLE_1) | instskip(NEXT) | instid1(SALU_CYCLE_1)
	s_min_u32 s12, s12, 1
	s_or_b32 s12, s13, s12
	s_delay_alu instid0(SALU_CYCLE_1) | instskip(SKIP_3) | instid1(VALU_DEP_1)
	v_cvt_f32_u32_e32 v13, s12
	s_sub_i32 s12, 32, s15
	s_add_u32 s10, s10, 2
	s_addc_u32 s11, s11, 0
	v_ldexp_f32 v13, v13, s12
	v_cmp_lt_u64_e64 s12, s[10:11], s[6:7]
	s_delay_alu instid0(VALU_DEP_2) | instskip(NEXT) | instid1(VALU_DEP_2)
	v_dual_mul_f32 v13, v12, v13 :: v_dual_mov_b32 v12, v2
	s_and_b32 vcc_lo, exec_lo, s12
	s_delay_alu instid0(VALU_DEP_1)
	v_fma_f32 v2, v10, v2, -v13
	s_cbranch_vccnz .LBB32_64
.LBB32_65:
	s_mov_b32 s10, 0
	s_branch .LBB32_67
.LBB32_66:
	s_mov_b32 s10, -1
.LBB32_67:
	s_delay_alu instid0(SALU_CYCLE_1)
	s_and_not1_b32 vcc_lo, exec_lo, s10
	s_cbranch_vccnz .LBB32_69
; %bb.68:
	s_waitcnt vmcnt(0)
	v_add_f32_e32 v2, v11, v11
.LBB32_69:
	s_or_b32 exec_lo, exec_lo, s3
	v_or_b32_e32 v10, 0x200, v0
	s_mov_b32 s3, exec_lo
	s_delay_alu instid0(VALU_DEP_1)
	v_cmpx_gt_i32_e64 s14, v10
	s_cbranch_execz .LBB32_80
; %bb.70:
	v_cmp_ne_u32_e32 vcc_lo, 1, v9
	v_mov_b32_e32 v3, 0
	s_cbranch_vccnz .LBB32_80
; %bb.71:
	v_cmp_lt_i64_e64 s10, s[8:9], 1
	v_mov_b32_e32 v3, 1.0
	s_delay_alu instid0(VALU_DEP_2)
	s_and_b32 vcc_lo, exec_lo, s10
	s_cbranch_vccnz .LBB32_80
; %bb.72:
	s_cmp_lg_u64 s[8:9], 1
	s_cbranch_scc0 .LBB32_77
; %bb.73:
	v_mov_b32_e32 v3, 0x7fc00000
	s_and_not1_b32 vcc_lo, exec_lo, s1
	s_cbranch_vccnz .LBB32_76
; %bb.74:
	s_waitcnt vmcnt(0)
	v_dual_add_f32 v10, v8, v8 :: v_dual_mov_b32 v11, 1.0
	s_mov_b64 s[10:11], 2
	s_delay_alu instid0(VALU_DEP_1)
	v_mov_b32_e32 v3, v10
	.p2align	6
.LBB32_75:                              ; =>This Inner Loop Header: Depth=1
	s_clz_i32_u32 s12, s11
	s_delay_alu instid0(SALU_CYCLE_1) | instskip(NEXT) | instid1(SALU_CYCLE_1)
	s_min_u32 s15, s12, 32
	s_lshl_b64 s[12:13], s[10:11], s15
	s_delay_alu instid0(SALU_CYCLE_1) | instskip(NEXT) | instid1(SALU_CYCLE_1)
	s_min_u32 s12, s12, 1
	s_or_b32 s12, s13, s12
	s_delay_alu instid0(SALU_CYCLE_1) | instskip(SKIP_3) | instid1(VALU_DEP_1)
	v_cvt_f32_u32_e32 v12, s12
	s_sub_i32 s12, 32, s15
	s_add_u32 s10, s10, 2
	s_addc_u32 s11, s11, 0
	v_ldexp_f32 v12, v12, s12
	v_cmp_lt_u64_e64 s12, s[10:11], s[6:7]
	s_delay_alu instid0(VALU_DEP_2) | instskip(SKIP_1) | instid1(VALU_DEP_3)
	v_mul_f32_e32 v12, v11, v12
	v_mov_b32_e32 v11, v3
	s_and_b32 vcc_lo, exec_lo, s12
	s_delay_alu instid0(VALU_DEP_2)
	v_fma_f32 v3, v10, v3, -v12
	s_cbranch_vccnz .LBB32_75
.LBB32_76:
	s_mov_b32 s10, 0
	s_branch .LBB32_78
.LBB32_77:
	s_mov_b32 s10, -1
.LBB32_78:
	s_delay_alu instid0(SALU_CYCLE_1)
	s_and_not1_b32 vcc_lo, exec_lo, s10
	s_cbranch_vccnz .LBB32_80
; %bb.79:
	s_waitcnt vmcnt(0)
	v_add_f32_e32 v3, v8, v8
.LBB32_80:
	s_or_b32 exec_lo, exec_lo, s3
	s_waitcnt vmcnt(0)
	v_or_b32_e32 v8, 0x300, v0
	s_mov_b32 s3, exec_lo
	s_delay_alu instid0(VALU_DEP_1)
	v_cmpx_gt_i32_e64 s14, v8
	s_cbranch_execz .LBB32_91
; %bb.81:
	v_cmp_ne_u32_e32 vcc_lo, 1, v9
	v_mov_b32_e32 v4, 0
	s_cbranch_vccnz .LBB32_91
; %bb.82:
	v_cmp_lt_i64_e64 s10, s[8:9], 1
	v_mov_b32_e32 v4, 1.0
	s_delay_alu instid0(VALU_DEP_2)
	s_and_b32 vcc_lo, exec_lo, s10
	s_cbranch_vccnz .LBB32_91
; %bb.83:
	s_cmp_lg_u64 s[8:9], 1
	s_cbranch_scc0 .LBB32_88
; %bb.84:
	v_mov_b32_e32 v4, 0x7fc00000
	s_and_not1_b32 vcc_lo, exec_lo, s1
	s_cbranch_vccnz .LBB32_87
; %bb.85:
	v_dual_add_f32 v8, v6, v6 :: v_dual_mov_b32 v9, 1.0
	s_mov_b64 s[8:9], 2
	s_delay_alu instid0(VALU_DEP_1)
	v_mov_b32_e32 v4, v8
	.p2align	6
.LBB32_86:                              ; =>This Inner Loop Header: Depth=1
	s_clz_i32_u32 s1, s9
	s_delay_alu instid0(SALU_CYCLE_1) | instskip(NEXT) | instid1(SALU_CYCLE_1)
	s_min_u32 s1, s1, 32
	s_lshl_b64 s[10:11], s[8:9], s1
	s_sub_i32 s1, 32, s1
	s_min_u32 s10, s10, 1
	s_delay_alu instid0(SALU_CYCLE_1) | instskip(SKIP_3) | instid1(VALU_DEP_1)
	s_or_b32 s10, s11, s10
	s_add_u32 s8, s8, 2
	v_cvt_f32_u32_e32 v10, s10
	s_addc_u32 s9, s9, 0
	v_ldexp_f32 v10, v10, s1
	v_cmp_lt_u64_e64 s1, s[8:9], s[6:7]
	s_delay_alu instid0(VALU_DEP_2) | instskip(NEXT) | instid1(VALU_DEP_2)
	v_dual_mul_f32 v10, v9, v10 :: v_dual_mov_b32 v9, v4
	s_and_b32 vcc_lo, exec_lo, s1
	s_delay_alu instid0(VALU_DEP_1)
	v_fma_f32 v4, v8, v4, -v10
	s_cbranch_vccnz .LBB32_86
.LBB32_87:
	s_mov_b32 s1, 0
	s_branch .LBB32_89
.LBB32_88:
	s_mov_b32 s1, -1
.LBB32_89:
	s_delay_alu instid0(SALU_CYCLE_1)
	s_and_not1_b32 vcc_lo, exec_lo, s1
	s_cbranch_vccnz .LBB32_91
; %bb.90:
	v_add_f32_e32 v4, v6, v6
.LBB32_91:
	s_or_b32 exec_lo, exec_lo, s3
	s_and_saveexec_b32 s1, s0
	s_delay_alu instid0(SALU_CYCLE_1)
	s_xor_b32 s0, exec_lo, s1
	s_cbranch_execnz .LBB32_97
; %bb.92:
	s_or_b32 exec_lo, exec_lo, s0
	s_delay_alu instid0(SALU_CYCLE_1)
	s_mov_b32 s0, exec_lo
	v_cmpx_gt_i32_e64 s14, v0
	s_cbranch_execnz .LBB32_98
.LBB32_93:
	s_or_b32 exec_lo, exec_lo, s0
	s_delay_alu instid0(SALU_CYCLE_1)
	s_mov_b32 s0, exec_lo
	v_cmpx_gt_i32_e64 s14, v0
	s_cbranch_execnz .LBB32_99
.LBB32_94:
	s_or_b32 exec_lo, exec_lo, s0
	s_delay_alu instid0(SALU_CYCLE_1)
	s_mov_b32 s0, exec_lo
	v_cmpx_gt_i32_e64 s14, v0
	s_cbranch_execz .LBB32_96
.LBB32_95:
	v_dual_mov_b32 v1, 0 :: v_dual_add_nc_u32 v0, s2, v0
	s_delay_alu instid0(VALU_DEP_1) | instskip(NEXT) | instid1(VALU_DEP_1)
	v_lshlrev_b64 v[0:1], 2, v[0:1]
	v_add_co_u32 v0, vcc_lo, s4, v0
	s_delay_alu instid0(VALU_DEP_2)
	v_add_co_ci_u32_e32 v1, vcc_lo, s5, v1, vcc_lo
	global_store_b32 v[0:1], v4, off
.LBB32_96:
	s_nop 0
	s_sendmsg sendmsg(MSG_DEALLOC_VGPRS)
	s_endpgm
.LBB32_97:
	v_mov_b32_e32 v6, 0
	v_mov_b32_e32 v0, v7
	s_delay_alu instid0(VALU_DEP_2) | instskip(NEXT) | instid1(VALU_DEP_1)
	v_lshlrev_b64 v[5:6], 2, v[5:6]
	v_add_co_u32 v5, vcc_lo, s4, v5
	s_delay_alu instid0(VALU_DEP_2) | instskip(SKIP_2) | instid1(SALU_CYCLE_1)
	v_add_co_ci_u32_e32 v6, vcc_lo, s5, v6, vcc_lo
	global_store_b32 v[5:6], v1, off
	s_or_b32 exec_lo, exec_lo, s0
	s_mov_b32 s0, exec_lo
	v_cmpx_gt_i32_e64 s14, v0
	s_cbranch_execz .LBB32_93
.LBB32_98:
	v_dual_mov_b32 v6, 0 :: v_dual_add_nc_u32 v5, s2, v0
	v_add_nc_u32_e32 v0, 0x100, v0
	s_delay_alu instid0(VALU_DEP_2) | instskip(NEXT) | instid1(VALU_DEP_1)
	v_lshlrev_b64 v[5:6], 2, v[5:6]
	v_add_co_u32 v5, vcc_lo, s4, v5
	s_delay_alu instid0(VALU_DEP_2) | instskip(SKIP_2) | instid1(SALU_CYCLE_1)
	v_add_co_ci_u32_e32 v6, vcc_lo, s5, v6, vcc_lo
	global_store_b32 v[5:6], v2, off
	s_or_b32 exec_lo, exec_lo, s0
	s_mov_b32 s0, exec_lo
	v_cmpx_gt_i32_e64 s14, v0
	s_cbranch_execz .LBB32_94
.LBB32_99:
	v_dual_mov_b32 v2, 0 :: v_dual_add_nc_u32 v1, s2, v0
	v_add_nc_u32_e32 v0, 0x100, v0
	s_delay_alu instid0(VALU_DEP_2) | instskip(NEXT) | instid1(VALU_DEP_1)
	v_lshlrev_b64 v[1:2], 2, v[1:2]
	v_add_co_u32 v1, vcc_lo, s4, v1
	s_delay_alu instid0(VALU_DEP_2) | instskip(SKIP_2) | instid1(SALU_CYCLE_1)
	v_add_co_ci_u32_e32 v2, vcc_lo, s5, v2, vcc_lo
	global_store_b32 v[1:2], v3, off
	s_or_b32 exec_lo, exec_lo, s0
	s_mov_b32 s0, exec_lo
	v_cmpx_gt_i32_e64 s14, v0
	s_cbranch_execnz .LBB32_95
	s_branch .LBB32_96
	.section	.rodata,"a",@progbits
	.p2align	6, 0x0
	.amdhsa_kernel _ZN2at6native29vectorized_elementwise_kernelILi16ENS0_13BUnaryFunctorIfffZZZNS0_12_GLOBAL__N_132hermite_polynomial_h_kernel_cudaERNS_18TensorIteratorBaseEENKUlvE_clEvENKUlvE0_clEvEUlffE_EESt5arrayIPcLm2EEEEviT0_T1_
		.amdhsa_group_segment_fixed_size 0
		.amdhsa_private_segment_fixed_size 0
		.amdhsa_kernarg_size 32
		.amdhsa_user_sgpr_count 15
		.amdhsa_user_sgpr_dispatch_ptr 0
		.amdhsa_user_sgpr_queue_ptr 0
		.amdhsa_user_sgpr_kernarg_segment_ptr 1
		.amdhsa_user_sgpr_dispatch_id 0
		.amdhsa_user_sgpr_private_segment_size 0
		.amdhsa_wavefront_size32 1
		.amdhsa_uses_dynamic_stack 0
		.amdhsa_enable_private_segment 0
		.amdhsa_system_sgpr_workgroup_id_x 1
		.amdhsa_system_sgpr_workgroup_id_y 0
		.amdhsa_system_sgpr_workgroup_id_z 0
		.amdhsa_system_sgpr_workgroup_info 0
		.amdhsa_system_vgpr_workitem_id 0
		.amdhsa_next_free_vgpr 14
		.amdhsa_next_free_sgpr 20
		.amdhsa_reserve_vcc 1
		.amdhsa_float_round_mode_32 0
		.amdhsa_float_round_mode_16_64 0
		.amdhsa_float_denorm_mode_32 3
		.amdhsa_float_denorm_mode_16_64 3
		.amdhsa_dx10_clamp 1
		.amdhsa_ieee_mode 1
		.amdhsa_fp16_overflow 0
		.amdhsa_workgroup_processor_mode 1
		.amdhsa_memory_ordered 1
		.amdhsa_forward_progress 0
		.amdhsa_shared_vgpr_count 0
		.amdhsa_exception_fp_ieee_invalid_op 0
		.amdhsa_exception_fp_denorm_src 0
		.amdhsa_exception_fp_ieee_div_zero 0
		.amdhsa_exception_fp_ieee_overflow 0
		.amdhsa_exception_fp_ieee_underflow 0
		.amdhsa_exception_fp_ieee_inexact 0
		.amdhsa_exception_int_div_zero 0
	.end_amdhsa_kernel
	.section	.text._ZN2at6native29vectorized_elementwise_kernelILi16ENS0_13BUnaryFunctorIfffZZZNS0_12_GLOBAL__N_132hermite_polynomial_h_kernel_cudaERNS_18TensorIteratorBaseEENKUlvE_clEvENKUlvE0_clEvEUlffE_EESt5arrayIPcLm2EEEEviT0_T1_,"axG",@progbits,_ZN2at6native29vectorized_elementwise_kernelILi16ENS0_13BUnaryFunctorIfffZZZNS0_12_GLOBAL__N_132hermite_polynomial_h_kernel_cudaERNS_18TensorIteratorBaseEENKUlvE_clEvENKUlvE0_clEvEUlffE_EESt5arrayIPcLm2EEEEviT0_T1_,comdat
.Lfunc_end32:
	.size	_ZN2at6native29vectorized_elementwise_kernelILi16ENS0_13BUnaryFunctorIfffZZZNS0_12_GLOBAL__N_132hermite_polynomial_h_kernel_cudaERNS_18TensorIteratorBaseEENKUlvE_clEvENKUlvE0_clEvEUlffE_EESt5arrayIPcLm2EEEEviT0_T1_, .Lfunc_end32-_ZN2at6native29vectorized_elementwise_kernelILi16ENS0_13BUnaryFunctorIfffZZZNS0_12_GLOBAL__N_132hermite_polynomial_h_kernel_cudaERNS_18TensorIteratorBaseEENKUlvE_clEvENKUlvE0_clEvEUlffE_EESt5arrayIPcLm2EEEEviT0_T1_
                                        ; -- End function
	.section	.AMDGPU.csdata,"",@progbits
; Kernel info:
; codeLenInByte = 2756
; NumSgprs: 22
; NumVgprs: 14
; ScratchSize: 0
; MemoryBound: 0
; FloatMode: 240
; IeeeMode: 1
; LDSByteSize: 0 bytes/workgroup (compile time only)
; SGPRBlocks: 2
; VGPRBlocks: 1
; NumSGPRsForWavesPerEU: 22
; NumVGPRsForWavesPerEU: 14
; Occupancy: 16
; WaveLimiterHint : 0
; COMPUTE_PGM_RSRC2:SCRATCH_EN: 0
; COMPUTE_PGM_RSRC2:USER_SGPR: 15
; COMPUTE_PGM_RSRC2:TRAP_HANDLER: 0
; COMPUTE_PGM_RSRC2:TGID_X_EN: 1
; COMPUTE_PGM_RSRC2:TGID_Y_EN: 0
; COMPUTE_PGM_RSRC2:TGID_Z_EN: 0
; COMPUTE_PGM_RSRC2:TIDIG_COMP_CNT: 0
	.section	.text._ZN2at6native29vectorized_elementwise_kernelILi8ENS0_13BUnaryFunctorIfffZZZNS0_12_GLOBAL__N_132hermite_polynomial_h_kernel_cudaERNS_18TensorIteratorBaseEENKUlvE_clEvENKUlvE0_clEvEUlffE_EESt5arrayIPcLm2EEEEviT0_T1_,"axG",@progbits,_ZN2at6native29vectorized_elementwise_kernelILi8ENS0_13BUnaryFunctorIfffZZZNS0_12_GLOBAL__N_132hermite_polynomial_h_kernel_cudaERNS_18TensorIteratorBaseEENKUlvE_clEvENKUlvE0_clEvEUlffE_EESt5arrayIPcLm2EEEEviT0_T1_,comdat
	.globl	_ZN2at6native29vectorized_elementwise_kernelILi8ENS0_13BUnaryFunctorIfffZZZNS0_12_GLOBAL__N_132hermite_polynomial_h_kernel_cudaERNS_18TensorIteratorBaseEENKUlvE_clEvENKUlvE0_clEvEUlffE_EESt5arrayIPcLm2EEEEviT0_T1_ ; -- Begin function _ZN2at6native29vectorized_elementwise_kernelILi8ENS0_13BUnaryFunctorIfffZZZNS0_12_GLOBAL__N_132hermite_polynomial_h_kernel_cudaERNS_18TensorIteratorBaseEENKUlvE_clEvENKUlvE0_clEvEUlffE_EESt5arrayIPcLm2EEEEviT0_T1_
	.p2align	8
	.type	_ZN2at6native29vectorized_elementwise_kernelILi8ENS0_13BUnaryFunctorIfffZZZNS0_12_GLOBAL__N_132hermite_polynomial_h_kernel_cudaERNS_18TensorIteratorBaseEENKUlvE_clEvENKUlvE0_clEvEUlffE_EESt5arrayIPcLm2EEEEviT0_T1_,@function
_ZN2at6native29vectorized_elementwise_kernelILi8ENS0_13BUnaryFunctorIfffZZZNS0_12_GLOBAL__N_132hermite_polynomial_h_kernel_cudaERNS_18TensorIteratorBaseEENKUlvE_clEvENKUlvE0_clEvEUlffE_EESt5arrayIPcLm2EEEEviT0_T1_: ; @_ZN2at6native29vectorized_elementwise_kernelILi8ENS0_13BUnaryFunctorIfffZZZNS0_12_GLOBAL__N_132hermite_polynomial_h_kernel_cudaERNS_18TensorIteratorBaseEENKUlvE_clEvENKUlvE0_clEvEUlffE_EESt5arrayIPcLm2EEEEviT0_T1_
; %bb.0:
	s_clause 0x2
	s_load_b32 s3, s[0:1], 0x8
	s_load_b32 s8, s[0:1], 0x0
	s_load_b128 s[4:7], s[0:1], 0x10
	s_lshl_b32 s2, s15, 10
	s_mov_b32 s0, -1
	s_waitcnt lgkmcnt(0)
	v_trunc_f32_e32 v9, s3
	v_cmp_class_f32_e64 s15, s3, 0x1f8
	s_sub_i32 s14, s8, s2
	s_delay_alu instid0(SALU_CYCLE_1) | instskip(NEXT) | instid1(VALU_DEP_2)
	s_cmpk_gt_i32 s14, 0x3ff
	v_mul_f32_e64 v10, 0x2f800000, |v9|
	s_cbranch_scc0 .LBB33_38
; %bb.1:
	s_ashr_i32 s3, s2, 31
	v_lshlrev_b32_e32 v11, 4, v0
	s_lshl_b64 s[0:1], s[2:3], 2
	v_floor_f32_e32 v5, v10
	s_add_u32 s8, s6, s0
	s_addc_u32 s9, s7, s1
	v_readfirstlane_b32 s3, v9
	global_load_b128 v[1:4], v11, s[8:9]
	v_fma_f32 v6, 0xcf800000, v5, |v9|
	v_cvt_u32_f32_e32 v5, v5
	s_ashr_i32 s10, s3, 31
	s_delay_alu instid0(VALU_DEP_2) | instskip(NEXT) | instid1(VALU_DEP_2)
	v_cvt_u32_f32_e32 v6, v6
	v_readfirstlane_b32 s9, v5
	s_mov_b32 s11, s10
	v_mov_b32_e32 v5, 0
	s_delay_alu instid0(VALU_DEP_3) | instskip(NEXT) | instid1(VALU_DEP_1)
	v_readfirstlane_b32 s8, v6
	s_xor_b64 s[8:9], s[8:9], s[10:11]
	s_delay_alu instid0(SALU_CYCLE_1) | instskip(SKIP_4) | instid1(SALU_CYCLE_1)
	s_sub_u32 s3, s8, s10
	s_subb_u32 s8, s9, s10
	s_and_b32 s9, s15, exec_lo
	s_cselect_b32 s11, s8, -1
	s_cselect_b32 s10, s3, -1
	v_cmp_lt_i64_e64 s8, s[10:11], 0
	v_cmp_gt_i64_e64 s16, s[10:11], -1
	v_cmp_gt_u64_e64 s3, 0x81, s[10:11]
	v_cmp_lt_i64_e64 s12, s[10:11], 1
	s_delay_alu instid0(VALU_DEP_4)
	s_and_b32 vcc_lo, exec_lo, s8
	s_lshl_b64 s[8:9], s[10:11], 1
	s_cbranch_vccnz .LBB33_10
; %bb.2:
	v_mov_b32_e32 v5, 1.0
	s_delay_alu instid0(VALU_DEP_2)
	s_and_b32 vcc_lo, exec_lo, s12
	s_cbranch_vccnz .LBB33_10
; %bb.3:
	s_cmp_lg_u64 s[10:11], 1
	s_cbranch_scc0 .LBB33_8
; %bb.4:
	v_mov_b32_e32 v5, 0x7fc00000
	s_and_not1_b32 vcc_lo, exec_lo, s3
	s_cbranch_vccnz .LBB33_7
; %bb.5:
	s_waitcnt vmcnt(0)
	v_dual_add_f32 v6, v1, v1 :: v_dual_mov_b32 v7, 1.0
	s_mov_b64 s[12:13], 2
	s_delay_alu instid0(VALU_DEP_1)
	v_mov_b32_e32 v5, v6
	.p2align	6
.LBB33_6:                               ; =>This Inner Loop Header: Depth=1
	s_clz_i32_u32 s17, s13
	s_delay_alu instid0(SALU_CYCLE_1) | instskip(NEXT) | instid1(SALU_CYCLE_1)
	s_min_u32 s17, s17, 32
	s_lshl_b64 s[18:19], s[12:13], s17
	s_sub_i32 s17, 32, s17
	s_min_u32 s18, s18, 1
	s_delay_alu instid0(SALU_CYCLE_1) | instskip(SKIP_3) | instid1(VALU_DEP_1)
	s_or_b32 s18, s19, s18
	s_add_u32 s12, s12, 2
	v_cvt_f32_u32_e32 v8, s18
	s_addc_u32 s13, s13, 0
	v_ldexp_f32 v8, v8, s17
	v_cmp_lt_u64_e64 s17, s[12:13], s[8:9]
	s_delay_alu instid0(VALU_DEP_2) | instskip(NEXT) | instid1(VALU_DEP_2)
	v_dual_mul_f32 v8, v7, v8 :: v_dual_mov_b32 v7, v5
	s_and_b32 vcc_lo, exec_lo, s17
	s_delay_alu instid0(VALU_DEP_1)
	v_fma_f32 v5, v6, v5, -v8
	s_cbranch_vccnz .LBB33_6
.LBB33_7:
	s_cbranch_execz .LBB33_9
	s_branch .LBB33_10
.LBB33_8:
                                        ; implicit-def: $vgpr5
.LBB33_9:
	s_waitcnt vmcnt(0)
	v_add_f32_e32 v5, v1, v1
.LBB33_10:
	s_waitcnt vmcnt(0)
	v_cndmask_b32_e64 v1, 0, 1, s16
	v_mov_b32_e32 v6, 0
	s_and_not1_b32 vcc_lo, exec_lo, s16
	s_cbranch_vccnz .LBB33_19
; %bb.11:
	v_cmp_lt_i64_e64 s12, s[10:11], 1
	v_mov_b32_e32 v6, 1.0
	s_delay_alu instid0(VALU_DEP_2)
	s_and_b32 vcc_lo, exec_lo, s12
	s_cbranch_vccnz .LBB33_19
; %bb.12:
	s_cmp_lg_u64 s[10:11], 1
	s_cbranch_scc0 .LBB33_17
; %bb.13:
	v_mov_b32_e32 v6, 0x7fc00000
	s_and_not1_b32 vcc_lo, exec_lo, s3
	s_cbranch_vccnz .LBB33_16
; %bb.14:
	v_dual_add_f32 v7, v2, v2 :: v_dual_mov_b32 v8, 1.0
	s_mov_b64 s[12:13], 2
	s_delay_alu instid0(VALU_DEP_1)
	v_mov_b32_e32 v6, v7
	.p2align	6
.LBB33_15:                              ; =>This Inner Loop Header: Depth=1
	s_clz_i32_u32 s16, s13
	s_delay_alu instid0(SALU_CYCLE_1) | instskip(NEXT) | instid1(SALU_CYCLE_1)
	s_min_u32 s18, s16, 32
	s_lshl_b64 s[16:17], s[12:13], s18
	s_delay_alu instid0(SALU_CYCLE_1) | instskip(NEXT) | instid1(SALU_CYCLE_1)
	s_min_u32 s16, s16, 1
	s_or_b32 s16, s17, s16
	s_delay_alu instid0(SALU_CYCLE_1) | instskip(SKIP_3) | instid1(VALU_DEP_1)
	v_cvt_f32_u32_e32 v12, s16
	s_sub_i32 s16, 32, s18
	s_add_u32 s12, s12, 2
	s_addc_u32 s13, s13, 0
	v_ldexp_f32 v12, v12, s16
	v_cmp_lt_u64_e64 s16, s[12:13], s[8:9]
	s_delay_alu instid0(VALU_DEP_2) | instskip(SKIP_1) | instid1(VALU_DEP_3)
	v_mul_f32_e32 v12, v8, v12
	v_mov_b32_e32 v8, v6
	s_and_b32 vcc_lo, exec_lo, s16
	s_delay_alu instid0(VALU_DEP_2)
	v_fma_f32 v6, v7, v6, -v12
	s_cbranch_vccnz .LBB33_15
.LBB33_16:
	s_cbranch_execz .LBB33_18
	s_branch .LBB33_19
.LBB33_17:
.LBB33_18:
	v_add_f32_e32 v6, v2, v2
.LBB33_19:
	s_delay_alu instid0(VALU_DEP_2)
	v_cmp_ne_u32_e32 vcc_lo, 1, v1
	v_mov_b32_e32 v7, 0
	s_cbranch_vccnz .LBB33_28
; %bb.20:
	v_cmp_lt_i64_e64 s12, s[10:11], 1
	v_mov_b32_e32 v7, 1.0
	s_delay_alu instid0(VALU_DEP_2)
	s_and_b32 vcc_lo, exec_lo, s12
	s_cbranch_vccnz .LBB33_28
; %bb.21:
	s_cmp_lg_u64 s[10:11], 1
	s_cbranch_scc0 .LBB33_26
; %bb.22:
	v_mov_b32_e32 v7, 0x7fc00000
	s_and_not1_b32 vcc_lo, exec_lo, s3
	s_cbranch_vccnz .LBB33_25
; %bb.23:
	v_add_f32_e32 v2, v3, v3
	v_mov_b32_e32 v8, 1.0
	s_mov_b64 s[12:13], 2
	s_delay_alu instid0(VALU_DEP_2)
	v_mov_b32_e32 v7, v2
	.p2align	6
.LBB33_24:                              ; =>This Inner Loop Header: Depth=1
	s_clz_i32_u32 s16, s13
	s_delay_alu instid0(SALU_CYCLE_1) | instskip(NEXT) | instid1(SALU_CYCLE_1)
	s_min_u32 s18, s16, 32
	s_lshl_b64 s[16:17], s[12:13], s18
	s_delay_alu instid0(SALU_CYCLE_1) | instskip(NEXT) | instid1(SALU_CYCLE_1)
	s_min_u32 s16, s16, 1
	s_or_b32 s16, s17, s16
	s_delay_alu instid0(SALU_CYCLE_1) | instskip(SKIP_3) | instid1(VALU_DEP_1)
	v_cvt_f32_u32_e32 v12, s16
	s_sub_i32 s16, 32, s18
	s_add_u32 s12, s12, 2
	s_addc_u32 s13, s13, 0
	v_ldexp_f32 v12, v12, s16
	v_cmp_lt_u64_e64 s16, s[12:13], s[8:9]
	s_delay_alu instid0(VALU_DEP_2) | instskip(SKIP_1) | instid1(VALU_DEP_3)
	v_mul_f32_e32 v12, v8, v12
	v_mov_b32_e32 v8, v7
	s_and_b32 vcc_lo, exec_lo, s16
	s_delay_alu instid0(VALU_DEP_2)
	v_fma_f32 v7, v2, v7, -v12
	s_cbranch_vccnz .LBB33_24
.LBB33_25:
	s_cbranch_execz .LBB33_27
	s_branch .LBB33_28
.LBB33_26:
.LBB33_27:
	v_add_f32_e32 v7, v3, v3
.LBB33_28:
	v_cmp_ne_u32_e32 vcc_lo, 1, v1
	v_mov_b32_e32 v8, 0
	s_cbranch_vccnz .LBB33_37
; %bb.29:
	v_cmp_lt_i64_e64 s12, s[10:11], 1
	v_mov_b32_e32 v8, 1.0
	s_delay_alu instid0(VALU_DEP_2)
	s_and_b32 vcc_lo, exec_lo, s12
	s_cbranch_vccnz .LBB33_37
; %bb.30:
	s_cmp_lg_u64 s[10:11], 1
	s_cbranch_scc0 .LBB33_35
; %bb.31:
	v_mov_b32_e32 v8, 0x7fc00000
	s_and_not1_b32 vcc_lo, exec_lo, s3
	s_cbranch_vccnz .LBB33_34
; %bb.32:
	v_dual_add_f32 v1, v4, v4 :: v_dual_mov_b32 v2, 1.0
	s_mov_b64 s[10:11], 2
	s_delay_alu instid0(VALU_DEP_1)
	v_mov_b32_e32 v8, v1
	.p2align	6
.LBB33_33:                              ; =>This Inner Loop Header: Depth=1
	s_clz_i32_u32 s3, s11
	s_delay_alu instid0(SALU_CYCLE_1) | instskip(NEXT) | instid1(SALU_CYCLE_1)
	s_min_u32 s3, s3, 32
	s_lshl_b64 s[12:13], s[10:11], s3
	s_sub_i32 s3, 32, s3
	s_min_u32 s12, s12, 1
	s_delay_alu instid0(SALU_CYCLE_1) | instskip(SKIP_3) | instid1(VALU_DEP_1)
	s_or_b32 s12, s13, s12
	s_add_u32 s10, s10, 2
	v_cvt_f32_u32_e32 v3, s12
	s_addc_u32 s11, s11, 0
	v_ldexp_f32 v3, v3, s3
	v_cmp_lt_u64_e64 s3, s[10:11], s[8:9]
	s_delay_alu instid0(VALU_DEP_2) | instskip(NEXT) | instid1(VALU_DEP_2)
	v_dual_mul_f32 v3, v2, v3 :: v_dual_mov_b32 v2, v8
	s_and_b32 vcc_lo, exec_lo, s3
	s_delay_alu instid0(VALU_DEP_1)
	v_fma_f32 v8, v1, v8, -v3
	s_cbranch_vccnz .LBB33_33
.LBB33_34:
	s_cbranch_execz .LBB33_36
	s_branch .LBB33_37
.LBB33_35:
.LBB33_36:
	v_add_f32_e32 v8, v4, v4
.LBB33_37:
	s_add_u32 s8, s4, s0
	s_addc_u32 s9, s5, s1
	s_mov_b32 s0, 0
	global_store_b128 v11, v[5:8], s[8:9]
.LBB33_38:
	s_and_b32 vcc_lo, exec_lo, s0
	s_cbranch_vccz .LBB33_96
; %bb.39:
	v_cmp_gt_i32_e64 s0, s14, v0
	v_dual_mov_b32 v11, 0 :: v_dual_mov_b32 v12, 0
	v_or_b32_e32 v5, s2, v0
	v_or_b32_e32 v7, 0x100, v0
	v_mov_b32_e32 v1, v0
	s_and_saveexec_b32 s1, s0
	s_cbranch_execz .LBB33_41
; %bb.40:
	v_mov_b32_e32 v6, 0
	s_delay_alu instid0(VALU_DEP_1) | instskip(NEXT) | instid1(VALU_DEP_1)
	v_lshlrev_b64 v[1:2], 2, v[5:6]
	v_add_co_u32 v1, vcc_lo, s6, v1
	s_delay_alu instid0(VALU_DEP_2)
	v_add_co_ci_u32_e32 v2, vcc_lo, s7, v2, vcc_lo
	global_load_b32 v12, v[1:2], off
	v_or_b32_e32 v1, 0x100, v0
.LBB33_41:
	s_or_b32 exec_lo, exec_lo, s1
	s_delay_alu instid0(SALU_CYCLE_1) | instskip(NEXT) | instid1(VALU_DEP_1)
	s_mov_b32 s1, exec_lo
	v_cmpx_gt_i32_e64 s14, v1
	s_cbranch_execz .LBB33_43
; %bb.42:
	v_dual_mov_b32 v3, 0 :: v_dual_add_nc_u32 v2, s2, v1
	v_add_nc_u32_e32 v1, 0x100, v1
	s_delay_alu instid0(VALU_DEP_2) | instskip(NEXT) | instid1(VALU_DEP_1)
	v_lshlrev_b64 v[2:3], 2, v[2:3]
	v_add_co_u32 v2, vcc_lo, s6, v2
	s_delay_alu instid0(VALU_DEP_2)
	v_add_co_ci_u32_e32 v3, vcc_lo, s7, v3, vcc_lo
	global_load_b32 v11, v[2:3], off
.LBB33_43:
	s_or_b32 exec_lo, exec_lo, s1
	v_mov_b32_e32 v6, 0
	v_mov_b32_e32 v8, 0
	s_mov_b32 s1, exec_lo
	v_cmpx_gt_i32_e64 s14, v1
	s_cbranch_execz .LBB33_45
; %bb.44:
	v_dual_mov_b32 v3, 0 :: v_dual_add_nc_u32 v2, s2, v1
	v_add_nc_u32_e32 v1, 0x100, v1
	s_delay_alu instid0(VALU_DEP_2) | instskip(NEXT) | instid1(VALU_DEP_1)
	v_lshlrev_b64 v[2:3], 2, v[2:3]
	v_add_co_u32 v2, vcc_lo, s6, v2
	s_delay_alu instid0(VALU_DEP_2)
	v_add_co_ci_u32_e32 v3, vcc_lo, s7, v3, vcc_lo
	global_load_b32 v8, v[2:3], off
.LBB33_45:
	s_or_b32 exec_lo, exec_lo, s1
	s_delay_alu instid0(SALU_CYCLE_1)
	s_mov_b32 s1, exec_lo
	v_cmpx_gt_i32_e64 s14, v1
	s_cbranch_execz .LBB33_47
; %bb.46:
	v_dual_mov_b32 v2, 0 :: v_dual_add_nc_u32 v1, s2, v1
	s_delay_alu instid0(VALU_DEP_1) | instskip(NEXT) | instid1(VALU_DEP_1)
	v_lshlrev_b64 v[1:2], 2, v[1:2]
	v_add_co_u32 v1, vcc_lo, s6, v1
	s_delay_alu instid0(VALU_DEP_2)
	v_add_co_ci_u32_e32 v2, vcc_lo, s7, v2, vcc_lo
	global_load_b32 v6, v[1:2], off
.LBB33_47:
	s_or_b32 exec_lo, exec_lo, s1
	v_floor_f32_e32 v1, v10
	v_readfirstlane_b32 s1, v9
	s_delay_alu instid0(VALU_DEP_2) | instskip(SKIP_1) | instid1(VALU_DEP_3)
	v_fma_f32 v2, 0xcf800000, v1, |v9|
	v_cvt_u32_f32_e32 v1, v1
	s_ashr_i32 s8, s1, 31
	s_delay_alu instid0(SALU_CYCLE_1) | instskip(NEXT) | instid1(VALU_DEP_2)
	s_mov_b32 s9, s8
	v_cvt_u32_f32_e32 v2, v2
	s_delay_alu instid0(VALU_DEP_2) | instskip(NEXT) | instid1(VALU_DEP_2)
	v_readfirstlane_b32 s7, v1
	v_readfirstlane_b32 s6, v2
                                        ; implicit-def: $vgpr1_vgpr2_vgpr3_vgpr4
	s_delay_alu instid0(VALU_DEP_1) | instskip(NEXT) | instid1(SALU_CYCLE_1)
	s_xor_b64 s[6:7], s[6:7], s[8:9]
	s_sub_u32 s1, s6, s8
	s_subb_u32 s3, s7, s8
	s_and_b32 s6, s15, exec_lo
	s_cselect_b32 s9, s3, -1
	s_cselect_b32 s8, s1, -1
	s_delay_alu instid0(SALU_CYCLE_1) | instskip(SKIP_2) | instid1(VALU_DEP_2)
	v_cmp_gt_i64_e64 s10, s[8:9], -1
	v_cmp_gt_u64_e64 s1, 0x81, s[8:9]
	s_lshl_b64 s[6:7], s[8:9], 1
	v_cndmask_b32_e64 v9, 0, 1, s10
	s_and_saveexec_b32 s3, s0
	s_cbranch_execz .LBB33_58
; %bb.48:
	v_mov_b32_e32 v1, 0
	s_and_not1_b32 vcc_lo, exec_lo, s10
	s_cbranch_vccnz .LBB33_58
; %bb.49:
	v_cmp_lt_i64_e64 s10, s[8:9], 1
	v_mov_b32_e32 v1, 1.0
	s_delay_alu instid0(VALU_DEP_2)
	s_and_b32 vcc_lo, exec_lo, s10
	s_cbranch_vccnz .LBB33_58
; %bb.50:
	s_cmp_lg_u64 s[8:9], 1
	s_cbranch_scc0 .LBB33_55
; %bb.51:
	v_mov_b32_e32 v1, 0x7fc00000
	s_and_not1_b32 vcc_lo, exec_lo, s1
	s_cbranch_vccnz .LBB33_54
; %bb.52:
	s_waitcnt vmcnt(0)
	v_dual_add_f32 v2, v12, v12 :: v_dual_mov_b32 v3, 1.0
	s_mov_b64 s[10:11], 2
	s_delay_alu instid0(VALU_DEP_1)
	v_mov_b32_e32 v1, v2
	.p2align	6
.LBB33_53:                              ; =>This Inner Loop Header: Depth=1
	s_clz_i32_u32 s12, s11
	s_delay_alu instid0(SALU_CYCLE_1) | instskip(NEXT) | instid1(SALU_CYCLE_1)
	s_min_u32 s15, s12, 32
	s_lshl_b64 s[12:13], s[10:11], s15
	s_delay_alu instid0(SALU_CYCLE_1) | instskip(NEXT) | instid1(SALU_CYCLE_1)
	s_min_u32 s12, s12, 1
	s_or_b32 s12, s13, s12
	s_delay_alu instid0(SALU_CYCLE_1) | instskip(SKIP_3) | instid1(VALU_DEP_1)
	v_cvt_f32_u32_e32 v4, s12
	s_sub_i32 s12, 32, s15
	s_add_u32 s10, s10, 2
	s_addc_u32 s11, s11, 0
	v_ldexp_f32 v4, v4, s12
	v_cmp_lt_u64_e64 s12, s[10:11], s[6:7]
	s_delay_alu instid0(VALU_DEP_2) | instskip(NEXT) | instid1(VALU_DEP_2)
	v_dual_mul_f32 v4, v3, v4 :: v_dual_mov_b32 v3, v1
	s_and_b32 vcc_lo, exec_lo, s12
	s_delay_alu instid0(VALU_DEP_1)
	v_fma_f32 v1, v2, v1, -v4
	s_cbranch_vccnz .LBB33_53
.LBB33_54:
	s_mov_b32 s10, 0
	s_branch .LBB33_56
.LBB33_55:
	s_mov_b32 s10, -1
                                        ; implicit-def: $vgpr1
.LBB33_56:
	s_delay_alu instid0(SALU_CYCLE_1)
	s_and_not1_b32 vcc_lo, exec_lo, s10
	s_cbranch_vccnz .LBB33_58
; %bb.57:
	s_waitcnt vmcnt(0)
	v_add_f32_e32 v1, v12, v12
.LBB33_58:
	s_or_b32 exec_lo, exec_lo, s3
	s_delay_alu instid0(SALU_CYCLE_1)
	s_mov_b32 s3, exec_lo
	v_cmpx_gt_i32_e64 s14, v7
	s_cbranch_execz .LBB33_69
; %bb.59:
	v_cmp_ne_u32_e32 vcc_lo, 1, v9
	v_mov_b32_e32 v2, 0
	s_cbranch_vccnz .LBB33_69
; %bb.60:
	v_cmp_lt_i64_e64 s10, s[8:9], 1
	v_mov_b32_e32 v2, 1.0
	s_delay_alu instid0(VALU_DEP_2)
	s_and_b32 vcc_lo, exec_lo, s10
	s_cbranch_vccnz .LBB33_69
; %bb.61:
	s_cmp_lg_u64 s[8:9], 1
	s_cbranch_scc0 .LBB33_66
; %bb.62:
	v_mov_b32_e32 v2, 0x7fc00000
	s_and_not1_b32 vcc_lo, exec_lo, s1
	s_cbranch_vccnz .LBB33_65
; %bb.63:
	s_waitcnt vmcnt(0)
	v_add_f32_e32 v10, v11, v11
	v_mov_b32_e32 v12, 1.0
	s_mov_b64 s[10:11], 2
	s_delay_alu instid0(VALU_DEP_2)
	v_mov_b32_e32 v2, v10
	.p2align	6
.LBB33_64:                              ; =>This Inner Loop Header: Depth=1
	s_clz_i32_u32 s12, s11
	s_delay_alu instid0(SALU_CYCLE_1) | instskip(NEXT) | instid1(SALU_CYCLE_1)
	s_min_u32 s15, s12, 32
	s_lshl_b64 s[12:13], s[10:11], s15
	s_delay_alu instid0(SALU_CYCLE_1) | instskip(NEXT) | instid1(SALU_CYCLE_1)
	s_min_u32 s12, s12, 1
	s_or_b32 s12, s13, s12
	s_delay_alu instid0(SALU_CYCLE_1) | instskip(SKIP_3) | instid1(VALU_DEP_1)
	v_cvt_f32_u32_e32 v13, s12
	s_sub_i32 s12, 32, s15
	s_add_u32 s10, s10, 2
	s_addc_u32 s11, s11, 0
	v_ldexp_f32 v13, v13, s12
	v_cmp_lt_u64_e64 s12, s[10:11], s[6:7]
	s_delay_alu instid0(VALU_DEP_2) | instskip(NEXT) | instid1(VALU_DEP_2)
	v_dual_mul_f32 v13, v12, v13 :: v_dual_mov_b32 v12, v2
	s_and_b32 vcc_lo, exec_lo, s12
	s_delay_alu instid0(VALU_DEP_1)
	v_fma_f32 v2, v10, v2, -v13
	s_cbranch_vccnz .LBB33_64
.LBB33_65:
	s_mov_b32 s10, 0
	s_branch .LBB33_67
.LBB33_66:
	s_mov_b32 s10, -1
.LBB33_67:
	s_delay_alu instid0(SALU_CYCLE_1)
	s_and_not1_b32 vcc_lo, exec_lo, s10
	s_cbranch_vccnz .LBB33_69
; %bb.68:
	s_waitcnt vmcnt(0)
	v_add_f32_e32 v2, v11, v11
.LBB33_69:
	s_or_b32 exec_lo, exec_lo, s3
	v_or_b32_e32 v10, 0x200, v0
	s_mov_b32 s3, exec_lo
	s_delay_alu instid0(VALU_DEP_1)
	v_cmpx_gt_i32_e64 s14, v10
	s_cbranch_execz .LBB33_80
; %bb.70:
	v_cmp_ne_u32_e32 vcc_lo, 1, v9
	v_mov_b32_e32 v3, 0
	s_cbranch_vccnz .LBB33_80
; %bb.71:
	v_cmp_lt_i64_e64 s10, s[8:9], 1
	v_mov_b32_e32 v3, 1.0
	s_delay_alu instid0(VALU_DEP_2)
	s_and_b32 vcc_lo, exec_lo, s10
	s_cbranch_vccnz .LBB33_80
; %bb.72:
	s_cmp_lg_u64 s[8:9], 1
	s_cbranch_scc0 .LBB33_77
; %bb.73:
	v_mov_b32_e32 v3, 0x7fc00000
	s_and_not1_b32 vcc_lo, exec_lo, s1
	s_cbranch_vccnz .LBB33_76
; %bb.74:
	s_waitcnt vmcnt(0)
	v_dual_add_f32 v10, v8, v8 :: v_dual_mov_b32 v11, 1.0
	s_mov_b64 s[10:11], 2
	s_delay_alu instid0(VALU_DEP_1)
	v_mov_b32_e32 v3, v10
	.p2align	6
.LBB33_75:                              ; =>This Inner Loop Header: Depth=1
	s_clz_i32_u32 s12, s11
	s_delay_alu instid0(SALU_CYCLE_1) | instskip(NEXT) | instid1(SALU_CYCLE_1)
	s_min_u32 s15, s12, 32
	s_lshl_b64 s[12:13], s[10:11], s15
	s_delay_alu instid0(SALU_CYCLE_1) | instskip(NEXT) | instid1(SALU_CYCLE_1)
	s_min_u32 s12, s12, 1
	s_or_b32 s12, s13, s12
	s_delay_alu instid0(SALU_CYCLE_1) | instskip(SKIP_3) | instid1(VALU_DEP_1)
	v_cvt_f32_u32_e32 v12, s12
	s_sub_i32 s12, 32, s15
	s_add_u32 s10, s10, 2
	s_addc_u32 s11, s11, 0
	v_ldexp_f32 v12, v12, s12
	v_cmp_lt_u64_e64 s12, s[10:11], s[6:7]
	s_delay_alu instid0(VALU_DEP_2) | instskip(SKIP_1) | instid1(VALU_DEP_3)
	v_mul_f32_e32 v12, v11, v12
	v_mov_b32_e32 v11, v3
	s_and_b32 vcc_lo, exec_lo, s12
	s_delay_alu instid0(VALU_DEP_2)
	v_fma_f32 v3, v10, v3, -v12
	s_cbranch_vccnz .LBB33_75
.LBB33_76:
	s_mov_b32 s10, 0
	s_branch .LBB33_78
.LBB33_77:
	s_mov_b32 s10, -1
.LBB33_78:
	s_delay_alu instid0(SALU_CYCLE_1)
	s_and_not1_b32 vcc_lo, exec_lo, s10
	s_cbranch_vccnz .LBB33_80
; %bb.79:
	s_waitcnt vmcnt(0)
	v_add_f32_e32 v3, v8, v8
.LBB33_80:
	s_or_b32 exec_lo, exec_lo, s3
	s_waitcnt vmcnt(0)
	v_or_b32_e32 v8, 0x300, v0
	s_mov_b32 s3, exec_lo
	s_delay_alu instid0(VALU_DEP_1)
	v_cmpx_gt_i32_e64 s14, v8
	s_cbranch_execz .LBB33_91
; %bb.81:
	v_cmp_ne_u32_e32 vcc_lo, 1, v9
	v_mov_b32_e32 v4, 0
	s_cbranch_vccnz .LBB33_91
; %bb.82:
	v_cmp_lt_i64_e64 s10, s[8:9], 1
	v_mov_b32_e32 v4, 1.0
	s_delay_alu instid0(VALU_DEP_2)
	s_and_b32 vcc_lo, exec_lo, s10
	s_cbranch_vccnz .LBB33_91
; %bb.83:
	s_cmp_lg_u64 s[8:9], 1
	s_cbranch_scc0 .LBB33_88
; %bb.84:
	v_mov_b32_e32 v4, 0x7fc00000
	s_and_not1_b32 vcc_lo, exec_lo, s1
	s_cbranch_vccnz .LBB33_87
; %bb.85:
	v_dual_add_f32 v8, v6, v6 :: v_dual_mov_b32 v9, 1.0
	s_mov_b64 s[8:9], 2
	s_delay_alu instid0(VALU_DEP_1)
	v_mov_b32_e32 v4, v8
	.p2align	6
.LBB33_86:                              ; =>This Inner Loop Header: Depth=1
	s_clz_i32_u32 s1, s9
	s_delay_alu instid0(SALU_CYCLE_1) | instskip(NEXT) | instid1(SALU_CYCLE_1)
	s_min_u32 s1, s1, 32
	s_lshl_b64 s[10:11], s[8:9], s1
	s_sub_i32 s1, 32, s1
	s_min_u32 s10, s10, 1
	s_delay_alu instid0(SALU_CYCLE_1) | instskip(SKIP_3) | instid1(VALU_DEP_1)
	s_or_b32 s10, s11, s10
	s_add_u32 s8, s8, 2
	v_cvt_f32_u32_e32 v10, s10
	s_addc_u32 s9, s9, 0
	v_ldexp_f32 v10, v10, s1
	v_cmp_lt_u64_e64 s1, s[8:9], s[6:7]
	s_delay_alu instid0(VALU_DEP_2) | instskip(NEXT) | instid1(VALU_DEP_2)
	v_dual_mul_f32 v10, v9, v10 :: v_dual_mov_b32 v9, v4
	s_and_b32 vcc_lo, exec_lo, s1
	s_delay_alu instid0(VALU_DEP_1)
	v_fma_f32 v4, v8, v4, -v10
	s_cbranch_vccnz .LBB33_86
.LBB33_87:
	s_mov_b32 s1, 0
	s_branch .LBB33_89
.LBB33_88:
	s_mov_b32 s1, -1
.LBB33_89:
	s_delay_alu instid0(SALU_CYCLE_1)
	s_and_not1_b32 vcc_lo, exec_lo, s1
	s_cbranch_vccnz .LBB33_91
; %bb.90:
	v_add_f32_e32 v4, v6, v6
.LBB33_91:
	s_or_b32 exec_lo, exec_lo, s3
	s_and_saveexec_b32 s1, s0
	s_delay_alu instid0(SALU_CYCLE_1)
	s_xor_b32 s0, exec_lo, s1
	s_cbranch_execnz .LBB33_97
; %bb.92:
	s_or_b32 exec_lo, exec_lo, s0
	s_delay_alu instid0(SALU_CYCLE_1)
	s_mov_b32 s0, exec_lo
	v_cmpx_gt_i32_e64 s14, v0
	s_cbranch_execnz .LBB33_98
.LBB33_93:
	s_or_b32 exec_lo, exec_lo, s0
	s_delay_alu instid0(SALU_CYCLE_1)
	s_mov_b32 s0, exec_lo
	v_cmpx_gt_i32_e64 s14, v0
	s_cbranch_execnz .LBB33_99
.LBB33_94:
	s_or_b32 exec_lo, exec_lo, s0
	s_delay_alu instid0(SALU_CYCLE_1)
	s_mov_b32 s0, exec_lo
	v_cmpx_gt_i32_e64 s14, v0
	s_cbranch_execz .LBB33_96
.LBB33_95:
	v_dual_mov_b32 v1, 0 :: v_dual_add_nc_u32 v0, s2, v0
	s_delay_alu instid0(VALU_DEP_1) | instskip(NEXT) | instid1(VALU_DEP_1)
	v_lshlrev_b64 v[0:1], 2, v[0:1]
	v_add_co_u32 v0, vcc_lo, s4, v0
	s_delay_alu instid0(VALU_DEP_2)
	v_add_co_ci_u32_e32 v1, vcc_lo, s5, v1, vcc_lo
	global_store_b32 v[0:1], v4, off
.LBB33_96:
	s_nop 0
	s_sendmsg sendmsg(MSG_DEALLOC_VGPRS)
	s_endpgm
.LBB33_97:
	v_mov_b32_e32 v6, 0
	v_mov_b32_e32 v0, v7
	s_delay_alu instid0(VALU_DEP_2) | instskip(NEXT) | instid1(VALU_DEP_1)
	v_lshlrev_b64 v[5:6], 2, v[5:6]
	v_add_co_u32 v5, vcc_lo, s4, v5
	s_delay_alu instid0(VALU_DEP_2) | instskip(SKIP_2) | instid1(SALU_CYCLE_1)
	v_add_co_ci_u32_e32 v6, vcc_lo, s5, v6, vcc_lo
	global_store_b32 v[5:6], v1, off
	s_or_b32 exec_lo, exec_lo, s0
	s_mov_b32 s0, exec_lo
	v_cmpx_gt_i32_e64 s14, v0
	s_cbranch_execz .LBB33_93
.LBB33_98:
	v_dual_mov_b32 v6, 0 :: v_dual_add_nc_u32 v5, s2, v0
	v_add_nc_u32_e32 v0, 0x100, v0
	s_delay_alu instid0(VALU_DEP_2) | instskip(NEXT) | instid1(VALU_DEP_1)
	v_lshlrev_b64 v[5:6], 2, v[5:6]
	v_add_co_u32 v5, vcc_lo, s4, v5
	s_delay_alu instid0(VALU_DEP_2) | instskip(SKIP_2) | instid1(SALU_CYCLE_1)
	v_add_co_ci_u32_e32 v6, vcc_lo, s5, v6, vcc_lo
	global_store_b32 v[5:6], v2, off
	s_or_b32 exec_lo, exec_lo, s0
	s_mov_b32 s0, exec_lo
	v_cmpx_gt_i32_e64 s14, v0
	s_cbranch_execz .LBB33_94
.LBB33_99:
	v_dual_mov_b32 v2, 0 :: v_dual_add_nc_u32 v1, s2, v0
	v_add_nc_u32_e32 v0, 0x100, v0
	s_delay_alu instid0(VALU_DEP_2) | instskip(NEXT) | instid1(VALU_DEP_1)
	v_lshlrev_b64 v[1:2], 2, v[1:2]
	v_add_co_u32 v1, vcc_lo, s4, v1
	s_delay_alu instid0(VALU_DEP_2) | instskip(SKIP_2) | instid1(SALU_CYCLE_1)
	v_add_co_ci_u32_e32 v2, vcc_lo, s5, v2, vcc_lo
	global_store_b32 v[1:2], v3, off
	s_or_b32 exec_lo, exec_lo, s0
	s_mov_b32 s0, exec_lo
	v_cmpx_gt_i32_e64 s14, v0
	s_cbranch_execnz .LBB33_95
	s_branch .LBB33_96
	.section	.rodata,"a",@progbits
	.p2align	6, 0x0
	.amdhsa_kernel _ZN2at6native29vectorized_elementwise_kernelILi8ENS0_13BUnaryFunctorIfffZZZNS0_12_GLOBAL__N_132hermite_polynomial_h_kernel_cudaERNS_18TensorIteratorBaseEENKUlvE_clEvENKUlvE0_clEvEUlffE_EESt5arrayIPcLm2EEEEviT0_T1_
		.amdhsa_group_segment_fixed_size 0
		.amdhsa_private_segment_fixed_size 0
		.amdhsa_kernarg_size 32
		.amdhsa_user_sgpr_count 15
		.amdhsa_user_sgpr_dispatch_ptr 0
		.amdhsa_user_sgpr_queue_ptr 0
		.amdhsa_user_sgpr_kernarg_segment_ptr 1
		.amdhsa_user_sgpr_dispatch_id 0
		.amdhsa_user_sgpr_private_segment_size 0
		.amdhsa_wavefront_size32 1
		.amdhsa_uses_dynamic_stack 0
		.amdhsa_enable_private_segment 0
		.amdhsa_system_sgpr_workgroup_id_x 1
		.amdhsa_system_sgpr_workgroup_id_y 0
		.amdhsa_system_sgpr_workgroup_id_z 0
		.amdhsa_system_sgpr_workgroup_info 0
		.amdhsa_system_vgpr_workitem_id 0
		.amdhsa_next_free_vgpr 14
		.amdhsa_next_free_sgpr 20
		.amdhsa_reserve_vcc 1
		.amdhsa_float_round_mode_32 0
		.amdhsa_float_round_mode_16_64 0
		.amdhsa_float_denorm_mode_32 3
		.amdhsa_float_denorm_mode_16_64 3
		.amdhsa_dx10_clamp 1
		.amdhsa_ieee_mode 1
		.amdhsa_fp16_overflow 0
		.amdhsa_workgroup_processor_mode 1
		.amdhsa_memory_ordered 1
		.amdhsa_forward_progress 0
		.amdhsa_shared_vgpr_count 0
		.amdhsa_exception_fp_ieee_invalid_op 0
		.amdhsa_exception_fp_denorm_src 0
		.amdhsa_exception_fp_ieee_div_zero 0
		.amdhsa_exception_fp_ieee_overflow 0
		.amdhsa_exception_fp_ieee_underflow 0
		.amdhsa_exception_fp_ieee_inexact 0
		.amdhsa_exception_int_div_zero 0
	.end_amdhsa_kernel
	.section	.text._ZN2at6native29vectorized_elementwise_kernelILi8ENS0_13BUnaryFunctorIfffZZZNS0_12_GLOBAL__N_132hermite_polynomial_h_kernel_cudaERNS_18TensorIteratorBaseEENKUlvE_clEvENKUlvE0_clEvEUlffE_EESt5arrayIPcLm2EEEEviT0_T1_,"axG",@progbits,_ZN2at6native29vectorized_elementwise_kernelILi8ENS0_13BUnaryFunctorIfffZZZNS0_12_GLOBAL__N_132hermite_polynomial_h_kernel_cudaERNS_18TensorIteratorBaseEENKUlvE_clEvENKUlvE0_clEvEUlffE_EESt5arrayIPcLm2EEEEviT0_T1_,comdat
.Lfunc_end33:
	.size	_ZN2at6native29vectorized_elementwise_kernelILi8ENS0_13BUnaryFunctorIfffZZZNS0_12_GLOBAL__N_132hermite_polynomial_h_kernel_cudaERNS_18TensorIteratorBaseEENKUlvE_clEvENKUlvE0_clEvEUlffE_EESt5arrayIPcLm2EEEEviT0_T1_, .Lfunc_end33-_ZN2at6native29vectorized_elementwise_kernelILi8ENS0_13BUnaryFunctorIfffZZZNS0_12_GLOBAL__N_132hermite_polynomial_h_kernel_cudaERNS_18TensorIteratorBaseEENKUlvE_clEvENKUlvE0_clEvEUlffE_EESt5arrayIPcLm2EEEEviT0_T1_
                                        ; -- End function
	.section	.AMDGPU.csdata,"",@progbits
; Kernel info:
; codeLenInByte = 2756
; NumSgprs: 22
; NumVgprs: 14
; ScratchSize: 0
; MemoryBound: 0
; FloatMode: 240
; IeeeMode: 1
; LDSByteSize: 0 bytes/workgroup (compile time only)
; SGPRBlocks: 2
; VGPRBlocks: 1
; NumSGPRsForWavesPerEU: 22
; NumVGPRsForWavesPerEU: 14
; Occupancy: 16
; WaveLimiterHint : 0
; COMPUTE_PGM_RSRC2:SCRATCH_EN: 0
; COMPUTE_PGM_RSRC2:USER_SGPR: 15
; COMPUTE_PGM_RSRC2:TRAP_HANDLER: 0
; COMPUTE_PGM_RSRC2:TGID_X_EN: 1
; COMPUTE_PGM_RSRC2:TGID_Y_EN: 0
; COMPUTE_PGM_RSRC2:TGID_Z_EN: 0
; COMPUTE_PGM_RSRC2:TIDIG_COMP_CNT: 0
	.section	.text._ZN2at6native29vectorized_elementwise_kernelILi4ENS0_13BUnaryFunctorIfffZZZNS0_12_GLOBAL__N_132hermite_polynomial_h_kernel_cudaERNS_18TensorIteratorBaseEENKUlvE_clEvENKUlvE0_clEvEUlffE_EESt5arrayIPcLm2EEEEviT0_T1_,"axG",@progbits,_ZN2at6native29vectorized_elementwise_kernelILi4ENS0_13BUnaryFunctorIfffZZZNS0_12_GLOBAL__N_132hermite_polynomial_h_kernel_cudaERNS_18TensorIteratorBaseEENKUlvE_clEvENKUlvE0_clEvEUlffE_EESt5arrayIPcLm2EEEEviT0_T1_,comdat
	.globl	_ZN2at6native29vectorized_elementwise_kernelILi4ENS0_13BUnaryFunctorIfffZZZNS0_12_GLOBAL__N_132hermite_polynomial_h_kernel_cudaERNS_18TensorIteratorBaseEENKUlvE_clEvENKUlvE0_clEvEUlffE_EESt5arrayIPcLm2EEEEviT0_T1_ ; -- Begin function _ZN2at6native29vectorized_elementwise_kernelILi4ENS0_13BUnaryFunctorIfffZZZNS0_12_GLOBAL__N_132hermite_polynomial_h_kernel_cudaERNS_18TensorIteratorBaseEENKUlvE_clEvENKUlvE0_clEvEUlffE_EESt5arrayIPcLm2EEEEviT0_T1_
	.p2align	8
	.type	_ZN2at6native29vectorized_elementwise_kernelILi4ENS0_13BUnaryFunctorIfffZZZNS0_12_GLOBAL__N_132hermite_polynomial_h_kernel_cudaERNS_18TensorIteratorBaseEENKUlvE_clEvENKUlvE0_clEvEUlffE_EESt5arrayIPcLm2EEEEviT0_T1_,@function
_ZN2at6native29vectorized_elementwise_kernelILi4ENS0_13BUnaryFunctorIfffZZZNS0_12_GLOBAL__N_132hermite_polynomial_h_kernel_cudaERNS_18TensorIteratorBaseEENKUlvE_clEvENKUlvE0_clEvEUlffE_EESt5arrayIPcLm2EEEEviT0_T1_: ; @_ZN2at6native29vectorized_elementwise_kernelILi4ENS0_13BUnaryFunctorIfffZZZNS0_12_GLOBAL__N_132hermite_polynomial_h_kernel_cudaERNS_18TensorIteratorBaseEENKUlvE_clEvENKUlvE0_clEvEUlffE_EESt5arrayIPcLm2EEEEviT0_T1_
; %bb.0:
	s_clause 0x2
	s_load_b32 s3, s[0:1], 0x8
	s_load_b32 s8, s[0:1], 0x0
	s_load_b128 s[4:7], s[0:1], 0x10
	s_lshl_b32 s2, s15, 10
	s_mov_b32 s0, -1
	s_waitcnt lgkmcnt(0)
	v_trunc_f32_e32 v9, s3
	v_cmp_class_f32_e64 s15, s3, 0x1f8
	s_sub_i32 s14, s8, s2
	s_delay_alu instid0(SALU_CYCLE_1) | instskip(NEXT) | instid1(VALU_DEP_2)
	s_cmpk_gt_i32 s14, 0x3ff
	v_mul_f32_e64 v10, 0x2f800000, |v9|
	s_cbranch_scc0 .LBB34_38
; %bb.1:
	s_ashr_i32 s3, s2, 31
	v_lshlrev_b32_e32 v11, 4, v0
	s_lshl_b64 s[0:1], s[2:3], 2
	v_floor_f32_e32 v5, v10
	s_add_u32 s8, s6, s0
	s_addc_u32 s9, s7, s1
	v_readfirstlane_b32 s3, v9
	global_load_b128 v[1:4], v11, s[8:9]
	v_fma_f32 v6, 0xcf800000, v5, |v9|
	v_cvt_u32_f32_e32 v5, v5
	s_ashr_i32 s10, s3, 31
	s_delay_alu instid0(VALU_DEP_2) | instskip(NEXT) | instid1(VALU_DEP_2)
	v_cvt_u32_f32_e32 v6, v6
	v_readfirstlane_b32 s9, v5
	s_mov_b32 s11, s10
	v_mov_b32_e32 v5, 0
	s_delay_alu instid0(VALU_DEP_3) | instskip(NEXT) | instid1(VALU_DEP_1)
	v_readfirstlane_b32 s8, v6
	s_xor_b64 s[8:9], s[8:9], s[10:11]
	s_delay_alu instid0(SALU_CYCLE_1) | instskip(SKIP_4) | instid1(SALU_CYCLE_1)
	s_sub_u32 s3, s8, s10
	s_subb_u32 s8, s9, s10
	s_and_b32 s9, s15, exec_lo
	s_cselect_b32 s11, s8, -1
	s_cselect_b32 s10, s3, -1
	v_cmp_lt_i64_e64 s8, s[10:11], 0
	v_cmp_gt_i64_e64 s16, s[10:11], -1
	v_cmp_gt_u64_e64 s3, 0x81, s[10:11]
	v_cmp_lt_i64_e64 s12, s[10:11], 1
	s_delay_alu instid0(VALU_DEP_4)
	s_and_b32 vcc_lo, exec_lo, s8
	s_lshl_b64 s[8:9], s[10:11], 1
	s_cbranch_vccnz .LBB34_10
; %bb.2:
	v_mov_b32_e32 v5, 1.0
	s_delay_alu instid0(VALU_DEP_2)
	s_and_b32 vcc_lo, exec_lo, s12
	s_cbranch_vccnz .LBB34_10
; %bb.3:
	s_cmp_lg_u64 s[10:11], 1
	s_cbranch_scc0 .LBB34_8
; %bb.4:
	v_mov_b32_e32 v5, 0x7fc00000
	s_and_not1_b32 vcc_lo, exec_lo, s3
	s_cbranch_vccnz .LBB34_7
; %bb.5:
	s_waitcnt vmcnt(0)
	v_dual_add_f32 v6, v1, v1 :: v_dual_mov_b32 v7, 1.0
	s_mov_b64 s[12:13], 2
	s_delay_alu instid0(VALU_DEP_1)
	v_mov_b32_e32 v5, v6
	.p2align	6
.LBB34_6:                               ; =>This Inner Loop Header: Depth=1
	s_clz_i32_u32 s17, s13
	s_delay_alu instid0(SALU_CYCLE_1) | instskip(NEXT) | instid1(SALU_CYCLE_1)
	s_min_u32 s17, s17, 32
	s_lshl_b64 s[18:19], s[12:13], s17
	s_sub_i32 s17, 32, s17
	s_min_u32 s18, s18, 1
	s_delay_alu instid0(SALU_CYCLE_1) | instskip(SKIP_3) | instid1(VALU_DEP_1)
	s_or_b32 s18, s19, s18
	s_add_u32 s12, s12, 2
	v_cvt_f32_u32_e32 v8, s18
	s_addc_u32 s13, s13, 0
	v_ldexp_f32 v8, v8, s17
	v_cmp_lt_u64_e64 s17, s[12:13], s[8:9]
	s_delay_alu instid0(VALU_DEP_2) | instskip(NEXT) | instid1(VALU_DEP_2)
	v_dual_mul_f32 v8, v7, v8 :: v_dual_mov_b32 v7, v5
	s_and_b32 vcc_lo, exec_lo, s17
	s_delay_alu instid0(VALU_DEP_1)
	v_fma_f32 v5, v6, v5, -v8
	s_cbranch_vccnz .LBB34_6
.LBB34_7:
	s_cbranch_execz .LBB34_9
	s_branch .LBB34_10
.LBB34_8:
                                        ; implicit-def: $vgpr5
.LBB34_9:
	s_waitcnt vmcnt(0)
	v_add_f32_e32 v5, v1, v1
.LBB34_10:
	s_waitcnt vmcnt(0)
	v_cndmask_b32_e64 v1, 0, 1, s16
	v_mov_b32_e32 v6, 0
	s_and_not1_b32 vcc_lo, exec_lo, s16
	s_cbranch_vccnz .LBB34_19
; %bb.11:
	v_cmp_lt_i64_e64 s12, s[10:11], 1
	v_mov_b32_e32 v6, 1.0
	s_delay_alu instid0(VALU_DEP_2)
	s_and_b32 vcc_lo, exec_lo, s12
	s_cbranch_vccnz .LBB34_19
; %bb.12:
	s_cmp_lg_u64 s[10:11], 1
	s_cbranch_scc0 .LBB34_17
; %bb.13:
	v_mov_b32_e32 v6, 0x7fc00000
	s_and_not1_b32 vcc_lo, exec_lo, s3
	s_cbranch_vccnz .LBB34_16
; %bb.14:
	v_dual_add_f32 v7, v2, v2 :: v_dual_mov_b32 v8, 1.0
	s_mov_b64 s[12:13], 2
	s_delay_alu instid0(VALU_DEP_1)
	v_mov_b32_e32 v6, v7
	.p2align	6
.LBB34_15:                              ; =>This Inner Loop Header: Depth=1
	s_clz_i32_u32 s16, s13
	s_delay_alu instid0(SALU_CYCLE_1) | instskip(NEXT) | instid1(SALU_CYCLE_1)
	s_min_u32 s18, s16, 32
	s_lshl_b64 s[16:17], s[12:13], s18
	s_delay_alu instid0(SALU_CYCLE_1) | instskip(NEXT) | instid1(SALU_CYCLE_1)
	s_min_u32 s16, s16, 1
	s_or_b32 s16, s17, s16
	s_delay_alu instid0(SALU_CYCLE_1) | instskip(SKIP_3) | instid1(VALU_DEP_1)
	v_cvt_f32_u32_e32 v12, s16
	s_sub_i32 s16, 32, s18
	s_add_u32 s12, s12, 2
	s_addc_u32 s13, s13, 0
	v_ldexp_f32 v12, v12, s16
	v_cmp_lt_u64_e64 s16, s[12:13], s[8:9]
	s_delay_alu instid0(VALU_DEP_2) | instskip(SKIP_1) | instid1(VALU_DEP_3)
	v_mul_f32_e32 v12, v8, v12
	v_mov_b32_e32 v8, v6
	s_and_b32 vcc_lo, exec_lo, s16
	s_delay_alu instid0(VALU_DEP_2)
	v_fma_f32 v6, v7, v6, -v12
	s_cbranch_vccnz .LBB34_15
.LBB34_16:
	s_cbranch_execz .LBB34_18
	s_branch .LBB34_19
.LBB34_17:
.LBB34_18:
	v_add_f32_e32 v6, v2, v2
.LBB34_19:
	s_delay_alu instid0(VALU_DEP_2)
	v_cmp_ne_u32_e32 vcc_lo, 1, v1
	v_mov_b32_e32 v7, 0
	s_cbranch_vccnz .LBB34_28
; %bb.20:
	v_cmp_lt_i64_e64 s12, s[10:11], 1
	v_mov_b32_e32 v7, 1.0
	s_delay_alu instid0(VALU_DEP_2)
	s_and_b32 vcc_lo, exec_lo, s12
	s_cbranch_vccnz .LBB34_28
; %bb.21:
	s_cmp_lg_u64 s[10:11], 1
	s_cbranch_scc0 .LBB34_26
; %bb.22:
	v_mov_b32_e32 v7, 0x7fc00000
	s_and_not1_b32 vcc_lo, exec_lo, s3
	s_cbranch_vccnz .LBB34_25
; %bb.23:
	v_add_f32_e32 v2, v3, v3
	v_mov_b32_e32 v8, 1.0
	s_mov_b64 s[12:13], 2
	s_delay_alu instid0(VALU_DEP_2)
	v_mov_b32_e32 v7, v2
	.p2align	6
.LBB34_24:                              ; =>This Inner Loop Header: Depth=1
	s_clz_i32_u32 s16, s13
	s_delay_alu instid0(SALU_CYCLE_1) | instskip(NEXT) | instid1(SALU_CYCLE_1)
	s_min_u32 s18, s16, 32
	s_lshl_b64 s[16:17], s[12:13], s18
	s_delay_alu instid0(SALU_CYCLE_1) | instskip(NEXT) | instid1(SALU_CYCLE_1)
	s_min_u32 s16, s16, 1
	s_or_b32 s16, s17, s16
	s_delay_alu instid0(SALU_CYCLE_1) | instskip(SKIP_3) | instid1(VALU_DEP_1)
	v_cvt_f32_u32_e32 v12, s16
	s_sub_i32 s16, 32, s18
	s_add_u32 s12, s12, 2
	s_addc_u32 s13, s13, 0
	v_ldexp_f32 v12, v12, s16
	v_cmp_lt_u64_e64 s16, s[12:13], s[8:9]
	s_delay_alu instid0(VALU_DEP_2) | instskip(SKIP_1) | instid1(VALU_DEP_3)
	v_mul_f32_e32 v12, v8, v12
	v_mov_b32_e32 v8, v7
	s_and_b32 vcc_lo, exec_lo, s16
	s_delay_alu instid0(VALU_DEP_2)
	v_fma_f32 v7, v2, v7, -v12
	s_cbranch_vccnz .LBB34_24
.LBB34_25:
	s_cbranch_execz .LBB34_27
	s_branch .LBB34_28
.LBB34_26:
.LBB34_27:
	v_add_f32_e32 v7, v3, v3
.LBB34_28:
	v_cmp_ne_u32_e32 vcc_lo, 1, v1
	v_mov_b32_e32 v8, 0
	s_cbranch_vccnz .LBB34_37
; %bb.29:
	v_cmp_lt_i64_e64 s12, s[10:11], 1
	v_mov_b32_e32 v8, 1.0
	s_delay_alu instid0(VALU_DEP_2)
	s_and_b32 vcc_lo, exec_lo, s12
	s_cbranch_vccnz .LBB34_37
; %bb.30:
	s_cmp_lg_u64 s[10:11], 1
	s_cbranch_scc0 .LBB34_35
; %bb.31:
	v_mov_b32_e32 v8, 0x7fc00000
	s_and_not1_b32 vcc_lo, exec_lo, s3
	s_cbranch_vccnz .LBB34_34
; %bb.32:
	v_dual_add_f32 v1, v4, v4 :: v_dual_mov_b32 v2, 1.0
	s_mov_b64 s[10:11], 2
	s_delay_alu instid0(VALU_DEP_1)
	v_mov_b32_e32 v8, v1
	.p2align	6
.LBB34_33:                              ; =>This Inner Loop Header: Depth=1
	s_clz_i32_u32 s3, s11
	s_delay_alu instid0(SALU_CYCLE_1) | instskip(NEXT) | instid1(SALU_CYCLE_1)
	s_min_u32 s3, s3, 32
	s_lshl_b64 s[12:13], s[10:11], s3
	s_sub_i32 s3, 32, s3
	s_min_u32 s12, s12, 1
	s_delay_alu instid0(SALU_CYCLE_1) | instskip(SKIP_3) | instid1(VALU_DEP_1)
	s_or_b32 s12, s13, s12
	s_add_u32 s10, s10, 2
	v_cvt_f32_u32_e32 v3, s12
	s_addc_u32 s11, s11, 0
	v_ldexp_f32 v3, v3, s3
	v_cmp_lt_u64_e64 s3, s[10:11], s[8:9]
	s_delay_alu instid0(VALU_DEP_2) | instskip(NEXT) | instid1(VALU_DEP_2)
	v_dual_mul_f32 v3, v2, v3 :: v_dual_mov_b32 v2, v8
	s_and_b32 vcc_lo, exec_lo, s3
	s_delay_alu instid0(VALU_DEP_1)
	v_fma_f32 v8, v1, v8, -v3
	s_cbranch_vccnz .LBB34_33
.LBB34_34:
	s_cbranch_execz .LBB34_36
	s_branch .LBB34_37
.LBB34_35:
.LBB34_36:
	v_add_f32_e32 v8, v4, v4
.LBB34_37:
	s_add_u32 s8, s4, s0
	s_addc_u32 s9, s5, s1
	s_mov_b32 s0, 0
	global_store_b128 v11, v[5:8], s[8:9]
.LBB34_38:
	s_and_b32 vcc_lo, exec_lo, s0
	s_cbranch_vccz .LBB34_96
; %bb.39:
	v_cmp_gt_i32_e64 s0, s14, v0
	v_dual_mov_b32 v11, 0 :: v_dual_mov_b32 v12, 0
	v_or_b32_e32 v5, s2, v0
	v_or_b32_e32 v7, 0x100, v0
	v_mov_b32_e32 v1, v0
	s_and_saveexec_b32 s1, s0
	s_cbranch_execz .LBB34_41
; %bb.40:
	v_mov_b32_e32 v6, 0
	s_delay_alu instid0(VALU_DEP_1) | instskip(NEXT) | instid1(VALU_DEP_1)
	v_lshlrev_b64 v[1:2], 2, v[5:6]
	v_add_co_u32 v1, vcc_lo, s6, v1
	s_delay_alu instid0(VALU_DEP_2)
	v_add_co_ci_u32_e32 v2, vcc_lo, s7, v2, vcc_lo
	global_load_b32 v12, v[1:2], off
	v_or_b32_e32 v1, 0x100, v0
.LBB34_41:
	s_or_b32 exec_lo, exec_lo, s1
	s_delay_alu instid0(SALU_CYCLE_1) | instskip(NEXT) | instid1(VALU_DEP_1)
	s_mov_b32 s1, exec_lo
	v_cmpx_gt_i32_e64 s14, v1
	s_cbranch_execz .LBB34_43
; %bb.42:
	v_dual_mov_b32 v3, 0 :: v_dual_add_nc_u32 v2, s2, v1
	v_add_nc_u32_e32 v1, 0x100, v1
	s_delay_alu instid0(VALU_DEP_2) | instskip(NEXT) | instid1(VALU_DEP_1)
	v_lshlrev_b64 v[2:3], 2, v[2:3]
	v_add_co_u32 v2, vcc_lo, s6, v2
	s_delay_alu instid0(VALU_DEP_2)
	v_add_co_ci_u32_e32 v3, vcc_lo, s7, v3, vcc_lo
	global_load_b32 v11, v[2:3], off
.LBB34_43:
	s_or_b32 exec_lo, exec_lo, s1
	v_mov_b32_e32 v6, 0
	v_mov_b32_e32 v8, 0
	s_mov_b32 s1, exec_lo
	v_cmpx_gt_i32_e64 s14, v1
	s_cbranch_execz .LBB34_45
; %bb.44:
	v_dual_mov_b32 v3, 0 :: v_dual_add_nc_u32 v2, s2, v1
	v_add_nc_u32_e32 v1, 0x100, v1
	s_delay_alu instid0(VALU_DEP_2) | instskip(NEXT) | instid1(VALU_DEP_1)
	v_lshlrev_b64 v[2:3], 2, v[2:3]
	v_add_co_u32 v2, vcc_lo, s6, v2
	s_delay_alu instid0(VALU_DEP_2)
	v_add_co_ci_u32_e32 v3, vcc_lo, s7, v3, vcc_lo
	global_load_b32 v8, v[2:3], off
.LBB34_45:
	s_or_b32 exec_lo, exec_lo, s1
	s_delay_alu instid0(SALU_CYCLE_1)
	s_mov_b32 s1, exec_lo
	v_cmpx_gt_i32_e64 s14, v1
	s_cbranch_execz .LBB34_47
; %bb.46:
	v_dual_mov_b32 v2, 0 :: v_dual_add_nc_u32 v1, s2, v1
	s_delay_alu instid0(VALU_DEP_1) | instskip(NEXT) | instid1(VALU_DEP_1)
	v_lshlrev_b64 v[1:2], 2, v[1:2]
	v_add_co_u32 v1, vcc_lo, s6, v1
	s_delay_alu instid0(VALU_DEP_2)
	v_add_co_ci_u32_e32 v2, vcc_lo, s7, v2, vcc_lo
	global_load_b32 v6, v[1:2], off
.LBB34_47:
	s_or_b32 exec_lo, exec_lo, s1
	v_floor_f32_e32 v1, v10
	v_readfirstlane_b32 s1, v9
	s_delay_alu instid0(VALU_DEP_2) | instskip(SKIP_1) | instid1(VALU_DEP_3)
	v_fma_f32 v2, 0xcf800000, v1, |v9|
	v_cvt_u32_f32_e32 v1, v1
	s_ashr_i32 s8, s1, 31
	s_delay_alu instid0(SALU_CYCLE_1) | instskip(NEXT) | instid1(VALU_DEP_2)
	s_mov_b32 s9, s8
	v_cvt_u32_f32_e32 v2, v2
	s_delay_alu instid0(VALU_DEP_2) | instskip(NEXT) | instid1(VALU_DEP_2)
	v_readfirstlane_b32 s7, v1
	v_readfirstlane_b32 s6, v2
                                        ; implicit-def: $vgpr1_vgpr2_vgpr3_vgpr4
	s_delay_alu instid0(VALU_DEP_1) | instskip(NEXT) | instid1(SALU_CYCLE_1)
	s_xor_b64 s[6:7], s[6:7], s[8:9]
	s_sub_u32 s1, s6, s8
	s_subb_u32 s3, s7, s8
	s_and_b32 s6, s15, exec_lo
	s_cselect_b32 s9, s3, -1
	s_cselect_b32 s8, s1, -1
	s_delay_alu instid0(SALU_CYCLE_1) | instskip(SKIP_2) | instid1(VALU_DEP_2)
	v_cmp_gt_i64_e64 s10, s[8:9], -1
	v_cmp_gt_u64_e64 s1, 0x81, s[8:9]
	s_lshl_b64 s[6:7], s[8:9], 1
	v_cndmask_b32_e64 v9, 0, 1, s10
	s_and_saveexec_b32 s3, s0
	s_cbranch_execz .LBB34_58
; %bb.48:
	v_mov_b32_e32 v1, 0
	s_and_not1_b32 vcc_lo, exec_lo, s10
	s_cbranch_vccnz .LBB34_58
; %bb.49:
	v_cmp_lt_i64_e64 s10, s[8:9], 1
	v_mov_b32_e32 v1, 1.0
	s_delay_alu instid0(VALU_DEP_2)
	s_and_b32 vcc_lo, exec_lo, s10
	s_cbranch_vccnz .LBB34_58
; %bb.50:
	s_cmp_lg_u64 s[8:9], 1
	s_cbranch_scc0 .LBB34_55
; %bb.51:
	v_mov_b32_e32 v1, 0x7fc00000
	s_and_not1_b32 vcc_lo, exec_lo, s1
	s_cbranch_vccnz .LBB34_54
; %bb.52:
	s_waitcnt vmcnt(0)
	v_dual_add_f32 v2, v12, v12 :: v_dual_mov_b32 v3, 1.0
	s_mov_b64 s[10:11], 2
	s_delay_alu instid0(VALU_DEP_1)
	v_mov_b32_e32 v1, v2
	.p2align	6
.LBB34_53:                              ; =>This Inner Loop Header: Depth=1
	s_clz_i32_u32 s12, s11
	s_delay_alu instid0(SALU_CYCLE_1) | instskip(NEXT) | instid1(SALU_CYCLE_1)
	s_min_u32 s15, s12, 32
	s_lshl_b64 s[12:13], s[10:11], s15
	s_delay_alu instid0(SALU_CYCLE_1) | instskip(NEXT) | instid1(SALU_CYCLE_1)
	s_min_u32 s12, s12, 1
	s_or_b32 s12, s13, s12
	s_delay_alu instid0(SALU_CYCLE_1) | instskip(SKIP_3) | instid1(VALU_DEP_1)
	v_cvt_f32_u32_e32 v4, s12
	s_sub_i32 s12, 32, s15
	s_add_u32 s10, s10, 2
	s_addc_u32 s11, s11, 0
	v_ldexp_f32 v4, v4, s12
	v_cmp_lt_u64_e64 s12, s[10:11], s[6:7]
	s_delay_alu instid0(VALU_DEP_2) | instskip(NEXT) | instid1(VALU_DEP_2)
	v_dual_mul_f32 v4, v3, v4 :: v_dual_mov_b32 v3, v1
	s_and_b32 vcc_lo, exec_lo, s12
	s_delay_alu instid0(VALU_DEP_1)
	v_fma_f32 v1, v2, v1, -v4
	s_cbranch_vccnz .LBB34_53
.LBB34_54:
	s_mov_b32 s10, 0
	s_branch .LBB34_56
.LBB34_55:
	s_mov_b32 s10, -1
                                        ; implicit-def: $vgpr1
.LBB34_56:
	s_delay_alu instid0(SALU_CYCLE_1)
	s_and_not1_b32 vcc_lo, exec_lo, s10
	s_cbranch_vccnz .LBB34_58
; %bb.57:
	s_waitcnt vmcnt(0)
	v_add_f32_e32 v1, v12, v12
.LBB34_58:
	s_or_b32 exec_lo, exec_lo, s3
	s_delay_alu instid0(SALU_CYCLE_1)
	s_mov_b32 s3, exec_lo
	v_cmpx_gt_i32_e64 s14, v7
	s_cbranch_execz .LBB34_69
; %bb.59:
	v_cmp_ne_u32_e32 vcc_lo, 1, v9
	v_mov_b32_e32 v2, 0
	s_cbranch_vccnz .LBB34_69
; %bb.60:
	v_cmp_lt_i64_e64 s10, s[8:9], 1
	v_mov_b32_e32 v2, 1.0
	s_delay_alu instid0(VALU_DEP_2)
	s_and_b32 vcc_lo, exec_lo, s10
	s_cbranch_vccnz .LBB34_69
; %bb.61:
	s_cmp_lg_u64 s[8:9], 1
	s_cbranch_scc0 .LBB34_66
; %bb.62:
	v_mov_b32_e32 v2, 0x7fc00000
	s_and_not1_b32 vcc_lo, exec_lo, s1
	s_cbranch_vccnz .LBB34_65
; %bb.63:
	s_waitcnt vmcnt(0)
	v_add_f32_e32 v10, v11, v11
	v_mov_b32_e32 v12, 1.0
	s_mov_b64 s[10:11], 2
	s_delay_alu instid0(VALU_DEP_2)
	v_mov_b32_e32 v2, v10
	.p2align	6
.LBB34_64:                              ; =>This Inner Loop Header: Depth=1
	s_clz_i32_u32 s12, s11
	s_delay_alu instid0(SALU_CYCLE_1) | instskip(NEXT) | instid1(SALU_CYCLE_1)
	s_min_u32 s15, s12, 32
	s_lshl_b64 s[12:13], s[10:11], s15
	s_delay_alu instid0(SALU_CYCLE_1) | instskip(NEXT) | instid1(SALU_CYCLE_1)
	s_min_u32 s12, s12, 1
	s_or_b32 s12, s13, s12
	s_delay_alu instid0(SALU_CYCLE_1) | instskip(SKIP_3) | instid1(VALU_DEP_1)
	v_cvt_f32_u32_e32 v13, s12
	s_sub_i32 s12, 32, s15
	s_add_u32 s10, s10, 2
	s_addc_u32 s11, s11, 0
	v_ldexp_f32 v13, v13, s12
	v_cmp_lt_u64_e64 s12, s[10:11], s[6:7]
	s_delay_alu instid0(VALU_DEP_2) | instskip(NEXT) | instid1(VALU_DEP_2)
	v_dual_mul_f32 v13, v12, v13 :: v_dual_mov_b32 v12, v2
	s_and_b32 vcc_lo, exec_lo, s12
	s_delay_alu instid0(VALU_DEP_1)
	v_fma_f32 v2, v10, v2, -v13
	s_cbranch_vccnz .LBB34_64
.LBB34_65:
	s_mov_b32 s10, 0
	s_branch .LBB34_67
.LBB34_66:
	s_mov_b32 s10, -1
.LBB34_67:
	s_delay_alu instid0(SALU_CYCLE_1)
	s_and_not1_b32 vcc_lo, exec_lo, s10
	s_cbranch_vccnz .LBB34_69
; %bb.68:
	s_waitcnt vmcnt(0)
	v_add_f32_e32 v2, v11, v11
.LBB34_69:
	s_or_b32 exec_lo, exec_lo, s3
	v_or_b32_e32 v10, 0x200, v0
	s_mov_b32 s3, exec_lo
	s_delay_alu instid0(VALU_DEP_1)
	v_cmpx_gt_i32_e64 s14, v10
	s_cbranch_execz .LBB34_80
; %bb.70:
	v_cmp_ne_u32_e32 vcc_lo, 1, v9
	v_mov_b32_e32 v3, 0
	s_cbranch_vccnz .LBB34_80
; %bb.71:
	v_cmp_lt_i64_e64 s10, s[8:9], 1
	v_mov_b32_e32 v3, 1.0
	s_delay_alu instid0(VALU_DEP_2)
	s_and_b32 vcc_lo, exec_lo, s10
	s_cbranch_vccnz .LBB34_80
; %bb.72:
	s_cmp_lg_u64 s[8:9], 1
	s_cbranch_scc0 .LBB34_77
; %bb.73:
	v_mov_b32_e32 v3, 0x7fc00000
	s_and_not1_b32 vcc_lo, exec_lo, s1
	s_cbranch_vccnz .LBB34_76
; %bb.74:
	s_waitcnt vmcnt(0)
	v_dual_add_f32 v10, v8, v8 :: v_dual_mov_b32 v11, 1.0
	s_mov_b64 s[10:11], 2
	s_delay_alu instid0(VALU_DEP_1)
	v_mov_b32_e32 v3, v10
	.p2align	6
.LBB34_75:                              ; =>This Inner Loop Header: Depth=1
	s_clz_i32_u32 s12, s11
	s_delay_alu instid0(SALU_CYCLE_1) | instskip(NEXT) | instid1(SALU_CYCLE_1)
	s_min_u32 s15, s12, 32
	s_lshl_b64 s[12:13], s[10:11], s15
	s_delay_alu instid0(SALU_CYCLE_1) | instskip(NEXT) | instid1(SALU_CYCLE_1)
	s_min_u32 s12, s12, 1
	s_or_b32 s12, s13, s12
	s_delay_alu instid0(SALU_CYCLE_1) | instskip(SKIP_3) | instid1(VALU_DEP_1)
	v_cvt_f32_u32_e32 v12, s12
	s_sub_i32 s12, 32, s15
	s_add_u32 s10, s10, 2
	s_addc_u32 s11, s11, 0
	v_ldexp_f32 v12, v12, s12
	v_cmp_lt_u64_e64 s12, s[10:11], s[6:7]
	s_delay_alu instid0(VALU_DEP_2) | instskip(SKIP_1) | instid1(VALU_DEP_3)
	v_mul_f32_e32 v12, v11, v12
	v_mov_b32_e32 v11, v3
	s_and_b32 vcc_lo, exec_lo, s12
	s_delay_alu instid0(VALU_DEP_2)
	v_fma_f32 v3, v10, v3, -v12
	s_cbranch_vccnz .LBB34_75
.LBB34_76:
	s_mov_b32 s10, 0
	s_branch .LBB34_78
.LBB34_77:
	s_mov_b32 s10, -1
.LBB34_78:
	s_delay_alu instid0(SALU_CYCLE_1)
	s_and_not1_b32 vcc_lo, exec_lo, s10
	s_cbranch_vccnz .LBB34_80
; %bb.79:
	s_waitcnt vmcnt(0)
	v_add_f32_e32 v3, v8, v8
.LBB34_80:
	s_or_b32 exec_lo, exec_lo, s3
	s_waitcnt vmcnt(0)
	v_or_b32_e32 v8, 0x300, v0
	s_mov_b32 s3, exec_lo
	s_delay_alu instid0(VALU_DEP_1)
	v_cmpx_gt_i32_e64 s14, v8
	s_cbranch_execz .LBB34_91
; %bb.81:
	v_cmp_ne_u32_e32 vcc_lo, 1, v9
	v_mov_b32_e32 v4, 0
	s_cbranch_vccnz .LBB34_91
; %bb.82:
	v_cmp_lt_i64_e64 s10, s[8:9], 1
	v_mov_b32_e32 v4, 1.0
	s_delay_alu instid0(VALU_DEP_2)
	s_and_b32 vcc_lo, exec_lo, s10
	s_cbranch_vccnz .LBB34_91
; %bb.83:
	s_cmp_lg_u64 s[8:9], 1
	s_cbranch_scc0 .LBB34_88
; %bb.84:
	v_mov_b32_e32 v4, 0x7fc00000
	s_and_not1_b32 vcc_lo, exec_lo, s1
	s_cbranch_vccnz .LBB34_87
; %bb.85:
	v_dual_add_f32 v8, v6, v6 :: v_dual_mov_b32 v9, 1.0
	s_mov_b64 s[8:9], 2
	s_delay_alu instid0(VALU_DEP_1)
	v_mov_b32_e32 v4, v8
	.p2align	6
.LBB34_86:                              ; =>This Inner Loop Header: Depth=1
	s_clz_i32_u32 s1, s9
	s_delay_alu instid0(SALU_CYCLE_1) | instskip(NEXT) | instid1(SALU_CYCLE_1)
	s_min_u32 s1, s1, 32
	s_lshl_b64 s[10:11], s[8:9], s1
	s_sub_i32 s1, 32, s1
	s_min_u32 s10, s10, 1
	s_delay_alu instid0(SALU_CYCLE_1) | instskip(SKIP_3) | instid1(VALU_DEP_1)
	s_or_b32 s10, s11, s10
	s_add_u32 s8, s8, 2
	v_cvt_f32_u32_e32 v10, s10
	s_addc_u32 s9, s9, 0
	v_ldexp_f32 v10, v10, s1
	v_cmp_lt_u64_e64 s1, s[8:9], s[6:7]
	s_delay_alu instid0(VALU_DEP_2) | instskip(NEXT) | instid1(VALU_DEP_2)
	v_dual_mul_f32 v10, v9, v10 :: v_dual_mov_b32 v9, v4
	s_and_b32 vcc_lo, exec_lo, s1
	s_delay_alu instid0(VALU_DEP_1)
	v_fma_f32 v4, v8, v4, -v10
	s_cbranch_vccnz .LBB34_86
.LBB34_87:
	s_mov_b32 s1, 0
	s_branch .LBB34_89
.LBB34_88:
	s_mov_b32 s1, -1
.LBB34_89:
	s_delay_alu instid0(SALU_CYCLE_1)
	s_and_not1_b32 vcc_lo, exec_lo, s1
	s_cbranch_vccnz .LBB34_91
; %bb.90:
	v_add_f32_e32 v4, v6, v6
.LBB34_91:
	s_or_b32 exec_lo, exec_lo, s3
	s_and_saveexec_b32 s1, s0
	s_delay_alu instid0(SALU_CYCLE_1)
	s_xor_b32 s0, exec_lo, s1
	s_cbranch_execnz .LBB34_97
; %bb.92:
	s_or_b32 exec_lo, exec_lo, s0
	s_delay_alu instid0(SALU_CYCLE_1)
	s_mov_b32 s0, exec_lo
	v_cmpx_gt_i32_e64 s14, v0
	s_cbranch_execnz .LBB34_98
.LBB34_93:
	s_or_b32 exec_lo, exec_lo, s0
	s_delay_alu instid0(SALU_CYCLE_1)
	s_mov_b32 s0, exec_lo
	v_cmpx_gt_i32_e64 s14, v0
	s_cbranch_execnz .LBB34_99
.LBB34_94:
	s_or_b32 exec_lo, exec_lo, s0
	s_delay_alu instid0(SALU_CYCLE_1)
	s_mov_b32 s0, exec_lo
	v_cmpx_gt_i32_e64 s14, v0
	s_cbranch_execz .LBB34_96
.LBB34_95:
	v_dual_mov_b32 v1, 0 :: v_dual_add_nc_u32 v0, s2, v0
	s_delay_alu instid0(VALU_DEP_1) | instskip(NEXT) | instid1(VALU_DEP_1)
	v_lshlrev_b64 v[0:1], 2, v[0:1]
	v_add_co_u32 v0, vcc_lo, s4, v0
	s_delay_alu instid0(VALU_DEP_2)
	v_add_co_ci_u32_e32 v1, vcc_lo, s5, v1, vcc_lo
	global_store_b32 v[0:1], v4, off
.LBB34_96:
	s_nop 0
	s_sendmsg sendmsg(MSG_DEALLOC_VGPRS)
	s_endpgm
.LBB34_97:
	v_mov_b32_e32 v6, 0
	v_mov_b32_e32 v0, v7
	s_delay_alu instid0(VALU_DEP_2) | instskip(NEXT) | instid1(VALU_DEP_1)
	v_lshlrev_b64 v[5:6], 2, v[5:6]
	v_add_co_u32 v5, vcc_lo, s4, v5
	s_delay_alu instid0(VALU_DEP_2) | instskip(SKIP_2) | instid1(SALU_CYCLE_1)
	v_add_co_ci_u32_e32 v6, vcc_lo, s5, v6, vcc_lo
	global_store_b32 v[5:6], v1, off
	s_or_b32 exec_lo, exec_lo, s0
	s_mov_b32 s0, exec_lo
	v_cmpx_gt_i32_e64 s14, v0
	s_cbranch_execz .LBB34_93
.LBB34_98:
	v_dual_mov_b32 v6, 0 :: v_dual_add_nc_u32 v5, s2, v0
	v_add_nc_u32_e32 v0, 0x100, v0
	s_delay_alu instid0(VALU_DEP_2) | instskip(NEXT) | instid1(VALU_DEP_1)
	v_lshlrev_b64 v[5:6], 2, v[5:6]
	v_add_co_u32 v5, vcc_lo, s4, v5
	s_delay_alu instid0(VALU_DEP_2) | instskip(SKIP_2) | instid1(SALU_CYCLE_1)
	v_add_co_ci_u32_e32 v6, vcc_lo, s5, v6, vcc_lo
	global_store_b32 v[5:6], v2, off
	s_or_b32 exec_lo, exec_lo, s0
	s_mov_b32 s0, exec_lo
	v_cmpx_gt_i32_e64 s14, v0
	s_cbranch_execz .LBB34_94
.LBB34_99:
	v_dual_mov_b32 v2, 0 :: v_dual_add_nc_u32 v1, s2, v0
	v_add_nc_u32_e32 v0, 0x100, v0
	s_delay_alu instid0(VALU_DEP_2) | instskip(NEXT) | instid1(VALU_DEP_1)
	v_lshlrev_b64 v[1:2], 2, v[1:2]
	v_add_co_u32 v1, vcc_lo, s4, v1
	s_delay_alu instid0(VALU_DEP_2) | instskip(SKIP_2) | instid1(SALU_CYCLE_1)
	v_add_co_ci_u32_e32 v2, vcc_lo, s5, v2, vcc_lo
	global_store_b32 v[1:2], v3, off
	s_or_b32 exec_lo, exec_lo, s0
	s_mov_b32 s0, exec_lo
	v_cmpx_gt_i32_e64 s14, v0
	s_cbranch_execnz .LBB34_95
	s_branch .LBB34_96
	.section	.rodata,"a",@progbits
	.p2align	6, 0x0
	.amdhsa_kernel _ZN2at6native29vectorized_elementwise_kernelILi4ENS0_13BUnaryFunctorIfffZZZNS0_12_GLOBAL__N_132hermite_polynomial_h_kernel_cudaERNS_18TensorIteratorBaseEENKUlvE_clEvENKUlvE0_clEvEUlffE_EESt5arrayIPcLm2EEEEviT0_T1_
		.amdhsa_group_segment_fixed_size 0
		.amdhsa_private_segment_fixed_size 0
		.amdhsa_kernarg_size 32
		.amdhsa_user_sgpr_count 15
		.amdhsa_user_sgpr_dispatch_ptr 0
		.amdhsa_user_sgpr_queue_ptr 0
		.amdhsa_user_sgpr_kernarg_segment_ptr 1
		.amdhsa_user_sgpr_dispatch_id 0
		.amdhsa_user_sgpr_private_segment_size 0
		.amdhsa_wavefront_size32 1
		.amdhsa_uses_dynamic_stack 0
		.amdhsa_enable_private_segment 0
		.amdhsa_system_sgpr_workgroup_id_x 1
		.amdhsa_system_sgpr_workgroup_id_y 0
		.amdhsa_system_sgpr_workgroup_id_z 0
		.amdhsa_system_sgpr_workgroup_info 0
		.amdhsa_system_vgpr_workitem_id 0
		.amdhsa_next_free_vgpr 14
		.amdhsa_next_free_sgpr 20
		.amdhsa_reserve_vcc 1
		.amdhsa_float_round_mode_32 0
		.amdhsa_float_round_mode_16_64 0
		.amdhsa_float_denorm_mode_32 3
		.amdhsa_float_denorm_mode_16_64 3
		.amdhsa_dx10_clamp 1
		.amdhsa_ieee_mode 1
		.amdhsa_fp16_overflow 0
		.amdhsa_workgroup_processor_mode 1
		.amdhsa_memory_ordered 1
		.amdhsa_forward_progress 0
		.amdhsa_shared_vgpr_count 0
		.amdhsa_exception_fp_ieee_invalid_op 0
		.amdhsa_exception_fp_denorm_src 0
		.amdhsa_exception_fp_ieee_div_zero 0
		.amdhsa_exception_fp_ieee_overflow 0
		.amdhsa_exception_fp_ieee_underflow 0
		.amdhsa_exception_fp_ieee_inexact 0
		.amdhsa_exception_int_div_zero 0
	.end_amdhsa_kernel
	.section	.text._ZN2at6native29vectorized_elementwise_kernelILi4ENS0_13BUnaryFunctorIfffZZZNS0_12_GLOBAL__N_132hermite_polynomial_h_kernel_cudaERNS_18TensorIteratorBaseEENKUlvE_clEvENKUlvE0_clEvEUlffE_EESt5arrayIPcLm2EEEEviT0_T1_,"axG",@progbits,_ZN2at6native29vectorized_elementwise_kernelILi4ENS0_13BUnaryFunctorIfffZZZNS0_12_GLOBAL__N_132hermite_polynomial_h_kernel_cudaERNS_18TensorIteratorBaseEENKUlvE_clEvENKUlvE0_clEvEUlffE_EESt5arrayIPcLm2EEEEviT0_T1_,comdat
.Lfunc_end34:
	.size	_ZN2at6native29vectorized_elementwise_kernelILi4ENS0_13BUnaryFunctorIfffZZZNS0_12_GLOBAL__N_132hermite_polynomial_h_kernel_cudaERNS_18TensorIteratorBaseEENKUlvE_clEvENKUlvE0_clEvEUlffE_EESt5arrayIPcLm2EEEEviT0_T1_, .Lfunc_end34-_ZN2at6native29vectorized_elementwise_kernelILi4ENS0_13BUnaryFunctorIfffZZZNS0_12_GLOBAL__N_132hermite_polynomial_h_kernel_cudaERNS_18TensorIteratorBaseEENKUlvE_clEvENKUlvE0_clEvEUlffE_EESt5arrayIPcLm2EEEEviT0_T1_
                                        ; -- End function
	.section	.AMDGPU.csdata,"",@progbits
; Kernel info:
; codeLenInByte = 2756
; NumSgprs: 22
; NumVgprs: 14
; ScratchSize: 0
; MemoryBound: 0
; FloatMode: 240
; IeeeMode: 1
; LDSByteSize: 0 bytes/workgroup (compile time only)
; SGPRBlocks: 2
; VGPRBlocks: 1
; NumSGPRsForWavesPerEU: 22
; NumVGPRsForWavesPerEU: 14
; Occupancy: 16
; WaveLimiterHint : 0
; COMPUTE_PGM_RSRC2:SCRATCH_EN: 0
; COMPUTE_PGM_RSRC2:USER_SGPR: 15
; COMPUTE_PGM_RSRC2:TRAP_HANDLER: 0
; COMPUTE_PGM_RSRC2:TGID_X_EN: 1
; COMPUTE_PGM_RSRC2:TGID_Y_EN: 0
; COMPUTE_PGM_RSRC2:TGID_Z_EN: 0
; COMPUTE_PGM_RSRC2:TIDIG_COMP_CNT: 0
	.section	.text._ZN2at6native29vectorized_elementwise_kernelILi2ENS0_13BUnaryFunctorIfffZZZNS0_12_GLOBAL__N_132hermite_polynomial_h_kernel_cudaERNS_18TensorIteratorBaseEENKUlvE_clEvENKUlvE0_clEvEUlffE_EESt5arrayIPcLm2EEEEviT0_T1_,"axG",@progbits,_ZN2at6native29vectorized_elementwise_kernelILi2ENS0_13BUnaryFunctorIfffZZZNS0_12_GLOBAL__N_132hermite_polynomial_h_kernel_cudaERNS_18TensorIteratorBaseEENKUlvE_clEvENKUlvE0_clEvEUlffE_EESt5arrayIPcLm2EEEEviT0_T1_,comdat
	.globl	_ZN2at6native29vectorized_elementwise_kernelILi2ENS0_13BUnaryFunctorIfffZZZNS0_12_GLOBAL__N_132hermite_polynomial_h_kernel_cudaERNS_18TensorIteratorBaseEENKUlvE_clEvENKUlvE0_clEvEUlffE_EESt5arrayIPcLm2EEEEviT0_T1_ ; -- Begin function _ZN2at6native29vectorized_elementwise_kernelILi2ENS0_13BUnaryFunctorIfffZZZNS0_12_GLOBAL__N_132hermite_polynomial_h_kernel_cudaERNS_18TensorIteratorBaseEENKUlvE_clEvENKUlvE0_clEvEUlffE_EESt5arrayIPcLm2EEEEviT0_T1_
	.p2align	8
	.type	_ZN2at6native29vectorized_elementwise_kernelILi2ENS0_13BUnaryFunctorIfffZZZNS0_12_GLOBAL__N_132hermite_polynomial_h_kernel_cudaERNS_18TensorIteratorBaseEENKUlvE_clEvENKUlvE0_clEvEUlffE_EESt5arrayIPcLm2EEEEviT0_T1_,@function
_ZN2at6native29vectorized_elementwise_kernelILi2ENS0_13BUnaryFunctorIfffZZZNS0_12_GLOBAL__N_132hermite_polynomial_h_kernel_cudaERNS_18TensorIteratorBaseEENKUlvE_clEvENKUlvE0_clEvEUlffE_EESt5arrayIPcLm2EEEEviT0_T1_: ; @_ZN2at6native29vectorized_elementwise_kernelILi2ENS0_13BUnaryFunctorIfffZZZNS0_12_GLOBAL__N_132hermite_polynomial_h_kernel_cudaERNS_18TensorIteratorBaseEENKUlvE_clEvENKUlvE0_clEvEUlffE_EESt5arrayIPcLm2EEEEviT0_T1_
; %bb.0:
	s_clause 0x2
	s_load_b32 s3, s[0:1], 0x8
	s_load_b32 s8, s[0:1], 0x0
	s_load_b128 s[4:7], s[0:1], 0x10
	s_lshl_b32 s2, s15, 10
	s_mov_b32 s0, -1
	s_waitcnt lgkmcnt(0)
	v_trunc_f32_e32 v8, s3
	v_cmp_class_f32_e64 s15, s3, 0x1f8
	s_sub_i32 s14, s8, s2
	s_delay_alu instid0(SALU_CYCLE_1) | instskip(NEXT) | instid1(VALU_DEP_2)
	s_cmpk_gt_i32 s14, 0x3ff
	v_mul_f32_e64 v9, 0x2f800000, |v8|
	s_cbranch_scc0 .LBB35_38
; %bb.1:
	s_ashr_i32 s3, s2, 31
	v_lshlrev_b32_e32 v7, 3, v0
	s_lshl_b64 s[0:1], s[2:3], 2
	v_floor_f32_e32 v3, v9
	s_add_u32 s8, s6, s0
	s_addc_u32 s9, s7, s1
	v_readfirstlane_b32 s3, v8
	s_clause 0x1
	global_load_b64 v[4:5], v7, s[8:9]
	global_load_b64 v[1:2], v7, s[8:9] offset:2048
	v_fma_f32 v6, 0xcf800000, v3, |v8|
	v_cvt_u32_f32_e32 v3, v3
	s_ashr_i32 s10, s3, 31
	s_delay_alu instid0(VALU_DEP_2) | instskip(NEXT) | instid1(VALU_DEP_2)
	v_cvt_u32_f32_e32 v6, v6
	v_readfirstlane_b32 s9, v3
	s_mov_b32 s11, s10
	v_mov_b32_e32 v3, 0
	s_delay_alu instid0(VALU_DEP_3) | instskip(NEXT) | instid1(VALU_DEP_1)
	v_readfirstlane_b32 s8, v6
	s_xor_b64 s[8:9], s[8:9], s[10:11]
	s_delay_alu instid0(SALU_CYCLE_1) | instskip(SKIP_4) | instid1(SALU_CYCLE_1)
	s_sub_u32 s3, s8, s10
	s_subb_u32 s8, s9, s10
	s_and_b32 s9, s15, exec_lo
	s_cselect_b32 s11, s8, -1
	s_cselect_b32 s10, s3, -1
	v_cmp_lt_i64_e64 s8, s[10:11], 0
	v_cmp_gt_i64_e64 s16, s[10:11], -1
	v_cmp_gt_u64_e64 s3, 0x81, s[10:11]
	v_cmp_lt_i64_e64 s12, s[10:11], 1
	s_delay_alu instid0(VALU_DEP_4)
	s_and_b32 vcc_lo, exec_lo, s8
	s_lshl_b64 s[8:9], s[10:11], 1
	s_cbranch_vccnz .LBB35_10
; %bb.2:
	v_mov_b32_e32 v3, 1.0
	s_delay_alu instid0(VALU_DEP_2)
	s_and_b32 vcc_lo, exec_lo, s12
	s_cbranch_vccnz .LBB35_10
; %bb.3:
	s_cmp_lg_u64 s[10:11], 1
	s_cbranch_scc0 .LBB35_8
; %bb.4:
	v_mov_b32_e32 v3, 0x7fc00000
	s_and_not1_b32 vcc_lo, exec_lo, s3
	s_cbranch_vccnz .LBB35_7
; %bb.5:
	s_waitcnt vmcnt(1)
	v_add_f32_e32 v6, v4, v4
	v_mov_b32_e32 v10, 1.0
	s_mov_b64 s[12:13], 2
	s_delay_alu instid0(VALU_DEP_2)
	v_mov_b32_e32 v3, v6
	.p2align	6
.LBB35_6:                               ; =>This Inner Loop Header: Depth=1
	s_clz_i32_u32 s17, s13
	s_delay_alu instid0(SALU_CYCLE_1) | instskip(NEXT) | instid1(SALU_CYCLE_1)
	s_min_u32 s17, s17, 32
	s_lshl_b64 s[18:19], s[12:13], s17
	s_sub_i32 s17, 32, s17
	s_min_u32 s18, s18, 1
	s_delay_alu instid0(SALU_CYCLE_1) | instskip(SKIP_3) | instid1(VALU_DEP_1)
	s_or_b32 s18, s19, s18
	s_add_u32 s12, s12, 2
	v_cvt_f32_u32_e32 v11, s18
	s_addc_u32 s13, s13, 0
	v_ldexp_f32 v11, v11, s17
	v_cmp_lt_u64_e64 s17, s[12:13], s[8:9]
	s_delay_alu instid0(VALU_DEP_2) | instskip(NEXT) | instid1(VALU_DEP_2)
	v_dual_mul_f32 v11, v10, v11 :: v_dual_mov_b32 v10, v3
	s_and_b32 vcc_lo, exec_lo, s17
	s_delay_alu instid0(VALU_DEP_1)
	v_fma_f32 v3, v6, v3, -v11
	s_cbranch_vccnz .LBB35_6
.LBB35_7:
	s_cbranch_execz .LBB35_9
	s_branch .LBB35_10
.LBB35_8:
                                        ; implicit-def: $vgpr3
.LBB35_9:
	s_waitcnt vmcnt(1)
	v_add_f32_e32 v3, v4, v4
.LBB35_10:
	v_cndmask_b32_e64 v6, 0, 1, s16
	s_waitcnt vmcnt(1)
	v_mov_b32_e32 v4, 0
	s_and_not1_b32 vcc_lo, exec_lo, s16
	s_cbranch_vccnz .LBB35_19
; %bb.11:
	v_cmp_lt_i64_e64 s12, s[10:11], 1
	v_mov_b32_e32 v4, 1.0
	s_delay_alu instid0(VALU_DEP_2)
	s_and_b32 vcc_lo, exec_lo, s12
	s_cbranch_vccnz .LBB35_19
; %bb.12:
	s_cmp_lg_u64 s[10:11], 1
	s_cbranch_scc0 .LBB35_17
; %bb.13:
	v_mov_b32_e32 v4, 0x7fc00000
	s_and_not1_b32 vcc_lo, exec_lo, s3
	s_cbranch_vccnz .LBB35_16
; %bb.14:
	v_dual_add_f32 v10, v5, v5 :: v_dual_mov_b32 v11, 1.0
	s_mov_b64 s[12:13], 2
	s_delay_alu instid0(VALU_DEP_1)
	v_mov_b32_e32 v4, v10
	.p2align	6
.LBB35_15:                              ; =>This Inner Loop Header: Depth=1
	s_clz_i32_u32 s16, s13
	s_delay_alu instid0(SALU_CYCLE_1) | instskip(NEXT) | instid1(SALU_CYCLE_1)
	s_min_u32 s18, s16, 32
	s_lshl_b64 s[16:17], s[12:13], s18
	s_delay_alu instid0(SALU_CYCLE_1) | instskip(NEXT) | instid1(SALU_CYCLE_1)
	s_min_u32 s16, s16, 1
	s_or_b32 s16, s17, s16
	s_delay_alu instid0(SALU_CYCLE_1) | instskip(SKIP_3) | instid1(VALU_DEP_1)
	v_cvt_f32_u32_e32 v12, s16
	s_sub_i32 s16, 32, s18
	s_add_u32 s12, s12, 2
	s_addc_u32 s13, s13, 0
	v_ldexp_f32 v12, v12, s16
	v_cmp_lt_u64_e64 s16, s[12:13], s[8:9]
	s_delay_alu instid0(VALU_DEP_2) | instskip(NEXT) | instid1(VALU_DEP_2)
	v_dual_mul_f32 v12, v11, v12 :: v_dual_mov_b32 v11, v4
	s_and_b32 vcc_lo, exec_lo, s16
	s_delay_alu instid0(VALU_DEP_1)
	v_fma_f32 v4, v10, v4, -v12
	s_cbranch_vccnz .LBB35_15
.LBB35_16:
	s_cbranch_execz .LBB35_18
	s_branch .LBB35_19
.LBB35_17:
.LBB35_18:
	v_add_f32_e32 v4, v5, v5
.LBB35_19:
	v_cmp_ne_u32_e32 vcc_lo, 1, v6
	v_mov_b32_e32 v5, 0
	s_cbranch_vccnz .LBB35_28
; %bb.20:
	v_cmp_lt_i64_e64 s12, s[10:11], 1
	v_mov_b32_e32 v5, 1.0
	s_delay_alu instid0(VALU_DEP_2)
	s_and_b32 vcc_lo, exec_lo, s12
	s_cbranch_vccnz .LBB35_28
; %bb.21:
	s_cmp_lg_u64 s[10:11], 1
	s_cbranch_scc0 .LBB35_26
; %bb.22:
	v_mov_b32_e32 v5, 0x7fc00000
	s_and_not1_b32 vcc_lo, exec_lo, s3
	s_cbranch_vccnz .LBB35_25
; %bb.23:
	s_waitcnt vmcnt(0)
	v_dual_add_f32 v10, v1, v1 :: v_dual_mov_b32 v11, 1.0
	s_mov_b64 s[12:13], 2
	s_delay_alu instid0(VALU_DEP_1)
	v_mov_b32_e32 v5, v10
	.p2align	6
.LBB35_24:                              ; =>This Inner Loop Header: Depth=1
	s_clz_i32_u32 s16, s13
	s_delay_alu instid0(SALU_CYCLE_1) | instskip(NEXT) | instid1(SALU_CYCLE_1)
	s_min_u32 s18, s16, 32
	s_lshl_b64 s[16:17], s[12:13], s18
	s_delay_alu instid0(SALU_CYCLE_1) | instskip(NEXT) | instid1(SALU_CYCLE_1)
	s_min_u32 s16, s16, 1
	s_or_b32 s16, s17, s16
	s_delay_alu instid0(SALU_CYCLE_1) | instskip(SKIP_3) | instid1(VALU_DEP_1)
	v_cvt_f32_u32_e32 v12, s16
	s_sub_i32 s16, 32, s18
	s_add_u32 s12, s12, 2
	s_addc_u32 s13, s13, 0
	v_ldexp_f32 v12, v12, s16
	v_cmp_lt_u64_e64 s16, s[12:13], s[8:9]
	s_delay_alu instid0(VALU_DEP_2) | instskip(NEXT) | instid1(VALU_DEP_2)
	v_dual_mul_f32 v12, v11, v12 :: v_dual_mov_b32 v11, v5
	s_and_b32 vcc_lo, exec_lo, s16
	s_delay_alu instid0(VALU_DEP_1)
	v_fma_f32 v5, v10, v5, -v12
	s_cbranch_vccnz .LBB35_24
.LBB35_25:
	s_cbranch_execz .LBB35_27
	s_branch .LBB35_28
.LBB35_26:
                                        ; implicit-def: $vgpr5
.LBB35_27:
	s_waitcnt vmcnt(0)
	v_add_f32_e32 v5, v1, v1
.LBB35_28:
	v_cmp_ne_u32_e32 vcc_lo, 1, v6
	v_mov_b32_e32 v6, 0
	s_cbranch_vccnz .LBB35_37
; %bb.29:
	v_cmp_lt_i64_e64 s12, s[10:11], 1
	v_mov_b32_e32 v6, 1.0
	s_delay_alu instid0(VALU_DEP_2)
	s_and_b32 vcc_lo, exec_lo, s12
	s_cbranch_vccnz .LBB35_37
; %bb.30:
	s_cmp_lg_u64 s[10:11], 1
	s_cbranch_scc0 .LBB35_35
; %bb.31:
	v_mov_b32_e32 v6, 0x7fc00000
	s_and_not1_b32 vcc_lo, exec_lo, s3
	s_cbranch_vccnz .LBB35_34
; %bb.32:
	s_waitcnt vmcnt(0)
	v_dual_add_f32 v1, v2, v2 :: v_dual_mov_b32 v10, 1.0
	s_mov_b64 s[10:11], 2
	s_delay_alu instid0(VALU_DEP_1)
	v_mov_b32_e32 v6, v1
	.p2align	6
.LBB35_33:                              ; =>This Inner Loop Header: Depth=1
	s_clz_i32_u32 s3, s11
	s_delay_alu instid0(SALU_CYCLE_1) | instskip(NEXT) | instid1(SALU_CYCLE_1)
	s_min_u32 s3, s3, 32
	s_lshl_b64 s[12:13], s[10:11], s3
	s_sub_i32 s3, 32, s3
	s_min_u32 s12, s12, 1
	s_delay_alu instid0(SALU_CYCLE_1) | instskip(SKIP_3) | instid1(VALU_DEP_1)
	s_or_b32 s12, s13, s12
	s_add_u32 s10, s10, 2
	v_cvt_f32_u32_e32 v11, s12
	s_addc_u32 s11, s11, 0
	v_ldexp_f32 v11, v11, s3
	v_cmp_lt_u64_e64 s3, s[10:11], s[8:9]
	s_delay_alu instid0(VALU_DEP_2) | instskip(SKIP_1) | instid1(VALU_DEP_3)
	v_mul_f32_e32 v11, v10, v11
	v_mov_b32_e32 v10, v6
	s_and_b32 vcc_lo, exec_lo, s3
	s_delay_alu instid0(VALU_DEP_2)
	v_fma_f32 v6, v1, v6, -v11
	s_cbranch_vccnz .LBB35_33
.LBB35_34:
	s_cbranch_execz .LBB35_36
	s_branch .LBB35_37
.LBB35_35:
.LBB35_36:
	s_waitcnt vmcnt(0)
	v_add_f32_e32 v6, v2, v2
.LBB35_37:
	s_add_u32 s8, s4, s0
	s_addc_u32 s9, s5, s1
	s_mov_b32 s0, 0
	s_clause 0x1
	global_store_b64 v7, v[3:4], s[8:9]
	global_store_b64 v7, v[5:6], s[8:9] offset:2048
.LBB35_38:
	s_and_b32 vcc_lo, exec_lo, s0
	s_cbranch_vccz .LBB35_96
; %bb.39:
	v_cmp_gt_i32_e64 s0, s14, v0
	v_dual_mov_b32 v11, 0 :: v_dual_mov_b32 v12, 0
	v_or_b32_e32 v5, s2, v0
	v_or_b32_e32 v7, 0x100, v0
	s_waitcnt vmcnt(0)
	v_mov_b32_e32 v1, v0
	s_and_saveexec_b32 s1, s0
	s_cbranch_execz .LBB35_41
; %bb.40:
	v_mov_b32_e32 v6, 0
	s_delay_alu instid0(VALU_DEP_1) | instskip(NEXT) | instid1(VALU_DEP_1)
	v_lshlrev_b64 v[1:2], 2, v[5:6]
	v_add_co_u32 v1, vcc_lo, s6, v1
	s_delay_alu instid0(VALU_DEP_2)
	v_add_co_ci_u32_e32 v2, vcc_lo, s7, v2, vcc_lo
	global_load_b32 v12, v[1:2], off
	v_or_b32_e32 v1, 0x100, v0
.LBB35_41:
	s_or_b32 exec_lo, exec_lo, s1
	s_delay_alu instid0(SALU_CYCLE_1) | instskip(NEXT) | instid1(VALU_DEP_1)
	s_mov_b32 s1, exec_lo
	v_cmpx_gt_i32_e64 s14, v1
	s_cbranch_execz .LBB35_43
; %bb.42:
	v_dual_mov_b32 v3, 0 :: v_dual_add_nc_u32 v2, s2, v1
	v_add_nc_u32_e32 v1, 0x100, v1
	s_delay_alu instid0(VALU_DEP_2) | instskip(NEXT) | instid1(VALU_DEP_1)
	v_lshlrev_b64 v[2:3], 2, v[2:3]
	v_add_co_u32 v2, vcc_lo, s6, v2
	s_delay_alu instid0(VALU_DEP_2)
	v_add_co_ci_u32_e32 v3, vcc_lo, s7, v3, vcc_lo
	global_load_b32 v11, v[2:3], off
.LBB35_43:
	s_or_b32 exec_lo, exec_lo, s1
	v_mov_b32_e32 v6, 0
	v_mov_b32_e32 v10, 0
	s_mov_b32 s1, exec_lo
	v_cmpx_gt_i32_e64 s14, v1
	s_cbranch_execz .LBB35_45
; %bb.44:
	v_dual_mov_b32 v3, 0 :: v_dual_add_nc_u32 v2, s2, v1
	v_add_nc_u32_e32 v1, 0x100, v1
	s_delay_alu instid0(VALU_DEP_2) | instskip(NEXT) | instid1(VALU_DEP_1)
	v_lshlrev_b64 v[2:3], 2, v[2:3]
	v_add_co_u32 v2, vcc_lo, s6, v2
	s_delay_alu instid0(VALU_DEP_2)
	v_add_co_ci_u32_e32 v3, vcc_lo, s7, v3, vcc_lo
	global_load_b32 v10, v[2:3], off
.LBB35_45:
	s_or_b32 exec_lo, exec_lo, s1
	s_delay_alu instid0(SALU_CYCLE_1)
	s_mov_b32 s1, exec_lo
	v_cmpx_gt_i32_e64 s14, v1
	s_cbranch_execz .LBB35_47
; %bb.46:
	v_dual_mov_b32 v2, 0 :: v_dual_add_nc_u32 v1, s2, v1
	s_delay_alu instid0(VALU_DEP_1) | instskip(NEXT) | instid1(VALU_DEP_1)
	v_lshlrev_b64 v[1:2], 2, v[1:2]
	v_add_co_u32 v1, vcc_lo, s6, v1
	s_delay_alu instid0(VALU_DEP_2)
	v_add_co_ci_u32_e32 v2, vcc_lo, s7, v2, vcc_lo
	global_load_b32 v6, v[1:2], off
.LBB35_47:
	s_or_b32 exec_lo, exec_lo, s1
	v_floor_f32_e32 v1, v9
	v_readfirstlane_b32 s1, v8
	s_delay_alu instid0(VALU_DEP_2) | instskip(SKIP_1) | instid1(VALU_DEP_3)
	v_fma_f32 v2, 0xcf800000, v1, |v8|
	v_cvt_u32_f32_e32 v1, v1
	s_ashr_i32 s8, s1, 31
	s_delay_alu instid0(SALU_CYCLE_1) | instskip(NEXT) | instid1(VALU_DEP_2)
	s_mov_b32 s9, s8
	v_cvt_u32_f32_e32 v2, v2
	s_delay_alu instid0(VALU_DEP_2) | instskip(NEXT) | instid1(VALU_DEP_2)
	v_readfirstlane_b32 s7, v1
	v_readfirstlane_b32 s6, v2
                                        ; implicit-def: $vgpr1_vgpr2_vgpr3_vgpr4
	s_delay_alu instid0(VALU_DEP_1) | instskip(NEXT) | instid1(SALU_CYCLE_1)
	s_xor_b64 s[6:7], s[6:7], s[8:9]
	s_sub_u32 s1, s6, s8
	s_subb_u32 s3, s7, s8
	s_and_b32 s6, s15, exec_lo
	s_cselect_b32 s9, s3, -1
	s_cselect_b32 s8, s1, -1
	s_delay_alu instid0(SALU_CYCLE_1) | instskip(SKIP_2) | instid1(VALU_DEP_2)
	v_cmp_gt_i64_e64 s10, s[8:9], -1
	v_cmp_gt_u64_e64 s1, 0x81, s[8:9]
	s_lshl_b64 s[6:7], s[8:9], 1
	v_cndmask_b32_e64 v8, 0, 1, s10
	s_and_saveexec_b32 s3, s0
	s_cbranch_execz .LBB35_58
; %bb.48:
	v_mov_b32_e32 v1, 0
	s_and_not1_b32 vcc_lo, exec_lo, s10
	s_cbranch_vccnz .LBB35_58
; %bb.49:
	v_cmp_lt_i64_e64 s10, s[8:9], 1
	v_mov_b32_e32 v1, 1.0
	s_delay_alu instid0(VALU_DEP_2)
	s_and_b32 vcc_lo, exec_lo, s10
	s_cbranch_vccnz .LBB35_58
; %bb.50:
	s_cmp_lg_u64 s[8:9], 1
	s_cbranch_scc0 .LBB35_55
; %bb.51:
	v_mov_b32_e32 v1, 0x7fc00000
	s_and_not1_b32 vcc_lo, exec_lo, s1
	s_cbranch_vccnz .LBB35_54
; %bb.52:
	s_waitcnt vmcnt(0)
	v_dual_add_f32 v2, v12, v12 :: v_dual_mov_b32 v3, 1.0
	s_mov_b64 s[10:11], 2
	s_delay_alu instid0(VALU_DEP_1)
	v_mov_b32_e32 v1, v2
	.p2align	6
.LBB35_53:                              ; =>This Inner Loop Header: Depth=1
	s_clz_i32_u32 s12, s11
	s_delay_alu instid0(SALU_CYCLE_1) | instskip(NEXT) | instid1(SALU_CYCLE_1)
	s_min_u32 s15, s12, 32
	s_lshl_b64 s[12:13], s[10:11], s15
	s_delay_alu instid0(SALU_CYCLE_1) | instskip(NEXT) | instid1(SALU_CYCLE_1)
	s_min_u32 s12, s12, 1
	s_or_b32 s12, s13, s12
	s_delay_alu instid0(SALU_CYCLE_1) | instskip(SKIP_3) | instid1(VALU_DEP_1)
	v_cvt_f32_u32_e32 v4, s12
	s_sub_i32 s12, 32, s15
	s_add_u32 s10, s10, 2
	s_addc_u32 s11, s11, 0
	v_ldexp_f32 v4, v4, s12
	v_cmp_lt_u64_e64 s12, s[10:11], s[6:7]
	s_delay_alu instid0(VALU_DEP_2) | instskip(NEXT) | instid1(VALU_DEP_2)
	v_dual_mul_f32 v4, v3, v4 :: v_dual_mov_b32 v3, v1
	s_and_b32 vcc_lo, exec_lo, s12
	s_delay_alu instid0(VALU_DEP_1)
	v_fma_f32 v1, v2, v1, -v4
	s_cbranch_vccnz .LBB35_53
.LBB35_54:
	s_mov_b32 s10, 0
	s_branch .LBB35_56
.LBB35_55:
	s_mov_b32 s10, -1
                                        ; implicit-def: $vgpr1
.LBB35_56:
	s_delay_alu instid0(SALU_CYCLE_1)
	s_and_not1_b32 vcc_lo, exec_lo, s10
	s_cbranch_vccnz .LBB35_58
; %bb.57:
	s_waitcnt vmcnt(0)
	v_add_f32_e32 v1, v12, v12
.LBB35_58:
	s_or_b32 exec_lo, exec_lo, s3
	s_delay_alu instid0(SALU_CYCLE_1)
	s_mov_b32 s3, exec_lo
	v_cmpx_gt_i32_e64 s14, v7
	s_cbranch_execz .LBB35_69
; %bb.59:
	v_cmp_ne_u32_e32 vcc_lo, 1, v8
	v_mov_b32_e32 v2, 0
	s_cbranch_vccnz .LBB35_69
; %bb.60:
	v_cmp_lt_i64_e64 s10, s[8:9], 1
	v_mov_b32_e32 v2, 1.0
	s_delay_alu instid0(VALU_DEP_2)
	s_and_b32 vcc_lo, exec_lo, s10
	s_cbranch_vccnz .LBB35_69
; %bb.61:
	s_cmp_lg_u64 s[8:9], 1
	s_cbranch_scc0 .LBB35_66
; %bb.62:
	v_mov_b32_e32 v2, 0x7fc00000
	s_and_not1_b32 vcc_lo, exec_lo, s1
	s_cbranch_vccnz .LBB35_65
; %bb.63:
	s_waitcnt vmcnt(0)
	v_dual_add_f32 v9, v11, v11 :: v_dual_mov_b32 v12, 1.0
	s_mov_b64 s[10:11], 2
	s_delay_alu instid0(VALU_DEP_1)
	v_mov_b32_e32 v2, v9
	.p2align	6
.LBB35_64:                              ; =>This Inner Loop Header: Depth=1
	s_clz_i32_u32 s12, s11
	s_delay_alu instid0(SALU_CYCLE_1) | instskip(NEXT) | instid1(SALU_CYCLE_1)
	s_min_u32 s15, s12, 32
	s_lshl_b64 s[12:13], s[10:11], s15
	s_delay_alu instid0(SALU_CYCLE_1) | instskip(NEXT) | instid1(SALU_CYCLE_1)
	s_min_u32 s12, s12, 1
	s_or_b32 s12, s13, s12
	s_delay_alu instid0(SALU_CYCLE_1) | instskip(SKIP_3) | instid1(VALU_DEP_1)
	v_cvt_f32_u32_e32 v13, s12
	s_sub_i32 s12, 32, s15
	s_add_u32 s10, s10, 2
	s_addc_u32 s11, s11, 0
	v_ldexp_f32 v13, v13, s12
	v_cmp_lt_u64_e64 s12, s[10:11], s[6:7]
	s_delay_alu instid0(VALU_DEP_2) | instskip(NEXT) | instid1(VALU_DEP_2)
	v_dual_mul_f32 v13, v12, v13 :: v_dual_mov_b32 v12, v2
	s_and_b32 vcc_lo, exec_lo, s12
	s_delay_alu instid0(VALU_DEP_1)
	v_fma_f32 v2, v9, v2, -v13
	s_cbranch_vccnz .LBB35_64
.LBB35_65:
	s_mov_b32 s10, 0
	s_branch .LBB35_67
.LBB35_66:
	s_mov_b32 s10, -1
.LBB35_67:
	s_delay_alu instid0(SALU_CYCLE_1)
	s_and_not1_b32 vcc_lo, exec_lo, s10
	s_cbranch_vccnz .LBB35_69
; %bb.68:
	s_waitcnt vmcnt(0)
	v_add_f32_e32 v2, v11, v11
.LBB35_69:
	s_or_b32 exec_lo, exec_lo, s3
	v_or_b32_e32 v9, 0x200, v0
	s_mov_b32 s3, exec_lo
	s_delay_alu instid0(VALU_DEP_1)
	v_cmpx_gt_i32_e64 s14, v9
	s_cbranch_execz .LBB35_80
; %bb.70:
	v_cmp_ne_u32_e32 vcc_lo, 1, v8
	v_mov_b32_e32 v3, 0
	s_cbranch_vccnz .LBB35_80
; %bb.71:
	v_cmp_lt_i64_e64 s10, s[8:9], 1
	v_mov_b32_e32 v3, 1.0
	s_delay_alu instid0(VALU_DEP_2)
	s_and_b32 vcc_lo, exec_lo, s10
	s_cbranch_vccnz .LBB35_80
; %bb.72:
	s_cmp_lg_u64 s[8:9], 1
	s_cbranch_scc0 .LBB35_77
; %bb.73:
	v_mov_b32_e32 v3, 0x7fc00000
	s_and_not1_b32 vcc_lo, exec_lo, s1
	s_cbranch_vccnz .LBB35_76
; %bb.74:
	s_waitcnt vmcnt(0)
	v_add_f32_e32 v9, v10, v10
	v_mov_b32_e32 v11, 1.0
	s_mov_b64 s[10:11], 2
	s_delay_alu instid0(VALU_DEP_2)
	v_mov_b32_e32 v3, v9
	.p2align	6
.LBB35_75:                              ; =>This Inner Loop Header: Depth=1
	s_clz_i32_u32 s12, s11
	s_delay_alu instid0(SALU_CYCLE_1) | instskip(NEXT) | instid1(SALU_CYCLE_1)
	s_min_u32 s15, s12, 32
	s_lshl_b64 s[12:13], s[10:11], s15
	s_delay_alu instid0(SALU_CYCLE_1) | instskip(NEXT) | instid1(SALU_CYCLE_1)
	s_min_u32 s12, s12, 1
	s_or_b32 s12, s13, s12
	s_delay_alu instid0(SALU_CYCLE_1) | instskip(SKIP_3) | instid1(VALU_DEP_1)
	v_cvt_f32_u32_e32 v12, s12
	s_sub_i32 s12, 32, s15
	s_add_u32 s10, s10, 2
	s_addc_u32 s11, s11, 0
	v_ldexp_f32 v12, v12, s12
	v_cmp_lt_u64_e64 s12, s[10:11], s[6:7]
	s_delay_alu instid0(VALU_DEP_2) | instskip(SKIP_1) | instid1(VALU_DEP_3)
	v_mul_f32_e32 v12, v11, v12
	v_mov_b32_e32 v11, v3
	s_and_b32 vcc_lo, exec_lo, s12
	s_delay_alu instid0(VALU_DEP_2)
	v_fma_f32 v3, v9, v3, -v12
	s_cbranch_vccnz .LBB35_75
.LBB35_76:
	s_mov_b32 s10, 0
	s_branch .LBB35_78
.LBB35_77:
	s_mov_b32 s10, -1
.LBB35_78:
	s_delay_alu instid0(SALU_CYCLE_1)
	s_and_not1_b32 vcc_lo, exec_lo, s10
	s_cbranch_vccnz .LBB35_80
; %bb.79:
	s_waitcnt vmcnt(0)
	v_add_f32_e32 v3, v10, v10
.LBB35_80:
	s_or_b32 exec_lo, exec_lo, s3
	v_or_b32_e32 v9, 0x300, v0
	s_mov_b32 s3, exec_lo
	s_delay_alu instid0(VALU_DEP_1)
	v_cmpx_gt_i32_e64 s14, v9
	s_cbranch_execz .LBB35_91
; %bb.81:
	v_cmp_ne_u32_e32 vcc_lo, 1, v8
	v_mov_b32_e32 v4, 0
	s_cbranch_vccnz .LBB35_91
; %bb.82:
	v_cmp_lt_i64_e64 s10, s[8:9], 1
	v_mov_b32_e32 v4, 1.0
	s_delay_alu instid0(VALU_DEP_2)
	s_and_b32 vcc_lo, exec_lo, s10
	s_cbranch_vccnz .LBB35_91
; %bb.83:
	s_cmp_lg_u64 s[8:9], 1
	s_cbranch_scc0 .LBB35_88
; %bb.84:
	v_mov_b32_e32 v4, 0x7fc00000
	s_and_not1_b32 vcc_lo, exec_lo, s1
	s_cbranch_vccnz .LBB35_87
; %bb.85:
	s_waitcnt vmcnt(0)
	v_dual_add_f32 v8, v6, v6 :: v_dual_mov_b32 v9, 1.0
	s_mov_b64 s[8:9], 2
	s_delay_alu instid0(VALU_DEP_1)
	v_mov_b32_e32 v4, v8
	.p2align	6
.LBB35_86:                              ; =>This Inner Loop Header: Depth=1
	s_clz_i32_u32 s1, s9
	s_delay_alu instid0(SALU_CYCLE_1) | instskip(NEXT) | instid1(SALU_CYCLE_1)
	s_min_u32 s1, s1, 32
	s_lshl_b64 s[10:11], s[8:9], s1
	s_sub_i32 s1, 32, s1
	s_min_u32 s10, s10, 1
	s_delay_alu instid0(SALU_CYCLE_1) | instskip(SKIP_3) | instid1(VALU_DEP_1)
	s_or_b32 s10, s11, s10
	s_add_u32 s8, s8, 2
	v_cvt_f32_u32_e32 v10, s10
	s_addc_u32 s9, s9, 0
	v_ldexp_f32 v10, v10, s1
	v_cmp_lt_u64_e64 s1, s[8:9], s[6:7]
	s_delay_alu instid0(VALU_DEP_2) | instskip(NEXT) | instid1(VALU_DEP_2)
	v_dual_mul_f32 v10, v9, v10 :: v_dual_mov_b32 v9, v4
	s_and_b32 vcc_lo, exec_lo, s1
	s_delay_alu instid0(VALU_DEP_1)
	v_fma_f32 v4, v8, v4, -v10
	s_cbranch_vccnz .LBB35_86
.LBB35_87:
	s_mov_b32 s1, 0
	s_branch .LBB35_89
.LBB35_88:
	s_mov_b32 s1, -1
.LBB35_89:
	s_delay_alu instid0(SALU_CYCLE_1)
	s_and_not1_b32 vcc_lo, exec_lo, s1
	s_cbranch_vccnz .LBB35_91
; %bb.90:
	s_waitcnt vmcnt(0)
	v_add_f32_e32 v4, v6, v6
.LBB35_91:
	s_or_b32 exec_lo, exec_lo, s3
	s_and_saveexec_b32 s1, s0
	s_delay_alu instid0(SALU_CYCLE_1)
	s_xor_b32 s0, exec_lo, s1
	s_cbranch_execnz .LBB35_97
; %bb.92:
	s_or_b32 exec_lo, exec_lo, s0
	s_delay_alu instid0(SALU_CYCLE_1)
	s_mov_b32 s0, exec_lo
	v_cmpx_gt_i32_e64 s14, v0
	s_cbranch_execnz .LBB35_98
.LBB35_93:
	s_or_b32 exec_lo, exec_lo, s0
	s_delay_alu instid0(SALU_CYCLE_1)
	s_mov_b32 s0, exec_lo
	v_cmpx_gt_i32_e64 s14, v0
	s_cbranch_execnz .LBB35_99
.LBB35_94:
	s_or_b32 exec_lo, exec_lo, s0
	s_delay_alu instid0(SALU_CYCLE_1)
	s_mov_b32 s0, exec_lo
	v_cmpx_gt_i32_e64 s14, v0
	s_cbranch_execz .LBB35_96
.LBB35_95:
	v_dual_mov_b32 v1, 0 :: v_dual_add_nc_u32 v0, s2, v0
	s_delay_alu instid0(VALU_DEP_1) | instskip(NEXT) | instid1(VALU_DEP_1)
	v_lshlrev_b64 v[0:1], 2, v[0:1]
	v_add_co_u32 v0, vcc_lo, s4, v0
	s_delay_alu instid0(VALU_DEP_2)
	v_add_co_ci_u32_e32 v1, vcc_lo, s5, v1, vcc_lo
	global_store_b32 v[0:1], v4, off
.LBB35_96:
	s_nop 0
	s_sendmsg sendmsg(MSG_DEALLOC_VGPRS)
	s_endpgm
.LBB35_97:
	s_waitcnt vmcnt(0)
	v_mov_b32_e32 v6, 0
	v_mov_b32_e32 v0, v7
	s_delay_alu instid0(VALU_DEP_2) | instskip(NEXT) | instid1(VALU_DEP_1)
	v_lshlrev_b64 v[5:6], 2, v[5:6]
	v_add_co_u32 v5, vcc_lo, s4, v5
	s_delay_alu instid0(VALU_DEP_2) | instskip(SKIP_2) | instid1(SALU_CYCLE_1)
	v_add_co_ci_u32_e32 v6, vcc_lo, s5, v6, vcc_lo
	global_store_b32 v[5:6], v1, off
	s_or_b32 exec_lo, exec_lo, s0
	s_mov_b32 s0, exec_lo
	v_cmpx_gt_i32_e64 s14, v0
	s_cbranch_execz .LBB35_93
.LBB35_98:
	s_waitcnt vmcnt(0)
	v_dual_mov_b32 v6, 0 :: v_dual_add_nc_u32 v5, s2, v0
	v_add_nc_u32_e32 v0, 0x100, v0
	s_delay_alu instid0(VALU_DEP_2) | instskip(NEXT) | instid1(VALU_DEP_1)
	v_lshlrev_b64 v[5:6], 2, v[5:6]
	v_add_co_u32 v5, vcc_lo, s4, v5
	s_delay_alu instid0(VALU_DEP_2) | instskip(SKIP_2) | instid1(SALU_CYCLE_1)
	v_add_co_ci_u32_e32 v6, vcc_lo, s5, v6, vcc_lo
	global_store_b32 v[5:6], v2, off
	s_or_b32 exec_lo, exec_lo, s0
	s_mov_b32 s0, exec_lo
	v_cmpx_gt_i32_e64 s14, v0
	s_cbranch_execz .LBB35_94
.LBB35_99:
	v_dual_mov_b32 v2, 0 :: v_dual_add_nc_u32 v1, s2, v0
	v_add_nc_u32_e32 v0, 0x100, v0
	s_delay_alu instid0(VALU_DEP_2) | instskip(NEXT) | instid1(VALU_DEP_1)
	v_lshlrev_b64 v[1:2], 2, v[1:2]
	v_add_co_u32 v1, vcc_lo, s4, v1
	s_delay_alu instid0(VALU_DEP_2) | instskip(SKIP_2) | instid1(SALU_CYCLE_1)
	v_add_co_ci_u32_e32 v2, vcc_lo, s5, v2, vcc_lo
	global_store_b32 v[1:2], v3, off
	s_or_b32 exec_lo, exec_lo, s0
	s_mov_b32 s0, exec_lo
	v_cmpx_gt_i32_e64 s14, v0
	s_cbranch_execnz .LBB35_95
	s_branch .LBB35_96
	.section	.rodata,"a",@progbits
	.p2align	6, 0x0
	.amdhsa_kernel _ZN2at6native29vectorized_elementwise_kernelILi2ENS0_13BUnaryFunctorIfffZZZNS0_12_GLOBAL__N_132hermite_polynomial_h_kernel_cudaERNS_18TensorIteratorBaseEENKUlvE_clEvENKUlvE0_clEvEUlffE_EESt5arrayIPcLm2EEEEviT0_T1_
		.amdhsa_group_segment_fixed_size 0
		.amdhsa_private_segment_fixed_size 0
		.amdhsa_kernarg_size 32
		.amdhsa_user_sgpr_count 15
		.amdhsa_user_sgpr_dispatch_ptr 0
		.amdhsa_user_sgpr_queue_ptr 0
		.amdhsa_user_sgpr_kernarg_segment_ptr 1
		.amdhsa_user_sgpr_dispatch_id 0
		.amdhsa_user_sgpr_private_segment_size 0
		.amdhsa_wavefront_size32 1
		.amdhsa_uses_dynamic_stack 0
		.amdhsa_enable_private_segment 0
		.amdhsa_system_sgpr_workgroup_id_x 1
		.amdhsa_system_sgpr_workgroup_id_y 0
		.amdhsa_system_sgpr_workgroup_id_z 0
		.amdhsa_system_sgpr_workgroup_info 0
		.amdhsa_system_vgpr_workitem_id 0
		.amdhsa_next_free_vgpr 14
		.amdhsa_next_free_sgpr 20
		.amdhsa_reserve_vcc 1
		.amdhsa_float_round_mode_32 0
		.amdhsa_float_round_mode_16_64 0
		.amdhsa_float_denorm_mode_32 3
		.amdhsa_float_denorm_mode_16_64 3
		.amdhsa_dx10_clamp 1
		.amdhsa_ieee_mode 1
		.amdhsa_fp16_overflow 0
		.amdhsa_workgroup_processor_mode 1
		.amdhsa_memory_ordered 1
		.amdhsa_forward_progress 0
		.amdhsa_shared_vgpr_count 0
		.amdhsa_exception_fp_ieee_invalid_op 0
		.amdhsa_exception_fp_denorm_src 0
		.amdhsa_exception_fp_ieee_div_zero 0
		.amdhsa_exception_fp_ieee_overflow 0
		.amdhsa_exception_fp_ieee_underflow 0
		.amdhsa_exception_fp_ieee_inexact 0
		.amdhsa_exception_int_div_zero 0
	.end_amdhsa_kernel
	.section	.text._ZN2at6native29vectorized_elementwise_kernelILi2ENS0_13BUnaryFunctorIfffZZZNS0_12_GLOBAL__N_132hermite_polynomial_h_kernel_cudaERNS_18TensorIteratorBaseEENKUlvE_clEvENKUlvE0_clEvEUlffE_EESt5arrayIPcLm2EEEEviT0_T1_,"axG",@progbits,_ZN2at6native29vectorized_elementwise_kernelILi2ENS0_13BUnaryFunctorIfffZZZNS0_12_GLOBAL__N_132hermite_polynomial_h_kernel_cudaERNS_18TensorIteratorBaseEENKUlvE_clEvENKUlvE0_clEvEUlffE_EESt5arrayIPcLm2EEEEviT0_T1_,comdat
.Lfunc_end35:
	.size	_ZN2at6native29vectorized_elementwise_kernelILi2ENS0_13BUnaryFunctorIfffZZZNS0_12_GLOBAL__N_132hermite_polynomial_h_kernel_cudaERNS_18TensorIteratorBaseEENKUlvE_clEvENKUlvE0_clEvEUlffE_EESt5arrayIPcLm2EEEEviT0_T1_, .Lfunc_end35-_ZN2at6native29vectorized_elementwise_kernelILi2ENS0_13BUnaryFunctorIfffZZZNS0_12_GLOBAL__N_132hermite_polynomial_h_kernel_cudaERNS_18TensorIteratorBaseEENKUlvE_clEvENKUlvE0_clEvEUlffE_EESt5arrayIPcLm2EEEEviT0_T1_
                                        ; -- End function
	.section	.AMDGPU.csdata,"",@progbits
; Kernel info:
; codeLenInByte = 2808
; NumSgprs: 22
; NumVgprs: 14
; ScratchSize: 0
; MemoryBound: 0
; FloatMode: 240
; IeeeMode: 1
; LDSByteSize: 0 bytes/workgroup (compile time only)
; SGPRBlocks: 2
; VGPRBlocks: 1
; NumSGPRsForWavesPerEU: 22
; NumVGPRsForWavesPerEU: 14
; Occupancy: 16
; WaveLimiterHint : 1
; COMPUTE_PGM_RSRC2:SCRATCH_EN: 0
; COMPUTE_PGM_RSRC2:USER_SGPR: 15
; COMPUTE_PGM_RSRC2:TRAP_HANDLER: 0
; COMPUTE_PGM_RSRC2:TGID_X_EN: 1
; COMPUTE_PGM_RSRC2:TGID_Y_EN: 0
; COMPUTE_PGM_RSRC2:TGID_Z_EN: 0
; COMPUTE_PGM_RSRC2:TIDIG_COMP_CNT: 0
	.section	.text._ZN2at6native27unrolled_elementwise_kernelINS0_13BUnaryFunctorIfffZZZNS0_12_GLOBAL__N_132hermite_polynomial_h_kernel_cudaERNS_18TensorIteratorBaseEENKUlvE_clEvENKUlvE0_clEvEUlffE_EESt5arrayIPcLm2EELi4E23TrivialOffsetCalculatorILi1EjESE_NS0_6memory15LoadWithoutCastENSF_16StoreWithoutCastEEEviT_T0_T2_T3_T4_T5_,"axG",@progbits,_ZN2at6native27unrolled_elementwise_kernelINS0_13BUnaryFunctorIfffZZZNS0_12_GLOBAL__N_132hermite_polynomial_h_kernel_cudaERNS_18TensorIteratorBaseEENKUlvE_clEvENKUlvE0_clEvEUlffE_EESt5arrayIPcLm2EELi4E23TrivialOffsetCalculatorILi1EjESE_NS0_6memory15LoadWithoutCastENSF_16StoreWithoutCastEEEviT_T0_T2_T3_T4_T5_,comdat
	.globl	_ZN2at6native27unrolled_elementwise_kernelINS0_13BUnaryFunctorIfffZZZNS0_12_GLOBAL__N_132hermite_polynomial_h_kernel_cudaERNS_18TensorIteratorBaseEENKUlvE_clEvENKUlvE0_clEvEUlffE_EESt5arrayIPcLm2EELi4E23TrivialOffsetCalculatorILi1EjESE_NS0_6memory15LoadWithoutCastENSF_16StoreWithoutCastEEEviT_T0_T2_T3_T4_T5_ ; -- Begin function _ZN2at6native27unrolled_elementwise_kernelINS0_13BUnaryFunctorIfffZZZNS0_12_GLOBAL__N_132hermite_polynomial_h_kernel_cudaERNS_18TensorIteratorBaseEENKUlvE_clEvENKUlvE0_clEvEUlffE_EESt5arrayIPcLm2EELi4E23TrivialOffsetCalculatorILi1EjESE_NS0_6memory15LoadWithoutCastENSF_16StoreWithoutCastEEEviT_T0_T2_T3_T4_T5_
	.p2align	8
	.type	_ZN2at6native27unrolled_elementwise_kernelINS0_13BUnaryFunctorIfffZZZNS0_12_GLOBAL__N_132hermite_polynomial_h_kernel_cudaERNS_18TensorIteratorBaseEENKUlvE_clEvENKUlvE0_clEvEUlffE_EESt5arrayIPcLm2EELi4E23TrivialOffsetCalculatorILi1EjESE_NS0_6memory15LoadWithoutCastENSF_16StoreWithoutCastEEEviT_T0_T2_T3_T4_T5_,@function
_ZN2at6native27unrolled_elementwise_kernelINS0_13BUnaryFunctorIfffZZZNS0_12_GLOBAL__N_132hermite_polynomial_h_kernel_cudaERNS_18TensorIteratorBaseEENKUlvE_clEvENKUlvE0_clEvEUlffE_EESt5arrayIPcLm2EELi4E23TrivialOffsetCalculatorILi1EjESE_NS0_6memory15LoadWithoutCastENSF_16StoreWithoutCastEEEviT_T0_T2_T3_T4_T5_: ; @_ZN2at6native27unrolled_elementwise_kernelINS0_13BUnaryFunctorIfffZZZNS0_12_GLOBAL__N_132hermite_polynomial_h_kernel_cudaERNS_18TensorIteratorBaseEENKUlvE_clEvENKUlvE0_clEvEUlffE_EESt5arrayIPcLm2EELi4E23TrivialOffsetCalculatorILi1EjESE_NS0_6memory15LoadWithoutCastENSF_16StoreWithoutCastEEEviT_T0_T2_T3_T4_T5_
; %bb.0:
	s_clause 0x1
	s_load_b32 s2, s[0:1], 0x0
	s_load_b128 s[4:7], s[0:1], 0x10
	s_lshl_b32 s3, s15, 10
	v_dual_mov_b32 v10, 0 :: v_dual_mov_b32 v11, 0
	v_or_b32_e32 v5, s3, v0
	v_or_b32_e32 v7, 0x100, v0
	v_mov_b32_e32 v1, v0
	s_waitcnt lgkmcnt(0)
	s_sub_i32 s10, s2, s3
	s_delay_alu instid0(SALU_CYCLE_1) | instskip(NEXT) | instid1(VALU_DEP_1)
	v_cmp_gt_i32_e64 s2, s10, v0
	s_and_saveexec_b32 s8, s2
	s_cbranch_execz .LBB36_2
; %bb.1:
	v_mov_b32_e32 v6, 0
	s_delay_alu instid0(VALU_DEP_1) | instskip(NEXT) | instid1(VALU_DEP_1)
	v_lshlrev_b64 v[1:2], 2, v[5:6]
	v_add_co_u32 v1, vcc_lo, s6, v1
	s_delay_alu instid0(VALU_DEP_2)
	v_add_co_ci_u32_e32 v2, vcc_lo, s7, v2, vcc_lo
	global_load_b32 v11, v[1:2], off
	v_or_b32_e32 v1, 0x100, v0
.LBB36_2:
	s_or_b32 exec_lo, exec_lo, s8
	s_delay_alu instid0(SALU_CYCLE_1) | instskip(NEXT) | instid1(VALU_DEP_1)
	s_mov_b32 s8, exec_lo
	v_cmpx_gt_i32_e64 s10, v1
	s_cbranch_execz .LBB36_4
; %bb.3:
	v_dual_mov_b32 v3, 0 :: v_dual_add_nc_u32 v2, s3, v1
	v_add_nc_u32_e32 v1, 0x100, v1
	s_delay_alu instid0(VALU_DEP_2) | instskip(NEXT) | instid1(VALU_DEP_1)
	v_lshlrev_b64 v[2:3], 2, v[2:3]
	v_add_co_u32 v2, vcc_lo, s6, v2
	s_delay_alu instid0(VALU_DEP_2)
	v_add_co_ci_u32_e32 v3, vcc_lo, s7, v3, vcc_lo
	global_load_b32 v10, v[2:3], off
.LBB36_4:
	s_or_b32 exec_lo, exec_lo, s8
	v_mov_b32_e32 v6, 0
	v_mov_b32_e32 v8, 0
	s_mov_b32 s8, exec_lo
	v_cmpx_gt_i32_e64 s10, v1
	s_cbranch_execz .LBB36_6
; %bb.5:
	v_dual_mov_b32 v3, 0 :: v_dual_add_nc_u32 v2, s3, v1
	v_add_nc_u32_e32 v1, 0x100, v1
	s_delay_alu instid0(VALU_DEP_2) | instskip(NEXT) | instid1(VALU_DEP_1)
	v_lshlrev_b64 v[2:3], 2, v[2:3]
	v_add_co_u32 v2, vcc_lo, s6, v2
	s_delay_alu instid0(VALU_DEP_2)
	v_add_co_ci_u32_e32 v3, vcc_lo, s7, v3, vcc_lo
	global_load_b32 v8, v[2:3], off
.LBB36_6:
	s_or_b32 exec_lo, exec_lo, s8
	s_load_b32 s0, s[0:1], 0x8
	s_mov_b32 s1, exec_lo
	v_cmpx_gt_i32_e64 s10, v1
	s_cbranch_execz .LBB36_8
; %bb.7:
	v_dual_mov_b32 v2, 0 :: v_dual_add_nc_u32 v1, s3, v1
	s_delay_alu instid0(VALU_DEP_1) | instskip(NEXT) | instid1(VALU_DEP_1)
	v_lshlrev_b64 v[1:2], 2, v[1:2]
	v_add_co_u32 v1, vcc_lo, s6, v1
	s_delay_alu instid0(VALU_DEP_2)
	v_add_co_ci_u32_e32 v2, vcc_lo, s7, v2, vcc_lo
	global_load_b32 v6, v[1:2], off
.LBB36_8:
	s_or_b32 exec_lo, exec_lo, s1
	s_waitcnt lgkmcnt(0)
	v_trunc_f32_e32 v1, s0
	v_cmp_class_f32_e64 s11, s0, 0x1f8
	s_delay_alu instid0(VALU_DEP_2) | instskip(SKIP_1) | instid1(VALU_DEP_2)
	v_mul_f32_e64 v2, 0x2f800000, |v1|
	v_readfirstlane_b32 s1, v1
	v_floor_f32_e32 v2, v2
	s_delay_alu instid0(VALU_DEP_2) | instskip(NEXT) | instid1(SALU_CYCLE_1)
	s_ashr_i32 s8, s1, 31
	s_mov_b32 s9, s8
	s_delay_alu instid0(VALU_DEP_1) | instskip(SKIP_1) | instid1(VALU_DEP_2)
	v_fma_f32 v3, 0xcf800000, v2, |v1|
	v_cvt_u32_f32_e32 v2, v2
	v_cvt_u32_f32_e32 v3, v3
	s_delay_alu instid0(VALU_DEP_2) | instskip(NEXT) | instid1(VALU_DEP_2)
	v_readfirstlane_b32 s7, v2
	v_readfirstlane_b32 s6, v3
                                        ; implicit-def: $vgpr1_vgpr2_vgpr3_vgpr4
	s_delay_alu instid0(VALU_DEP_1) | instskip(NEXT) | instid1(SALU_CYCLE_1)
	s_xor_b64 s[0:1], s[6:7], s[8:9]
	s_sub_u32 s0, s0, s8
	s_subb_u32 s1, s1, s8
	s_and_b32 s6, s11, exec_lo
	s_cselect_b32 s7, s1, -1
	s_cselect_b32 s6, s0, -1
	s_delay_alu instid0(SALU_CYCLE_1) | instskip(SKIP_2) | instid1(VALU_DEP_2)
	v_cmp_gt_i64_e64 s8, s[6:7], -1
	v_cmp_gt_u64_e64 s11, 0x81, s[6:7]
	s_lshl_b64 s[0:1], s[6:7], 1
	v_cndmask_b32_e64 v9, 0, 1, s8
	s_and_saveexec_b32 s12, s2
	s_cbranch_execz .LBB36_18
; %bb.9:
	v_mov_b32_e32 v1, 0
	s_and_not1_b32 vcc_lo, exec_lo, s8
	s_cbranch_vccnz .LBB36_18
; %bb.10:
	v_cmp_lt_i64_e64 s8, s[6:7], 1
	v_mov_b32_e32 v1, 1.0
	s_delay_alu instid0(VALU_DEP_2)
	s_and_b32 vcc_lo, exec_lo, s8
	s_cbranch_vccnz .LBB36_18
; %bb.11:
	s_cmp_lg_u64 s[6:7], 1
	s_cbranch_scc0 .LBB36_16
; %bb.12:
	v_mov_b32_e32 v1, 0x7fc00000
	s_and_not1_b32 vcc_lo, exec_lo, s11
	s_cbranch_vccnz .LBB36_15
; %bb.13:
	s_waitcnt vmcnt(0)
	v_dual_add_f32 v2, v11, v11 :: v_dual_mov_b32 v3, 1.0
	s_mov_b64 s[8:9], 2
	s_delay_alu instid0(VALU_DEP_1)
	v_mov_b32_e32 v1, v2
	.p2align	6
.LBB36_14:                              ; =>This Inner Loop Header: Depth=1
	s_clz_i32_u32 s13, s9
	s_delay_alu instid0(SALU_CYCLE_1) | instskip(NEXT) | instid1(SALU_CYCLE_1)
	s_min_u32 s13, s13, 32
	s_lshl_b64 s[14:15], s[8:9], s13
	s_sub_i32 s13, 32, s13
	s_min_u32 s14, s14, 1
	s_delay_alu instid0(SALU_CYCLE_1) | instskip(SKIP_3) | instid1(VALU_DEP_1)
	s_or_b32 s14, s15, s14
	s_add_u32 s8, s8, 2
	v_cvt_f32_u32_e32 v4, s14
	s_addc_u32 s9, s9, 0
	v_ldexp_f32 v4, v4, s13
	v_cmp_lt_u64_e64 s13, s[8:9], s[0:1]
	s_delay_alu instid0(VALU_DEP_2) | instskip(NEXT) | instid1(VALU_DEP_2)
	v_dual_mul_f32 v4, v3, v4 :: v_dual_mov_b32 v3, v1
	s_and_b32 vcc_lo, exec_lo, s13
	s_delay_alu instid0(VALU_DEP_1)
	v_fma_f32 v1, v2, v1, -v4
	s_cbranch_vccnz .LBB36_14
.LBB36_15:
	s_cbranch_execz .LBB36_17
	s_branch .LBB36_18
.LBB36_16:
                                        ; implicit-def: $vgpr1
.LBB36_17:
	s_waitcnt vmcnt(0)
	v_add_f32_e32 v1, v11, v11
.LBB36_18:
	s_or_b32 exec_lo, exec_lo, s12
	s_delay_alu instid0(SALU_CYCLE_1)
	s_mov_b32 s12, exec_lo
	v_cmpx_gt_i32_e64 s10, v7
	s_cbranch_execz .LBB36_28
; %bb.19:
	v_cmp_ne_u32_e32 vcc_lo, 1, v9
	v_mov_b32_e32 v2, 0
	s_cbranch_vccnz .LBB36_28
; %bb.20:
	v_cmp_lt_i64_e64 s8, s[6:7], 1
	v_mov_b32_e32 v2, 1.0
	s_delay_alu instid0(VALU_DEP_2)
	s_and_b32 vcc_lo, exec_lo, s8
	s_cbranch_vccnz .LBB36_28
; %bb.21:
	s_cmp_lg_u64 s[6:7], 1
	s_cbranch_scc0 .LBB36_26
; %bb.22:
	v_mov_b32_e32 v2, 0x7fc00000
	s_and_not1_b32 vcc_lo, exec_lo, s11
	s_cbranch_vccnz .LBB36_25
; %bb.23:
	s_waitcnt vmcnt(0)
	v_dual_add_f32 v11, v10, v10 :: v_dual_mov_b32 v12, 1.0
	s_mov_b64 s[8:9], 2
	s_delay_alu instid0(VALU_DEP_1)
	v_mov_b32_e32 v2, v11
	.p2align	6
.LBB36_24:                              ; =>This Inner Loop Header: Depth=1
	s_clz_i32_u32 s13, s9
	s_delay_alu instid0(SALU_CYCLE_1) | instskip(NEXT) | instid1(SALU_CYCLE_1)
	s_min_u32 s13, s13, 32
	s_lshl_b64 s[14:15], s[8:9], s13
	s_sub_i32 s13, 32, s13
	s_min_u32 s14, s14, 1
	s_delay_alu instid0(SALU_CYCLE_1) | instskip(SKIP_3) | instid1(VALU_DEP_1)
	s_or_b32 s14, s15, s14
	s_add_u32 s8, s8, 2
	v_cvt_f32_u32_e32 v13, s14
	s_addc_u32 s9, s9, 0
	v_ldexp_f32 v13, v13, s13
	v_cmp_lt_u64_e64 s13, s[8:9], s[0:1]
	s_delay_alu instid0(VALU_DEP_2) | instskip(NEXT) | instid1(VALU_DEP_2)
	v_dual_mul_f32 v13, v12, v13 :: v_dual_mov_b32 v12, v2
	s_and_b32 vcc_lo, exec_lo, s13
	s_delay_alu instid0(VALU_DEP_1)
	v_fma_f32 v2, v11, v2, -v13
	s_cbranch_vccnz .LBB36_24
.LBB36_25:
	s_cbranch_execz .LBB36_27
	s_branch .LBB36_28
.LBB36_26:
.LBB36_27:
	s_waitcnt vmcnt(0)
	v_add_f32_e32 v2, v10, v10
.LBB36_28:
	s_or_b32 exec_lo, exec_lo, s12
	s_waitcnt vmcnt(0)
	v_or_b32_e32 v10, 0x200, v0
	s_mov_b32 s12, exec_lo
	s_delay_alu instid0(VALU_DEP_1)
	v_cmpx_gt_i32_e64 s10, v10
	s_cbranch_execz .LBB36_38
; %bb.29:
	v_cmp_ne_u32_e32 vcc_lo, 1, v9
	v_mov_b32_e32 v3, 0
	s_cbranch_vccnz .LBB36_38
; %bb.30:
	v_cmp_lt_i64_e64 s8, s[6:7], 1
	v_mov_b32_e32 v3, 1.0
	s_delay_alu instid0(VALU_DEP_2)
	s_and_b32 vcc_lo, exec_lo, s8
	s_cbranch_vccnz .LBB36_38
; %bb.31:
	s_cmp_lg_u64 s[6:7], 1
	s_cbranch_scc0 .LBB36_36
; %bb.32:
	v_mov_b32_e32 v3, 0x7fc00000
	s_and_not1_b32 vcc_lo, exec_lo, s11
	s_cbranch_vccnz .LBB36_35
; %bb.33:
	v_dual_add_f32 v10, v8, v8 :: v_dual_mov_b32 v11, 1.0
	s_mov_b64 s[8:9], 2
	s_delay_alu instid0(VALU_DEP_1)
	v_mov_b32_e32 v3, v10
	.p2align	6
.LBB36_34:                              ; =>This Inner Loop Header: Depth=1
	s_clz_i32_u32 s13, s9
	s_delay_alu instid0(SALU_CYCLE_1) | instskip(NEXT) | instid1(SALU_CYCLE_1)
	s_min_u32 s13, s13, 32
	s_lshl_b64 s[14:15], s[8:9], s13
	s_sub_i32 s13, 32, s13
	s_min_u32 s14, s14, 1
	s_delay_alu instid0(SALU_CYCLE_1) | instskip(SKIP_3) | instid1(VALU_DEP_1)
	s_or_b32 s14, s15, s14
	s_add_u32 s8, s8, 2
	v_cvt_f32_u32_e32 v12, s14
	s_addc_u32 s9, s9, 0
	v_ldexp_f32 v12, v12, s13
	v_cmp_lt_u64_e64 s13, s[8:9], s[0:1]
	s_delay_alu instid0(VALU_DEP_2) | instskip(SKIP_1) | instid1(VALU_DEP_3)
	v_mul_f32_e32 v12, v11, v12
	v_mov_b32_e32 v11, v3
	s_and_b32 vcc_lo, exec_lo, s13
	s_delay_alu instid0(VALU_DEP_2)
	v_fma_f32 v3, v10, v3, -v12
	s_cbranch_vccnz .LBB36_34
.LBB36_35:
	s_cbranch_execz .LBB36_37
	s_branch .LBB36_38
.LBB36_36:
.LBB36_37:
	v_add_f32_e32 v3, v8, v8
.LBB36_38:
	s_or_b32 exec_lo, exec_lo, s12
	v_or_b32_e32 v8, 0x300, v0
	s_mov_b32 s8, exec_lo
	s_delay_alu instid0(VALU_DEP_1)
	v_cmpx_gt_i32_e64 s10, v8
	s_cbranch_execz .LBB36_48
; %bb.39:
	v_cmp_ne_u32_e32 vcc_lo, 1, v9
	v_mov_b32_e32 v4, 0
	s_cbranch_vccnz .LBB36_48
; %bb.40:
	v_cmp_lt_i64_e64 s9, s[6:7], 1
	v_mov_b32_e32 v4, 1.0
	s_delay_alu instid0(VALU_DEP_2)
	s_and_b32 vcc_lo, exec_lo, s9
	s_cbranch_vccnz .LBB36_48
; %bb.41:
	s_cmp_lg_u64 s[6:7], 1
	s_cbranch_scc0 .LBB36_46
; %bb.42:
	v_mov_b32_e32 v4, 0x7fc00000
	s_and_not1_b32 vcc_lo, exec_lo, s11
	s_cbranch_vccnz .LBB36_45
; %bb.43:
	v_dual_add_f32 v8, v6, v6 :: v_dual_mov_b32 v9, 1.0
	s_mov_b64 s[6:7], 2
	s_delay_alu instid0(VALU_DEP_1)
	v_mov_b32_e32 v4, v8
	.p2align	6
.LBB36_44:                              ; =>This Inner Loop Header: Depth=1
	s_clz_i32_u32 s9, s7
	s_delay_alu instid0(SALU_CYCLE_1) | instskip(NEXT) | instid1(SALU_CYCLE_1)
	s_min_u32 s9, s9, 32
	s_lshl_b64 s[12:13], s[6:7], s9
	s_sub_i32 s9, 32, s9
	s_min_u32 s11, s12, 1
	s_delay_alu instid0(SALU_CYCLE_1) | instskip(SKIP_3) | instid1(VALU_DEP_1)
	s_or_b32 s11, s13, s11
	s_add_u32 s6, s6, 2
	v_cvt_f32_u32_e32 v10, s11
	s_addc_u32 s7, s7, 0
	v_ldexp_f32 v10, v10, s9
	v_cmp_lt_u64_e64 s9, s[6:7], s[0:1]
	s_delay_alu instid0(VALU_DEP_2) | instskip(NEXT) | instid1(VALU_DEP_2)
	v_dual_mul_f32 v10, v9, v10 :: v_dual_mov_b32 v9, v4
	s_and_b32 vcc_lo, exec_lo, s9
	s_delay_alu instid0(VALU_DEP_1)
	v_fma_f32 v4, v8, v4, -v10
	s_cbranch_vccnz .LBB36_44
.LBB36_45:
	s_cbranch_execz .LBB36_47
	s_branch .LBB36_48
.LBB36_46:
.LBB36_47:
	v_add_f32_e32 v4, v6, v6
.LBB36_48:
	s_or_b32 exec_lo, exec_lo, s8
	s_and_saveexec_b32 s0, s2
	s_delay_alu instid0(SALU_CYCLE_1)
	s_xor_b32 s0, exec_lo, s0
	s_cbranch_execnz .LBB36_53
; %bb.49:
	s_or_b32 exec_lo, exec_lo, s0
	s_delay_alu instid0(SALU_CYCLE_1)
	s_mov_b32 s0, exec_lo
	v_cmpx_gt_i32_e64 s10, v0
	s_cbranch_execnz .LBB36_54
.LBB36_50:
	s_or_b32 exec_lo, exec_lo, s0
	s_delay_alu instid0(SALU_CYCLE_1)
	s_mov_b32 s0, exec_lo
	v_cmpx_gt_i32_e64 s10, v0
	s_cbranch_execnz .LBB36_55
.LBB36_51:
	s_or_b32 exec_lo, exec_lo, s0
	s_delay_alu instid0(SALU_CYCLE_1)
	s_mov_b32 s0, exec_lo
	v_cmpx_gt_i32_e64 s10, v0
	s_cbranch_execnz .LBB36_56
.LBB36_52:
	s_nop 0
	s_sendmsg sendmsg(MSG_DEALLOC_VGPRS)
	s_endpgm
.LBB36_53:
	v_mov_b32_e32 v6, 0
	v_mov_b32_e32 v0, v7
	s_delay_alu instid0(VALU_DEP_2) | instskip(NEXT) | instid1(VALU_DEP_1)
	v_lshlrev_b64 v[5:6], 2, v[5:6]
	v_add_co_u32 v5, vcc_lo, s4, v5
	s_delay_alu instid0(VALU_DEP_2) | instskip(SKIP_2) | instid1(SALU_CYCLE_1)
	v_add_co_ci_u32_e32 v6, vcc_lo, s5, v6, vcc_lo
	global_store_b32 v[5:6], v1, off
	s_or_b32 exec_lo, exec_lo, s0
	s_mov_b32 s0, exec_lo
	v_cmpx_gt_i32_e64 s10, v0
	s_cbranch_execz .LBB36_50
.LBB36_54:
	v_dual_mov_b32 v6, 0 :: v_dual_add_nc_u32 v5, s3, v0
	v_add_nc_u32_e32 v0, 0x100, v0
	s_delay_alu instid0(VALU_DEP_2) | instskip(NEXT) | instid1(VALU_DEP_1)
	v_lshlrev_b64 v[5:6], 2, v[5:6]
	v_add_co_u32 v5, vcc_lo, s4, v5
	s_delay_alu instid0(VALU_DEP_2) | instskip(SKIP_2) | instid1(SALU_CYCLE_1)
	v_add_co_ci_u32_e32 v6, vcc_lo, s5, v6, vcc_lo
	global_store_b32 v[5:6], v2, off
	s_or_b32 exec_lo, exec_lo, s0
	s_mov_b32 s0, exec_lo
	v_cmpx_gt_i32_e64 s10, v0
	s_cbranch_execz .LBB36_51
.LBB36_55:
	v_dual_mov_b32 v2, 0 :: v_dual_add_nc_u32 v1, s3, v0
	v_add_nc_u32_e32 v0, 0x100, v0
	s_delay_alu instid0(VALU_DEP_2) | instskip(NEXT) | instid1(VALU_DEP_1)
	v_lshlrev_b64 v[1:2], 2, v[1:2]
	v_add_co_u32 v1, vcc_lo, s4, v1
	s_delay_alu instid0(VALU_DEP_2) | instskip(SKIP_2) | instid1(SALU_CYCLE_1)
	v_add_co_ci_u32_e32 v2, vcc_lo, s5, v2, vcc_lo
	global_store_b32 v[1:2], v3, off
	s_or_b32 exec_lo, exec_lo, s0
	s_mov_b32 s0, exec_lo
	v_cmpx_gt_i32_e64 s10, v0
	s_cbranch_execz .LBB36_52
.LBB36_56:
	v_dual_mov_b32 v1, 0 :: v_dual_add_nc_u32 v0, s3, v0
	s_delay_alu instid0(VALU_DEP_1) | instskip(NEXT) | instid1(VALU_DEP_1)
	v_lshlrev_b64 v[0:1], 2, v[0:1]
	v_add_co_u32 v0, vcc_lo, s4, v0
	s_delay_alu instid0(VALU_DEP_2)
	v_add_co_ci_u32_e32 v1, vcc_lo, s5, v1, vcc_lo
	global_store_b32 v[0:1], v4, off
	s_nop 0
	s_sendmsg sendmsg(MSG_DEALLOC_VGPRS)
	s_endpgm
	.section	.rodata,"a",@progbits
	.p2align	6, 0x0
	.amdhsa_kernel _ZN2at6native27unrolled_elementwise_kernelINS0_13BUnaryFunctorIfffZZZNS0_12_GLOBAL__N_132hermite_polynomial_h_kernel_cudaERNS_18TensorIteratorBaseEENKUlvE_clEvENKUlvE0_clEvEUlffE_EESt5arrayIPcLm2EELi4E23TrivialOffsetCalculatorILi1EjESE_NS0_6memory15LoadWithoutCastENSF_16StoreWithoutCastEEEviT_T0_T2_T3_T4_T5_
		.amdhsa_group_segment_fixed_size 0
		.amdhsa_private_segment_fixed_size 0
		.amdhsa_kernarg_size 36
		.amdhsa_user_sgpr_count 15
		.amdhsa_user_sgpr_dispatch_ptr 0
		.amdhsa_user_sgpr_queue_ptr 0
		.amdhsa_user_sgpr_kernarg_segment_ptr 1
		.amdhsa_user_sgpr_dispatch_id 0
		.amdhsa_user_sgpr_private_segment_size 0
		.amdhsa_wavefront_size32 1
		.amdhsa_uses_dynamic_stack 0
		.amdhsa_enable_private_segment 0
		.amdhsa_system_sgpr_workgroup_id_x 1
		.amdhsa_system_sgpr_workgroup_id_y 0
		.amdhsa_system_sgpr_workgroup_id_z 0
		.amdhsa_system_sgpr_workgroup_info 0
		.amdhsa_system_vgpr_workitem_id 0
		.amdhsa_next_free_vgpr 14
		.amdhsa_next_free_sgpr 16
		.amdhsa_reserve_vcc 1
		.amdhsa_float_round_mode_32 0
		.amdhsa_float_round_mode_16_64 0
		.amdhsa_float_denorm_mode_32 3
		.amdhsa_float_denorm_mode_16_64 3
		.amdhsa_dx10_clamp 1
		.amdhsa_ieee_mode 1
		.amdhsa_fp16_overflow 0
		.amdhsa_workgroup_processor_mode 1
		.amdhsa_memory_ordered 1
		.amdhsa_forward_progress 0
		.amdhsa_shared_vgpr_count 0
		.amdhsa_exception_fp_ieee_invalid_op 0
		.amdhsa_exception_fp_denorm_src 0
		.amdhsa_exception_fp_ieee_div_zero 0
		.amdhsa_exception_fp_ieee_overflow 0
		.amdhsa_exception_fp_ieee_underflow 0
		.amdhsa_exception_fp_ieee_inexact 0
		.amdhsa_exception_int_div_zero 0
	.end_amdhsa_kernel
	.section	.text._ZN2at6native27unrolled_elementwise_kernelINS0_13BUnaryFunctorIfffZZZNS0_12_GLOBAL__N_132hermite_polynomial_h_kernel_cudaERNS_18TensorIteratorBaseEENKUlvE_clEvENKUlvE0_clEvEUlffE_EESt5arrayIPcLm2EELi4E23TrivialOffsetCalculatorILi1EjESE_NS0_6memory15LoadWithoutCastENSF_16StoreWithoutCastEEEviT_T0_T2_T3_T4_T5_,"axG",@progbits,_ZN2at6native27unrolled_elementwise_kernelINS0_13BUnaryFunctorIfffZZZNS0_12_GLOBAL__N_132hermite_polynomial_h_kernel_cudaERNS_18TensorIteratorBaseEENKUlvE_clEvENKUlvE0_clEvEUlffE_EESt5arrayIPcLm2EELi4E23TrivialOffsetCalculatorILi1EjESE_NS0_6memory15LoadWithoutCastENSF_16StoreWithoutCastEEEviT_T0_T2_T3_T4_T5_,comdat
.Lfunc_end36:
	.size	_ZN2at6native27unrolled_elementwise_kernelINS0_13BUnaryFunctorIfffZZZNS0_12_GLOBAL__N_132hermite_polynomial_h_kernel_cudaERNS_18TensorIteratorBaseEENKUlvE_clEvENKUlvE0_clEvEUlffE_EESt5arrayIPcLm2EELi4E23TrivialOffsetCalculatorILi1EjESE_NS0_6memory15LoadWithoutCastENSF_16StoreWithoutCastEEEviT_T0_T2_T3_T4_T5_, .Lfunc_end36-_ZN2at6native27unrolled_elementwise_kernelINS0_13BUnaryFunctorIfffZZZNS0_12_GLOBAL__N_132hermite_polynomial_h_kernel_cudaERNS_18TensorIteratorBaseEENKUlvE_clEvENKUlvE0_clEvEUlffE_EESt5arrayIPcLm2EELi4E23TrivialOffsetCalculatorILi1EjESE_NS0_6memory15LoadWithoutCastENSF_16StoreWithoutCastEEEviT_T0_T2_T3_T4_T5_
                                        ; -- End function
	.section	.AMDGPU.csdata,"",@progbits
; Kernel info:
; codeLenInByte = 1732
; NumSgprs: 18
; NumVgprs: 14
; ScratchSize: 0
; MemoryBound: 0
; FloatMode: 240
; IeeeMode: 1
; LDSByteSize: 0 bytes/workgroup (compile time only)
; SGPRBlocks: 2
; VGPRBlocks: 1
; NumSGPRsForWavesPerEU: 18
; NumVGPRsForWavesPerEU: 14
; Occupancy: 16
; WaveLimiterHint : 0
; COMPUTE_PGM_RSRC2:SCRATCH_EN: 0
; COMPUTE_PGM_RSRC2:USER_SGPR: 15
; COMPUTE_PGM_RSRC2:TRAP_HANDLER: 0
; COMPUTE_PGM_RSRC2:TGID_X_EN: 1
; COMPUTE_PGM_RSRC2:TGID_Y_EN: 0
; COMPUTE_PGM_RSRC2:TGID_Z_EN: 0
; COMPUTE_PGM_RSRC2:TIDIG_COMP_CNT: 0
	.section	.text._ZN2at6native32elementwise_kernel_manual_unrollILi128ELi4EZNS0_22gpu_kernel_impl_nocastINS0_13BUnaryFunctorIfffZZZNS0_12_GLOBAL__N_132hermite_polynomial_h_kernel_cudaERNS_18TensorIteratorBaseEENKUlvE_clEvENKUlvE0_clEvEUlffE_EEEEvS6_RKT_EUlibE_EEviT1_,"axG",@progbits,_ZN2at6native32elementwise_kernel_manual_unrollILi128ELi4EZNS0_22gpu_kernel_impl_nocastINS0_13BUnaryFunctorIfffZZZNS0_12_GLOBAL__N_132hermite_polynomial_h_kernel_cudaERNS_18TensorIteratorBaseEENKUlvE_clEvENKUlvE0_clEvEUlffE_EEEEvS6_RKT_EUlibE_EEviT1_,comdat
	.globl	_ZN2at6native32elementwise_kernel_manual_unrollILi128ELi4EZNS0_22gpu_kernel_impl_nocastINS0_13BUnaryFunctorIfffZZZNS0_12_GLOBAL__N_132hermite_polynomial_h_kernel_cudaERNS_18TensorIteratorBaseEENKUlvE_clEvENKUlvE0_clEvEUlffE_EEEEvS6_RKT_EUlibE_EEviT1_ ; -- Begin function _ZN2at6native32elementwise_kernel_manual_unrollILi128ELi4EZNS0_22gpu_kernel_impl_nocastINS0_13BUnaryFunctorIfffZZZNS0_12_GLOBAL__N_132hermite_polynomial_h_kernel_cudaERNS_18TensorIteratorBaseEENKUlvE_clEvENKUlvE0_clEvEUlffE_EEEEvS6_RKT_EUlibE_EEviT1_
	.p2align	8
	.type	_ZN2at6native32elementwise_kernel_manual_unrollILi128ELi4EZNS0_22gpu_kernel_impl_nocastINS0_13BUnaryFunctorIfffZZZNS0_12_GLOBAL__N_132hermite_polynomial_h_kernel_cudaERNS_18TensorIteratorBaseEENKUlvE_clEvENKUlvE0_clEvEUlffE_EEEEvS6_RKT_EUlibE_EEviT1_,@function
_ZN2at6native32elementwise_kernel_manual_unrollILi128ELi4EZNS0_22gpu_kernel_impl_nocastINS0_13BUnaryFunctorIfffZZZNS0_12_GLOBAL__N_132hermite_polynomial_h_kernel_cudaERNS_18TensorIteratorBaseEENKUlvE_clEvENKUlvE0_clEvEUlffE_EEEEvS6_RKT_EUlibE_EEviT1_: ; @_ZN2at6native32elementwise_kernel_manual_unrollILi128ELi4EZNS0_22gpu_kernel_impl_nocastINS0_13BUnaryFunctorIfffZZZNS0_12_GLOBAL__N_132hermite_polynomial_h_kernel_cudaERNS_18TensorIteratorBaseEENKUlvE_clEvENKUlvE0_clEvEUlffE_EEEEvS6_RKT_EUlibE_EEviT1_
; %bb.0:
	s_clause 0x1
	s_load_b32 s26, s[0:1], 0x8
	s_load_b32 s34, s[0:1], 0x0
	v_lshl_or_b32 v3, s15, 9, v0
	s_or_b32 s0, s0, 8
	s_mov_b32 s2, exec_lo
	s_delay_alu instid0(VALU_DEP_1) | instskip(SKIP_2) | instid1(SALU_CYCLE_1)
	v_or_b32_e32 v8, 0x180, v3
	s_waitcnt lgkmcnt(0)
	s_add_i32 s27, s26, -1
	s_cmp_gt_u32 s27, 1
	s_cselect_b32 s28, -1, 0
	v_cmpx_le_i32_e64 s34, v8
	s_xor_b32 s29, exec_lo, s2
	s_cbranch_execz .LBB37_7
; %bb.1:
	s_load_b32 s22, s[0:1], 0x15c
	s_cmp_lg_u32 s26, 0
	s_clause 0x1
	s_load_b128 s[8:11], s[0:1], 0x4
	s_load_b64 s[18:19], s[0:1], 0x14
	s_cselect_b32 s36, -1, 0
	s_add_u32 s20, s0, 0xc4
	s_addc_u32 s21, s1, 0
	s_min_u32 s35, s27, 15
	s_clause 0x1
	s_load_b128 s[12:15], s[0:1], 0xc4
	s_load_b128 s[4:7], s[0:1], 0x148
	s_cmp_gt_u32 s26, 1
	s_mov_b32 s37, exec_lo
	s_cselect_b32 s33, -1, 0
	s_waitcnt lgkmcnt(0)
	v_trunc_f32_e32 v0, s22
	v_cmp_class_f32_e64 s22, s22, 0x1f8
	s_delay_alu instid0(VALU_DEP_2) | instskip(SKIP_1) | instid1(VALU_DEP_2)
	v_mul_f32_e64 v1, 0x2f800000, |v0|
	v_readfirstlane_b32 s16, v0
	v_floor_f32_e32 v1, v1
	s_delay_alu instid0(VALU_DEP_2) | instskip(NEXT) | instid1(SALU_CYCLE_1)
	s_ashr_i32 s16, s16, 31
	s_mov_b32 s17, s16
	s_delay_alu instid0(VALU_DEP_1) | instskip(SKIP_1) | instid1(VALU_DEP_2)
	v_fma_f32 v2, 0xcf800000, v1, |v0|
	v_cvt_u32_f32_e32 v0, v1
	v_cvt_u32_f32_e32 v1, v2
	s_delay_alu instid0(VALU_DEP_2) | instskip(NEXT) | instid1(VALU_DEP_2)
	v_readfirstlane_b32 s3, v0
	v_readfirstlane_b32 s2, v1
	s_delay_alu instid0(VALU_DEP_1) | instskip(NEXT) | instid1(SALU_CYCLE_1)
	s_xor_b64 s[2:3], s[2:3], s[16:17]
	s_sub_u32 s2, s2, s16
	s_subb_u32 s3, s3, s16
	s_and_b32 s16, s22, exec_lo
	s_cselect_b32 s17, s3, -1
	s_cselect_b32 s16, s2, -1
	s_delay_alu instid0(SALU_CYCLE_1)
	v_cmp_gt_i64_e64 s31, s[16:17], -1
	v_cmp_gt_u64_e64 s30, 0x81, s[16:17]
	s_lshl_b64 s[2:3], s[16:17], 1
	v_cmpx_gt_i32_e64 s34, v3
	s_cbranch_execz .LBB37_14
; %bb.2:
	s_and_not1_b32 vcc_lo, exec_lo, s28
	s_cbranch_vccnz .LBB37_21
; %bb.3:
	v_dual_mov_b32 v0, 0 :: v_dual_mov_b32 v1, 0
	s_and_not1_b32 vcc_lo, exec_lo, s36
	s_mov_b32 s38, 0
	s_cbranch_vccnz .LBB37_109
; %bb.4:
	v_mov_b32_e32 v0, 0
	s_add_i32 s40, s35, 1
	s_cmp_eq_u32 s27, 2
	s_mov_b32 s39, 0
	s_cbranch_scc1 .LBB37_105
; %bb.5:
	v_dual_mov_b32 v1, 0 :: v_dual_mov_b32 v0, 0
	v_mov_b32_e32 v2, v3
	s_and_b32 s39, s40, 28
	s_mov_b32 s41, 0
	s_mov_b64 s[22:23], s[20:21]
	s_mov_b64 s[24:25], s[0:1]
.LBB37_6:                               ; =>This Inner Loop Header: Depth=1
	s_clause 0x1
	s_load_b256 s[44:51], s[24:25], 0x4
	s_load_b128 s[60:63], s[24:25], 0x24
	s_load_b256 s[52:59], s[22:23], 0x0
	s_add_u32 s24, s24, 48
	s_addc_u32 s25, s25, 0
	s_add_i32 s41, s41, 4
	s_add_u32 s22, s22, 32
	s_addc_u32 s23, s23, 0
	s_cmp_lg_u32 s39, s41
	s_waitcnt lgkmcnt(0)
	v_mul_hi_u32 v4, s45, v2
	s_delay_alu instid0(VALU_DEP_1) | instskip(NEXT) | instid1(VALU_DEP_1)
	v_add_nc_u32_e32 v4, v2, v4
	v_lshrrev_b32_e32 v4, s46, v4
	s_delay_alu instid0(VALU_DEP_1) | instskip(SKIP_1) | instid1(VALU_DEP_2)
	v_mul_hi_u32 v5, s48, v4
	v_mul_lo_u32 v7, v4, s44
	v_add_nc_u32_e32 v5, v4, v5
	s_delay_alu instid0(VALU_DEP_2) | instskip(NEXT) | instid1(VALU_DEP_2)
	v_sub_nc_u32_e32 v2, v2, v7
	v_lshrrev_b32_e32 v5, s49, v5
	s_delay_alu instid0(VALU_DEP_2) | instskip(SKIP_1) | instid1(VALU_DEP_3)
	v_mul_lo_u32 v7, v2, s52
	v_mul_lo_u32 v9, v2, s53
	v_mul_hi_u32 v6, s51, v5
	s_delay_alu instid0(VALU_DEP_1) | instskip(NEXT) | instid1(VALU_DEP_1)
	v_add_nc_u32_e32 v6, v5, v6
	v_lshrrev_b32_e32 v6, s60, v6
	s_delay_alu instid0(VALU_DEP_1) | instskip(SKIP_1) | instid1(VALU_DEP_2)
	v_mul_hi_u32 v8, s62, v6
	v_mul_lo_u32 v10, v6, s50
	v_add_nc_u32_e32 v2, v6, v8
	v_mul_lo_u32 v8, v5, s47
	s_delay_alu instid0(VALU_DEP_3) | instskip(NEXT) | instid1(VALU_DEP_3)
	v_sub_nc_u32_e32 v5, v5, v10
	v_lshrrev_b32_e32 v2, s63, v2
	s_delay_alu instid0(VALU_DEP_2) | instskip(SKIP_2) | instid1(VALU_DEP_4)
	v_mul_lo_u32 v10, v5, s56
	v_mul_lo_u32 v5, v5, s57
	v_sub_nc_u32_e32 v4, v4, v8
	v_mul_lo_u32 v11, v2, s61
	s_delay_alu instid0(VALU_DEP_2) | instskip(SKIP_1) | instid1(VALU_DEP_3)
	v_mul_lo_u32 v8, v4, s54
	v_mul_lo_u32 v4, v4, s55
	v_sub_nc_u32_e32 v6, v6, v11
	s_delay_alu instid0(VALU_DEP_3) | instskip(NEXT) | instid1(VALU_DEP_2)
	v_add3_u32 v0, v7, v0, v8
	v_mul_lo_u32 v11, v6, s58
	v_mul_lo_u32 v6, v6, s59
	v_add3_u32 v1, v9, v1, v4
	s_delay_alu instid0(VALU_DEP_3) | instskip(NEXT) | instid1(VALU_DEP_2)
	v_add3_u32 v0, v10, v0, v11
	v_add3_u32 v1, v5, v1, v6
	s_cbranch_scc1 .LBB37_6
	s_branch .LBB37_106
.LBB37_7:
	s_and_not1_saveexec_b32 s2, s29
	s_cbranch_execz .LBB37_164
.LBB37_8:
	v_cndmask_b32_e64 v6, 0, 1, s28
	s_and_not1_b32 vcc_lo, exec_lo, s28
	s_cbranch_vccnz .LBB37_20
; %bb.9:
	v_mov_b32_e32 v0, 0
	v_mov_b32_e32 v2, 0
	s_cmp_lg_u32 s26, 0
	s_mov_b32 s6, 0
	s_cbranch_scc0 .LBB37_26
; %bb.10:
	s_min_u32 s7, s27, 15
	v_mov_b32_e32 v0, 0
	s_add_i32 s7, s7, 1
	s_cmp_eq_u32 s27, 2
	s_mov_b32 s8, 0
	s_cbranch_scc1 .LBB37_23
; %bb.11:
	s_waitcnt vmcnt(0)
	v_dual_mov_b32 v2, 0 :: v_dual_mov_b32 v1, v3
	v_mov_b32_e32 v0, 0
	s_add_u32 s2, s0, 0xc4
	s_addc_u32 s3, s1, 0
	s_and_b32 s8, s7, 28
	s_mov_b32 s9, 0
	s_mov_b64 s[4:5], s[0:1]
.LBB37_12:                              ; =>This Inner Loop Header: Depth=1
	s_clause 0x1
	s_load_b256 s[12:19], s[4:5], 0x4
	s_load_b128 s[20:23], s[4:5], 0x24
	s_load_b256 s[36:43], s[2:3], 0x0
	s_add_u32 s4, s4, 48
	s_addc_u32 s5, s5, 0
	s_add_i32 s9, s9, 4
	s_add_u32 s2, s2, 32
	s_addc_u32 s3, s3, 0
	s_cmp_lg_u32 s8, s9
	s_waitcnt lgkmcnt(0)
	v_mul_hi_u32 v4, s13, v1
	s_delay_alu instid0(VALU_DEP_1) | instskip(NEXT) | instid1(VALU_DEP_1)
	v_add_nc_u32_e32 v4, v1, v4
	v_lshrrev_b32_e32 v4, s14, v4
	s_delay_alu instid0(VALU_DEP_1) | instskip(SKIP_1) | instid1(VALU_DEP_2)
	v_mul_hi_u32 v5, s16, v4
	v_mul_lo_u32 v9, v4, s12
	v_add_nc_u32_e32 v5, v4, v5
	s_delay_alu instid0(VALU_DEP_2) | instskip(NEXT) | instid1(VALU_DEP_2)
	v_sub_nc_u32_e32 v1, v1, v9
	v_lshrrev_b32_e32 v5, s17, v5
	s_delay_alu instid0(VALU_DEP_2) | instskip(SKIP_1) | instid1(VALU_DEP_3)
	v_mul_lo_u32 v9, v1, s36
	v_mul_lo_u32 v11, v1, s37
	v_mul_hi_u32 v7, s19, v5
	s_delay_alu instid0(VALU_DEP_1) | instskip(NEXT) | instid1(VALU_DEP_1)
	v_add_nc_u32_e32 v7, v5, v7
	v_lshrrev_b32_e32 v7, s20, v7
	s_delay_alu instid0(VALU_DEP_1) | instskip(SKIP_1) | instid1(VALU_DEP_2)
	v_mul_hi_u32 v10, s22, v7
	v_mul_lo_u32 v12, v7, s18
	v_add_nc_u32_e32 v1, v7, v10
	v_mul_lo_u32 v10, v5, s15
	s_delay_alu instid0(VALU_DEP_3) | instskip(NEXT) | instid1(VALU_DEP_3)
	v_sub_nc_u32_e32 v5, v5, v12
	v_lshrrev_b32_e32 v1, s23, v1
	s_delay_alu instid0(VALU_DEP_2) | instskip(SKIP_2) | instid1(VALU_DEP_4)
	v_mul_lo_u32 v12, v5, s40
	v_mul_lo_u32 v5, v5, s41
	v_sub_nc_u32_e32 v4, v4, v10
	v_mul_lo_u32 v13, v1, s21
	s_delay_alu instid0(VALU_DEP_2) | instskip(SKIP_1) | instid1(VALU_DEP_3)
	v_mul_lo_u32 v10, v4, s38
	v_mul_lo_u32 v4, v4, s39
	v_sub_nc_u32_e32 v7, v7, v13
	s_delay_alu instid0(VALU_DEP_3) | instskip(NEXT) | instid1(VALU_DEP_2)
	v_add3_u32 v0, v9, v0, v10
	v_mul_lo_u32 v13, v7, s42
	v_mul_lo_u32 v7, v7, s43
	v_add3_u32 v2, v11, v2, v4
	s_delay_alu instid0(VALU_DEP_3) | instskip(NEXT) | instid1(VALU_DEP_2)
	v_add3_u32 v0, v12, v0, v13
	v_add3_u32 v2, v5, v2, v7
	s_cbranch_scc1 .LBB37_12
; %bb.13:
	s_and_b32 s7, s7, 3
	s_delay_alu instid0(SALU_CYCLE_1)
	s_cmp_eq_u32 s7, 0
	s_cbranch_scc0 .LBB37_24
	s_branch .LBB37_26
.LBB37_14:
	s_or_b32 exec_lo, exec_lo, s37
	s_delay_alu instid0(SALU_CYCLE_1)
	s_mov_b32 s37, exec_lo
	v_cmpx_gt_i32_e64 s34, v3
	s_cbranch_execz .LBB37_137
.LBB37_15:
	s_and_not1_b32 vcc_lo, exec_lo, s28
	s_cbranch_vccnz .LBB37_22
; %bb.16:
	s_waitcnt vmcnt(0)
	v_dual_mov_b32 v0, 0 :: v_dual_mov_b32 v1, 0
	s_and_not1_b32 vcc_lo, exec_lo, s36
	s_mov_b32 s38, 0
	s_cbranch_vccnz .LBB37_123
; %bb.17:
	v_mov_b32_e32 v0, 0
	s_add_i32 s40, s35, 1
	s_cmp_eq_u32 s27, 2
	s_mov_b32 s39, 0
	s_cbranch_scc1 .LBB37_119
; %bb.18:
	v_dual_mov_b32 v1, 0 :: v_dual_mov_b32 v0, 0
	v_mov_b32_e32 v2, v3
	s_and_b32 s39, s40, 28
	s_mov_b32 s41, 0
	s_mov_b64 s[22:23], s[20:21]
	s_mov_b64 s[24:25], s[0:1]
.LBB37_19:                              ; =>This Inner Loop Header: Depth=1
	s_clause 0x1
	s_load_b256 s[44:51], s[24:25], 0x4
	s_load_b128 s[60:63], s[24:25], 0x24
	s_load_b256 s[52:59], s[22:23], 0x0
	s_add_u32 s24, s24, 48
	s_addc_u32 s25, s25, 0
	s_add_i32 s41, s41, 4
	s_add_u32 s22, s22, 32
	s_addc_u32 s23, s23, 0
	s_cmp_eq_u32 s39, s41
	s_waitcnt lgkmcnt(0)
	v_mul_hi_u32 v4, s45, v2
	s_delay_alu instid0(VALU_DEP_1) | instskip(NEXT) | instid1(VALU_DEP_1)
	v_add_nc_u32_e32 v4, v2, v4
	v_lshrrev_b32_e32 v4, s46, v4
	s_delay_alu instid0(VALU_DEP_1) | instskip(SKIP_1) | instid1(VALU_DEP_2)
	v_mul_hi_u32 v5, s48, v4
	v_mul_lo_u32 v7, v4, s44
	v_add_nc_u32_e32 v5, v4, v5
	s_delay_alu instid0(VALU_DEP_2) | instskip(NEXT) | instid1(VALU_DEP_2)
	v_sub_nc_u32_e32 v2, v2, v7
	v_lshrrev_b32_e32 v5, s49, v5
	s_delay_alu instid0(VALU_DEP_2) | instskip(SKIP_1) | instid1(VALU_DEP_3)
	v_mul_lo_u32 v7, v2, s52
	v_mul_lo_u32 v9, v2, s53
	v_mul_hi_u32 v6, s51, v5
	s_delay_alu instid0(VALU_DEP_1) | instskip(NEXT) | instid1(VALU_DEP_1)
	v_add_nc_u32_e32 v6, v5, v6
	v_lshrrev_b32_e32 v6, s60, v6
	s_delay_alu instid0(VALU_DEP_1) | instskip(SKIP_1) | instid1(VALU_DEP_2)
	v_mul_hi_u32 v8, s62, v6
	v_mul_lo_u32 v10, v6, s50
	v_add_nc_u32_e32 v2, v6, v8
	v_mul_lo_u32 v8, v5, s47
	s_delay_alu instid0(VALU_DEP_3) | instskip(NEXT) | instid1(VALU_DEP_3)
	v_sub_nc_u32_e32 v5, v5, v10
	v_lshrrev_b32_e32 v2, s63, v2
	s_delay_alu instid0(VALU_DEP_2) | instskip(SKIP_2) | instid1(VALU_DEP_4)
	v_mul_lo_u32 v10, v5, s56
	v_mul_lo_u32 v5, v5, s57
	v_sub_nc_u32_e32 v4, v4, v8
	v_mul_lo_u32 v11, v2, s61
	s_delay_alu instid0(VALU_DEP_2) | instskip(SKIP_1) | instid1(VALU_DEP_3)
	v_mul_lo_u32 v8, v4, s54
	v_mul_lo_u32 v4, v4, s55
	v_sub_nc_u32_e32 v6, v6, v11
	s_delay_alu instid0(VALU_DEP_3) | instskip(NEXT) | instid1(VALU_DEP_2)
	v_add3_u32 v0, v7, v0, v8
	v_mul_lo_u32 v11, v6, s58
	v_mul_lo_u32 v6, v6, s59
	v_add3_u32 v1, v9, v1, v4
	s_delay_alu instid0(VALU_DEP_3) | instskip(NEXT) | instid1(VALU_DEP_2)
	v_add3_u32 v0, v10, v0, v11
	v_add3_u32 v1, v5, v1, v6
	s_cbranch_scc0 .LBB37_19
	s_branch .LBB37_120
.LBB37_20:
	s_mov_b32 s6, -1
                                        ; implicit-def: $vgpr0
                                        ; implicit-def: $vgpr2
	s_branch .LBB37_26
.LBB37_21:
	s_mov_b32 s38, -1
                                        ; implicit-def: $vgpr0
                                        ; implicit-def: $vgpr1
	s_branch .LBB37_109
.LBB37_22:
	s_mov_b32 s38, -1
                                        ; implicit-def: $vgpr0
                                        ; implicit-def: $vgpr1
	s_branch .LBB37_123
.LBB37_23:
	s_waitcnt vmcnt(0)
	v_dual_mov_b32 v1, v3 :: v_dual_mov_b32 v2, 0
	s_and_b32 s7, s7, 3
	s_delay_alu instid0(SALU_CYCLE_1)
	s_cmp_eq_u32 s7, 0
	s_cbranch_scc1 .LBB37_26
.LBB37_24:
	s_lshl_b32 s2, s8, 3
	s_mul_i32 s4, s8, 12
	s_add_u32 s2, s2, s0
	s_addc_u32 s3, 0, s1
	s_add_u32 s2, s2, 0xc4
	s_addc_u32 s3, s3, 0
	;; [unrolled: 2-line block ×3, first 2 shown]
	.p2align	6
.LBB37_25:                              ; =>This Inner Loop Header: Depth=1
	s_clause 0x1
	s_load_b64 s[8:9], s[4:5], 0x4
	s_load_b32 s12, s[4:5], 0xc
	s_load_b64 s[10:11], s[2:3], 0x0
	s_add_u32 s4, s4, 12
	s_addc_u32 s5, s5, 0
	s_add_u32 s2, s2, 8
	s_addc_u32 s3, s3, 0
	s_add_i32 s7, s7, -1
	s_delay_alu instid0(SALU_CYCLE_1) | instskip(SKIP_2) | instid1(VALU_DEP_1)
	s_cmp_lg_u32 s7, 0
	s_waitcnt lgkmcnt(0)
	v_mul_hi_u32 v4, s9, v1
	v_add_nc_u32_e32 v4, v1, v4
	s_delay_alu instid0(VALU_DEP_1) | instskip(NEXT) | instid1(VALU_DEP_1)
	v_lshrrev_b32_e32 v7, s12, v4
	v_mul_lo_u32 v4, v7, s8
	s_delay_alu instid0(VALU_DEP_1) | instskip(NEXT) | instid1(VALU_DEP_1)
	v_sub_nc_u32_e32 v1, v1, v4
	v_mad_u64_u32 v[4:5], null, v1, s10, v[0:1]
	v_mad_u64_u32 v[9:10], null, v1, s11, v[2:3]
	s_delay_alu instid0(VALU_DEP_2) | instskip(NEXT) | instid1(VALU_DEP_2)
	v_dual_mov_b32 v1, v7 :: v_dual_mov_b32 v0, v4
	v_mov_b32_e32 v2, v9
	s_cbranch_scc1 .LBB37_25
.LBB37_26:
	s_and_not1_b32 vcc_lo, exec_lo, s6
	s_cbranch_vccnz .LBB37_29
; %bb.27:
	s_clause 0x1
	s_load_b128 s[4:7], s[0:1], 0x4
	s_load_b64 s[2:3], s[0:1], 0xc4
	s_cmp_lt_u32 s26, 2
	s_waitcnt lgkmcnt(0)
	v_mul_hi_u32 v0, s5, v3
	s_delay_alu instid0(VALU_DEP_1) | instskip(SKIP_1) | instid1(VALU_DEP_1)
	v_add_nc_u32_e32 v0, v3, v0
	s_waitcnt vmcnt(0)
	v_lshrrev_b32_e32 v1, s6, v0
	s_delay_alu instid0(VALU_DEP_1) | instskip(NEXT) | instid1(VALU_DEP_1)
	v_mul_lo_u32 v0, v1, s4
	v_sub_nc_u32_e32 v2, v3, v0
	s_delay_alu instid0(VALU_DEP_1)
	v_mul_lo_u32 v0, v2, s2
	v_mul_lo_u32 v2, v2, s3
	s_cbranch_scc1 .LBB37_29
; %bb.28:
	s_clause 0x1
	s_load_b128 s[4:7], s[0:1], 0x10
	s_load_b64 s[2:3], s[0:1], 0xcc
	s_waitcnt lgkmcnt(0)
	v_mul_hi_u32 v4, s5, v1
	s_delay_alu instid0(VALU_DEP_1) | instskip(NEXT) | instid1(VALU_DEP_1)
	v_add_nc_u32_e32 v4, v1, v4
	v_lshrrev_b32_e32 v4, s6, v4
	s_delay_alu instid0(VALU_DEP_1) | instskip(NEXT) | instid1(VALU_DEP_1)
	v_mul_lo_u32 v4, v4, s4
	v_sub_nc_u32_e32 v1, v1, v4
	s_delay_alu instid0(VALU_DEP_1) | instskip(SKIP_1) | instid1(VALU_DEP_2)
	v_mad_u64_u32 v[4:5], null, v1, s2, v[0:1]
	v_mad_u64_u32 v[9:10], null, v1, s3, v[2:3]
	v_mov_b32_e32 v0, v4
	s_delay_alu instid0(VALU_DEP_2)
	v_mov_b32_e32 v2, v9
.LBB37_29:
	v_cmp_ne_u32_e32 vcc_lo, 1, v6
	v_add_nc_u32_e32 v5, 0x80, v3
	s_cbranch_vccnz .LBB37_35
; %bb.30:
	s_waitcnt vmcnt(0)
	v_dual_mov_b32 v1, 0 :: v_dual_mov_b32 v4, 0
	s_cmp_lg_u32 s26, 0
	s_mov_b32 s6, 0
	s_cbranch_scc0 .LBB37_39
; %bb.31:
	s_min_u32 s7, s27, 15
	v_mov_b32_e32 v1, 0
	s_add_i32 s7, s7, 1
	s_cmp_eq_u32 s27, 2
	s_mov_b32 s8, 0
	s_cbranch_scc1 .LBB37_36
; %bb.32:
	v_dual_mov_b32 v4, 0 :: v_dual_mov_b32 v1, 0
	v_mov_b32_e32 v7, v5
	s_add_u32 s2, s0, 0xc4
	s_addc_u32 s3, s1, 0
	s_and_b32 s8, s7, 28
	s_mov_b32 s9, 0
	s_mov_b64 s[4:5], s[0:1]
.LBB37_33:                              ; =>This Inner Loop Header: Depth=1
	s_clause 0x1
	s_load_b256 s[12:19], s[4:5], 0x4
	s_load_b128 s[20:23], s[4:5], 0x24
	s_load_b256 s[36:43], s[2:3], 0x0
	s_add_u32 s4, s4, 48
	s_addc_u32 s5, s5, 0
	s_add_i32 s9, s9, 4
	s_add_u32 s2, s2, 32
	s_addc_u32 s3, s3, 0
	s_cmp_lg_u32 s8, s9
	s_waitcnt lgkmcnt(0)
	v_mul_hi_u32 v9, s13, v7
	s_delay_alu instid0(VALU_DEP_1) | instskip(NEXT) | instid1(VALU_DEP_1)
	v_add_nc_u32_e32 v9, v7, v9
	v_lshrrev_b32_e32 v9, s14, v9
	s_delay_alu instid0(VALU_DEP_1) | instskip(SKIP_1) | instid1(VALU_DEP_2)
	v_mul_hi_u32 v10, s16, v9
	v_mul_lo_u32 v12, v9, s12
	v_add_nc_u32_e32 v10, v9, v10
	s_delay_alu instid0(VALU_DEP_2) | instskip(NEXT) | instid1(VALU_DEP_2)
	v_sub_nc_u32_e32 v7, v7, v12
	v_lshrrev_b32_e32 v10, s17, v10
	s_delay_alu instid0(VALU_DEP_2) | instskip(SKIP_1) | instid1(VALU_DEP_3)
	v_mul_lo_u32 v12, v7, s36
	v_mul_lo_u32 v14, v7, s37
	v_mul_hi_u32 v11, s19, v10
	s_delay_alu instid0(VALU_DEP_1) | instskip(NEXT) | instid1(VALU_DEP_1)
	v_add_nc_u32_e32 v11, v10, v11
	v_lshrrev_b32_e32 v11, s20, v11
	s_delay_alu instid0(VALU_DEP_1) | instskip(SKIP_1) | instid1(VALU_DEP_2)
	v_mul_hi_u32 v13, s22, v11
	v_mul_lo_u32 v15, v11, s18
	v_add_nc_u32_e32 v7, v11, v13
	v_mul_lo_u32 v13, v10, s15
	s_delay_alu instid0(VALU_DEP_3) | instskip(NEXT) | instid1(VALU_DEP_3)
	v_sub_nc_u32_e32 v10, v10, v15
	v_lshrrev_b32_e32 v7, s23, v7
	s_delay_alu instid0(VALU_DEP_2) | instskip(SKIP_2) | instid1(VALU_DEP_4)
	v_mul_lo_u32 v15, v10, s40
	v_mul_lo_u32 v10, v10, s41
	v_sub_nc_u32_e32 v9, v9, v13
	v_mul_lo_u32 v16, v7, s21
	s_delay_alu instid0(VALU_DEP_2) | instskip(SKIP_1) | instid1(VALU_DEP_3)
	v_mul_lo_u32 v13, v9, s38
	v_mul_lo_u32 v9, v9, s39
	v_sub_nc_u32_e32 v11, v11, v16
	s_delay_alu instid0(VALU_DEP_3) | instskip(NEXT) | instid1(VALU_DEP_2)
	v_add3_u32 v1, v12, v1, v13
	v_mul_lo_u32 v16, v11, s42
	v_mul_lo_u32 v11, v11, s43
	v_add3_u32 v4, v14, v4, v9
	s_delay_alu instid0(VALU_DEP_3) | instskip(NEXT) | instid1(VALU_DEP_2)
	v_add3_u32 v1, v15, v1, v16
	v_add3_u32 v4, v10, v4, v11
	s_cbranch_scc1 .LBB37_33
; %bb.34:
	s_and_b32 s7, s7, 3
	s_delay_alu instid0(SALU_CYCLE_1)
	s_cmp_eq_u32 s7, 0
	s_cbranch_scc0 .LBB37_37
	s_branch .LBB37_39
.LBB37_35:
	s_mov_b32 s6, -1
                                        ; implicit-def: $vgpr1
                                        ; implicit-def: $vgpr4
	s_branch .LBB37_39
.LBB37_36:
	v_dual_mov_b32 v7, v5 :: v_dual_mov_b32 v4, 0
	s_and_b32 s7, s7, 3
	s_delay_alu instid0(SALU_CYCLE_1)
	s_cmp_eq_u32 s7, 0
	s_cbranch_scc1 .LBB37_39
.LBB37_37:
	s_lshl_b32 s2, s8, 3
	s_mul_i32 s4, s8, 12
	s_add_u32 s2, s2, s0
	s_addc_u32 s3, 0, s1
	s_add_u32 s2, s2, 0xc4
	s_addc_u32 s3, s3, 0
	s_add_u32 s4, s0, s4
	s_addc_u32 s5, 0, s1
	.p2align	6
.LBB37_38:                              ; =>This Inner Loop Header: Depth=1
	s_clause 0x1
	s_load_b64 s[8:9], s[4:5], 0x4
	s_load_b32 s12, s[4:5], 0xc
	s_load_b64 s[10:11], s[2:3], 0x0
	s_add_u32 s4, s4, 12
	s_addc_u32 s5, s5, 0
	s_add_u32 s2, s2, 8
	s_addc_u32 s3, s3, 0
	s_add_i32 s7, s7, -1
	s_delay_alu instid0(SALU_CYCLE_1) | instskip(SKIP_2) | instid1(VALU_DEP_1)
	s_cmp_lg_u32 s7, 0
	s_waitcnt lgkmcnt(0)
	v_mul_hi_u32 v9, s9, v7
	v_add_nc_u32_e32 v9, v7, v9
	s_delay_alu instid0(VALU_DEP_1) | instskip(NEXT) | instid1(VALU_DEP_1)
	v_lshrrev_b32_e32 v12, s12, v9
	v_mul_lo_u32 v9, v12, s8
	s_delay_alu instid0(VALU_DEP_1) | instskip(NEXT) | instid1(VALU_DEP_1)
	v_sub_nc_u32_e32 v7, v7, v9
	v_mad_u64_u32 v[9:10], null, v7, s10, v[1:2]
	v_mad_u64_u32 v[10:11], null, v7, s11, v[4:5]
	v_mov_b32_e32 v7, v12
	s_delay_alu instid0(VALU_DEP_2)
	v_dual_mov_b32 v1, v9 :: v_dual_mov_b32 v4, v10
	s_cbranch_scc1 .LBB37_38
.LBB37_39:
	s_and_not1_b32 vcc_lo, exec_lo, s6
	s_cbranch_vccnz .LBB37_42
; %bb.40:
	s_clause 0x1
	s_load_b128 s[4:7], s[0:1], 0x4
	s_load_b64 s[2:3], s[0:1], 0xc4
	s_cmp_lt_u32 s26, 2
	s_waitcnt vmcnt(0) lgkmcnt(0)
	v_mul_hi_u32 v1, s5, v5
	s_delay_alu instid0(VALU_DEP_1) | instskip(NEXT) | instid1(VALU_DEP_1)
	v_add_nc_u32_e32 v1, v5, v1
	v_lshrrev_b32_e32 v7, s6, v1
	s_delay_alu instid0(VALU_DEP_1) | instskip(NEXT) | instid1(VALU_DEP_1)
	v_mul_lo_u32 v1, v7, s4
	v_sub_nc_u32_e32 v4, v5, v1
	s_delay_alu instid0(VALU_DEP_1)
	v_mul_lo_u32 v1, v4, s2
	v_mul_lo_u32 v4, v4, s3
	s_cbranch_scc1 .LBB37_42
; %bb.41:
	s_clause 0x1
	s_load_b128 s[4:7], s[0:1], 0x10
	s_load_b64 s[2:3], s[0:1], 0xcc
	s_waitcnt lgkmcnt(0)
	v_mul_hi_u32 v5, s5, v7
	s_delay_alu instid0(VALU_DEP_1) | instskip(NEXT) | instid1(VALU_DEP_1)
	v_add_nc_u32_e32 v5, v7, v5
	v_lshrrev_b32_e32 v5, s6, v5
	s_delay_alu instid0(VALU_DEP_1) | instskip(NEXT) | instid1(VALU_DEP_1)
	v_mul_lo_u32 v5, v5, s4
	v_sub_nc_u32_e32 v5, v7, v5
	s_delay_alu instid0(VALU_DEP_1) | instskip(SKIP_1) | instid1(VALU_DEP_1)
	v_mad_u64_u32 v[9:10], null, v5, s2, v[1:2]
	v_mad_u64_u32 v[10:11], null, v5, s3, v[4:5]
	v_dual_mov_b32 v1, v9 :: v_dual_mov_b32 v4, v10
.LBB37_42:
	v_cmp_ne_u32_e32 vcc_lo, 1, v6
	v_add_nc_u32_e32 v7, 0x100, v3
	s_cbranch_vccnz .LBB37_48
; %bb.43:
	v_mov_b32_e32 v3, 0
	v_mov_b32_e32 v5, 0
	s_cmp_lg_u32 s26, 0
	s_mov_b32 s6, 0
	s_cbranch_scc0 .LBB37_52
; %bb.44:
	s_min_u32 s7, s27, 15
	v_mov_b32_e32 v3, 0
	s_add_i32 s7, s7, 1
	s_cmp_eq_u32 s27, 2
	s_mov_b32 s8, 0
	s_cbranch_scc1 .LBB37_49
; %bb.45:
	v_mov_b32_e32 v5, 0
	v_mov_b32_e32 v3, 0
	;; [unrolled: 1-line block ×3, first 2 shown]
	s_add_u32 s2, s0, 0xc4
	s_addc_u32 s3, s1, 0
	s_and_b32 s8, s7, 28
	s_mov_b32 s9, 0
	s_mov_b64 s[4:5], s[0:1]
.LBB37_46:                              ; =>This Inner Loop Header: Depth=1
	s_clause 0x1
	s_load_b256 s[12:19], s[4:5], 0x4
	s_load_b128 s[20:23], s[4:5], 0x24
	s_load_b256 s[36:43], s[2:3], 0x0
	s_add_u32 s4, s4, 48
	s_addc_u32 s5, s5, 0
	s_add_i32 s9, s9, 4
	s_add_u32 s2, s2, 32
	s_addc_u32 s3, s3, 0
	s_cmp_lg_u32 s8, s9
	s_waitcnt lgkmcnt(0)
	v_mul_hi_u32 v10, s13, v9
	s_delay_alu instid0(VALU_DEP_1) | instskip(NEXT) | instid1(VALU_DEP_1)
	v_add_nc_u32_e32 v10, v9, v10
	v_lshrrev_b32_e32 v10, s14, v10
	s_delay_alu instid0(VALU_DEP_1) | instskip(SKIP_1) | instid1(VALU_DEP_2)
	v_mul_hi_u32 v11, s16, v10
	v_mul_lo_u32 v13, v10, s12
	v_add_nc_u32_e32 v11, v10, v11
	s_delay_alu instid0(VALU_DEP_2) | instskip(NEXT) | instid1(VALU_DEP_2)
	v_sub_nc_u32_e32 v9, v9, v13
	v_lshrrev_b32_e32 v11, s17, v11
	s_delay_alu instid0(VALU_DEP_2) | instskip(SKIP_1) | instid1(VALU_DEP_3)
	v_mul_lo_u32 v13, v9, s36
	v_mul_lo_u32 v15, v9, s37
	v_mul_hi_u32 v12, s19, v11
	s_delay_alu instid0(VALU_DEP_1) | instskip(NEXT) | instid1(VALU_DEP_1)
	v_add_nc_u32_e32 v12, v11, v12
	v_lshrrev_b32_e32 v12, s20, v12
	s_delay_alu instid0(VALU_DEP_1) | instskip(SKIP_1) | instid1(VALU_DEP_2)
	v_mul_hi_u32 v14, s22, v12
	v_mul_lo_u32 v16, v12, s18
	v_add_nc_u32_e32 v9, v12, v14
	v_mul_lo_u32 v14, v11, s15
	s_delay_alu instid0(VALU_DEP_3) | instskip(NEXT) | instid1(VALU_DEP_3)
	v_sub_nc_u32_e32 v11, v11, v16
	v_lshrrev_b32_e32 v9, s23, v9
	s_delay_alu instid0(VALU_DEP_2) | instskip(SKIP_2) | instid1(VALU_DEP_4)
	v_mul_lo_u32 v16, v11, s40
	v_mul_lo_u32 v11, v11, s41
	v_sub_nc_u32_e32 v10, v10, v14
	v_mul_lo_u32 v17, v9, s21
	s_delay_alu instid0(VALU_DEP_2) | instskip(SKIP_1) | instid1(VALU_DEP_3)
	v_mul_lo_u32 v14, v10, s38
	v_mul_lo_u32 v10, v10, s39
	v_sub_nc_u32_e32 v12, v12, v17
	s_delay_alu instid0(VALU_DEP_3) | instskip(NEXT) | instid1(VALU_DEP_2)
	v_add3_u32 v3, v13, v3, v14
	v_mul_lo_u32 v17, v12, s42
	v_mul_lo_u32 v12, v12, s43
	v_add3_u32 v5, v15, v5, v10
	s_delay_alu instid0(VALU_DEP_3) | instskip(NEXT) | instid1(VALU_DEP_2)
	v_add3_u32 v3, v16, v3, v17
	v_add3_u32 v5, v11, v5, v12
	s_cbranch_scc1 .LBB37_46
; %bb.47:
	s_and_b32 s7, s7, 3
	s_delay_alu instid0(SALU_CYCLE_1)
	s_cmp_eq_u32 s7, 0
	s_cbranch_scc0 .LBB37_50
	s_branch .LBB37_52
.LBB37_48:
	s_mov_b32 s6, -1
                                        ; implicit-def: $vgpr3
                                        ; implicit-def: $vgpr5
	s_branch .LBB37_52
.LBB37_49:
	v_mov_b32_e32 v9, v7
	v_mov_b32_e32 v5, 0
	s_and_b32 s7, s7, 3
	s_delay_alu instid0(SALU_CYCLE_1)
	s_cmp_eq_u32 s7, 0
	s_cbranch_scc1 .LBB37_52
.LBB37_50:
	s_lshl_b32 s2, s8, 3
	s_mul_i32 s4, s8, 12
	s_add_u32 s2, s2, s0
	s_addc_u32 s3, 0, s1
	s_add_u32 s2, s2, 0xc4
	s_addc_u32 s3, s3, 0
	;; [unrolled: 2-line block ×3, first 2 shown]
	.p2align	6
.LBB37_51:                              ; =>This Inner Loop Header: Depth=1
	s_clause 0x1
	s_load_b64 s[8:9], s[4:5], 0x4
	s_load_b32 s12, s[4:5], 0xc
	s_load_b64 s[10:11], s[2:3], 0x0
	s_add_u32 s4, s4, 12
	s_addc_u32 s5, s5, 0
	s_add_u32 s2, s2, 8
	s_addc_u32 s3, s3, 0
	s_add_i32 s7, s7, -1
	s_delay_alu instid0(SALU_CYCLE_1) | instskip(SKIP_2) | instid1(VALU_DEP_1)
	s_cmp_lg_u32 s7, 0
	s_waitcnt lgkmcnt(0)
	v_mul_hi_u32 v10, s9, v9
	v_add_nc_u32_e32 v10, v9, v10
	s_delay_alu instid0(VALU_DEP_1) | instskip(NEXT) | instid1(VALU_DEP_1)
	v_lshrrev_b32_e32 v13, s12, v10
	v_mul_lo_u32 v10, v13, s8
	s_delay_alu instid0(VALU_DEP_1) | instskip(NEXT) | instid1(VALU_DEP_1)
	v_sub_nc_u32_e32 v9, v9, v10
	v_mad_u64_u32 v[10:11], null, v9, s10, v[3:4]
	v_mad_u64_u32 v[11:12], null, v9, s11, v[5:6]
	v_mov_b32_e32 v9, v13
	s_delay_alu instid0(VALU_DEP_3) | instskip(NEXT) | instid1(VALU_DEP_3)
	v_mov_b32_e32 v3, v10
	v_mov_b32_e32 v5, v11
	s_cbranch_scc1 .LBB37_51
.LBB37_52:
	s_and_not1_b32 vcc_lo, exec_lo, s6
	s_cbranch_vccnz .LBB37_55
; %bb.53:
	s_clause 0x1
	s_load_b128 s[4:7], s[0:1], 0x4
	s_load_b64 s[2:3], s[0:1], 0xc4
	s_cmp_lt_u32 s26, 2
	s_waitcnt lgkmcnt(0)
	v_mul_hi_u32 v3, s5, v7
	s_delay_alu instid0(VALU_DEP_1) | instskip(NEXT) | instid1(VALU_DEP_1)
	v_add_nc_u32_e32 v3, v7, v3
	v_lshrrev_b32_e32 v9, s6, v3
	s_delay_alu instid0(VALU_DEP_1) | instskip(NEXT) | instid1(VALU_DEP_1)
	v_mul_lo_u32 v3, v9, s4
	v_sub_nc_u32_e32 v5, v7, v3
	s_delay_alu instid0(VALU_DEP_1)
	v_mul_lo_u32 v3, v5, s2
	v_mul_lo_u32 v5, v5, s3
	s_cbranch_scc1 .LBB37_55
; %bb.54:
	s_clause 0x1
	s_load_b128 s[4:7], s[0:1], 0x10
	s_load_b64 s[2:3], s[0:1], 0xcc
	s_waitcnt lgkmcnt(0)
	v_mul_hi_u32 v7, s5, v9
	s_delay_alu instid0(VALU_DEP_1) | instskip(NEXT) | instid1(VALU_DEP_1)
	v_add_nc_u32_e32 v7, v9, v7
	v_lshrrev_b32_e32 v7, s6, v7
	s_delay_alu instid0(VALU_DEP_1) | instskip(NEXT) | instid1(VALU_DEP_1)
	v_mul_lo_u32 v7, v7, s4
	v_sub_nc_u32_e32 v7, v9, v7
	s_delay_alu instid0(VALU_DEP_1) | instskip(SKIP_1) | instid1(VALU_DEP_2)
	v_mad_u64_u32 v[9:10], null, v7, s2, v[3:4]
	v_mad_u64_u32 v[10:11], null, v7, s3, v[5:6]
	v_mov_b32_e32 v3, v9
	s_delay_alu instid0(VALU_DEP_2)
	v_mov_b32_e32 v5, v10
.LBB37_55:
	v_cmp_ne_u32_e32 vcc_lo, 1, v6
	s_cbranch_vccnz .LBB37_61
; %bb.56:
	v_dual_mov_b32 v6, 0 :: v_dual_mov_b32 v7, 0
	s_cmp_lg_u32 s26, 0
	s_mov_b32 s6, 0
	s_cbranch_scc0 .LBB37_65
; %bb.57:
	s_min_u32 s7, s27, 15
	v_mov_b32_e32 v6, 0
	s_add_i32 s7, s7, 1
	s_cmp_eq_u32 s27, 2
	s_mov_b32 s8, 0
	s_cbranch_scc1 .LBB37_62
; %bb.58:
	v_dual_mov_b32 v7, 0 :: v_dual_mov_b32 v6, 0
	v_mov_b32_e32 v9, v8
	s_add_u32 s2, s0, 0xc4
	s_addc_u32 s3, s1, 0
	s_and_b32 s8, s7, 28
	s_mov_b32 s9, 0
	s_mov_b64 s[4:5], s[0:1]
.LBB37_59:                              ; =>This Inner Loop Header: Depth=1
	s_clause 0x1
	s_load_b256 s[12:19], s[4:5], 0x4
	s_load_b128 s[20:23], s[4:5], 0x24
	s_load_b256 s[36:43], s[2:3], 0x0
	s_add_u32 s4, s4, 48
	s_addc_u32 s5, s5, 0
	s_add_i32 s9, s9, 4
	s_add_u32 s2, s2, 32
	s_addc_u32 s3, s3, 0
	s_cmp_lg_u32 s8, s9
	s_waitcnt lgkmcnt(0)
	v_mul_hi_u32 v10, s13, v9
	s_delay_alu instid0(VALU_DEP_1) | instskip(NEXT) | instid1(VALU_DEP_1)
	v_add_nc_u32_e32 v10, v9, v10
	v_lshrrev_b32_e32 v10, s14, v10
	s_delay_alu instid0(VALU_DEP_1) | instskip(SKIP_1) | instid1(VALU_DEP_2)
	v_mul_hi_u32 v11, s16, v10
	v_mul_lo_u32 v13, v10, s12
	v_add_nc_u32_e32 v11, v10, v11
	s_delay_alu instid0(VALU_DEP_2) | instskip(NEXT) | instid1(VALU_DEP_2)
	v_sub_nc_u32_e32 v9, v9, v13
	v_lshrrev_b32_e32 v11, s17, v11
	s_delay_alu instid0(VALU_DEP_2) | instskip(SKIP_1) | instid1(VALU_DEP_3)
	v_mul_lo_u32 v13, v9, s36
	v_mul_lo_u32 v15, v9, s37
	v_mul_hi_u32 v12, s19, v11
	s_delay_alu instid0(VALU_DEP_1) | instskip(NEXT) | instid1(VALU_DEP_1)
	v_add_nc_u32_e32 v12, v11, v12
	v_lshrrev_b32_e32 v12, s20, v12
	s_delay_alu instid0(VALU_DEP_1) | instskip(SKIP_1) | instid1(VALU_DEP_2)
	v_mul_hi_u32 v14, s22, v12
	v_mul_lo_u32 v16, v12, s18
	v_add_nc_u32_e32 v9, v12, v14
	v_mul_lo_u32 v14, v11, s15
	s_delay_alu instid0(VALU_DEP_3) | instskip(NEXT) | instid1(VALU_DEP_3)
	v_sub_nc_u32_e32 v11, v11, v16
	v_lshrrev_b32_e32 v9, s23, v9
	s_delay_alu instid0(VALU_DEP_2) | instskip(SKIP_2) | instid1(VALU_DEP_4)
	v_mul_lo_u32 v16, v11, s40
	v_mul_lo_u32 v11, v11, s41
	v_sub_nc_u32_e32 v10, v10, v14
	v_mul_lo_u32 v17, v9, s21
	s_delay_alu instid0(VALU_DEP_2) | instskip(SKIP_1) | instid1(VALU_DEP_3)
	v_mul_lo_u32 v14, v10, s38
	v_mul_lo_u32 v10, v10, s39
	v_sub_nc_u32_e32 v12, v12, v17
	s_delay_alu instid0(VALU_DEP_3) | instskip(NEXT) | instid1(VALU_DEP_2)
	v_add3_u32 v6, v13, v6, v14
	v_mul_lo_u32 v17, v12, s42
	v_mul_lo_u32 v12, v12, s43
	v_add3_u32 v7, v15, v7, v10
	s_delay_alu instid0(VALU_DEP_3) | instskip(NEXT) | instid1(VALU_DEP_2)
	v_add3_u32 v6, v16, v6, v17
	v_add3_u32 v7, v11, v7, v12
	s_cbranch_scc1 .LBB37_59
; %bb.60:
	s_and_b32 s7, s7, 3
	s_delay_alu instid0(SALU_CYCLE_1)
	s_cmp_eq_u32 s7, 0
	s_cbranch_scc0 .LBB37_63
	s_branch .LBB37_65
.LBB37_61:
	s_mov_b32 s6, -1
                                        ; implicit-def: $vgpr6
                                        ; implicit-def: $vgpr7
	s_branch .LBB37_65
.LBB37_62:
	v_mov_b32_e32 v9, v8
	v_mov_b32_e32 v7, 0
	s_and_b32 s7, s7, 3
	s_delay_alu instid0(SALU_CYCLE_1)
	s_cmp_eq_u32 s7, 0
	s_cbranch_scc1 .LBB37_65
.LBB37_63:
	s_lshl_b32 s2, s8, 3
	s_mul_i32 s4, s8, 12
	s_add_u32 s2, s2, s0
	s_addc_u32 s3, 0, s1
	s_add_u32 s2, s2, 0xc4
	s_addc_u32 s3, s3, 0
	s_add_u32 s4, s0, s4
	s_addc_u32 s5, 0, s1
	.p2align	6
.LBB37_64:                              ; =>This Inner Loop Header: Depth=1
	s_clause 0x1
	s_load_b64 s[8:9], s[4:5], 0x4
	s_load_b32 s12, s[4:5], 0xc
	s_load_b64 s[10:11], s[2:3], 0x0
	s_add_u32 s4, s4, 12
	s_addc_u32 s5, s5, 0
	s_add_u32 s2, s2, 8
	s_addc_u32 s3, s3, 0
	s_add_i32 s7, s7, -1
	s_delay_alu instid0(SALU_CYCLE_1) | instskip(SKIP_2) | instid1(VALU_DEP_1)
	s_cmp_lg_u32 s7, 0
	s_waitcnt lgkmcnt(0)
	v_mul_hi_u32 v10, s9, v9
	v_add_nc_u32_e32 v10, v9, v10
	s_delay_alu instid0(VALU_DEP_1) | instskip(NEXT) | instid1(VALU_DEP_1)
	v_lshrrev_b32_e32 v13, s12, v10
	v_mul_lo_u32 v10, v13, s8
	s_delay_alu instid0(VALU_DEP_1) | instskip(NEXT) | instid1(VALU_DEP_1)
	v_sub_nc_u32_e32 v9, v9, v10
	v_mad_u64_u32 v[10:11], null, v9, s10, v[6:7]
	v_mad_u64_u32 v[11:12], null, v9, s11, v[7:8]
	s_delay_alu instid0(VALU_DEP_2) | instskip(NEXT) | instid1(VALU_DEP_2)
	v_dual_mov_b32 v9, v13 :: v_dual_mov_b32 v6, v10
	v_mov_b32_e32 v7, v11
	s_cbranch_scc1 .LBB37_64
.LBB37_65:
	s_and_not1_b32 vcc_lo, exec_lo, s6
	s_cbranch_vccnz .LBB37_68
; %bb.66:
	s_clause 0x1
	s_load_b128 s[4:7], s[0:1], 0x4
	s_load_b64 s[2:3], s[0:1], 0xc4
	s_cmp_lt_u32 s26, 2
	s_waitcnt lgkmcnt(0)
	v_mul_hi_u32 v6, s5, v8
	s_delay_alu instid0(VALU_DEP_1) | instskip(NEXT) | instid1(VALU_DEP_1)
	v_add_nc_u32_e32 v6, v8, v6
	v_lshrrev_b32_e32 v9, s6, v6
	s_delay_alu instid0(VALU_DEP_1) | instskip(NEXT) | instid1(VALU_DEP_1)
	v_mul_lo_u32 v6, v9, s4
	v_sub_nc_u32_e32 v7, v8, v6
	s_delay_alu instid0(VALU_DEP_1)
	v_mul_lo_u32 v6, v7, s2
	v_mul_lo_u32 v7, v7, s3
	s_cbranch_scc1 .LBB37_68
; %bb.67:
	s_clause 0x1
	s_load_b128 s[4:7], s[0:1], 0x10
	s_load_b64 s[2:3], s[0:1], 0xcc
	s_waitcnt lgkmcnt(0)
	v_mul_hi_u32 v8, s5, v9
	s_delay_alu instid0(VALU_DEP_1) | instskip(NEXT) | instid1(VALU_DEP_1)
	v_add_nc_u32_e32 v8, v9, v8
	v_lshrrev_b32_e32 v8, s6, v8
	s_delay_alu instid0(VALU_DEP_1) | instskip(NEXT) | instid1(VALU_DEP_1)
	v_mul_lo_u32 v8, v8, s4
	v_sub_nc_u32_e32 v11, v9, v8
	s_delay_alu instid0(VALU_DEP_1) | instskip(NEXT) | instid1(VALU_DEP_1)
	v_mad_u64_u32 v[8:9], null, v11, s2, v[6:7]
	v_mad_u64_u32 v[9:10], null, v11, s3, v[7:8]
	s_delay_alu instid0(VALU_DEP_1)
	v_dual_mov_b32 v6, v8 :: v_dual_mov_b32 v7, v9
.LBB37_68:
	s_load_b32 s8, s[0:1], 0x15c
	s_waitcnt lgkmcnt(0)
	v_trunc_f32_e32 v8, s8
	v_cmp_class_f32_e64 s8, s8, 0x1f8
	s_delay_alu instid0(VALU_DEP_2) | instskip(SKIP_1) | instid1(VALU_DEP_2)
	v_mul_f32_e64 v9, 0x2f800000, |v8|
	v_readfirstlane_b32 s2, v8
	v_floor_f32_e32 v9, v9
	s_delay_alu instid0(VALU_DEP_2) | instskip(SKIP_2) | instid1(VALU_DEP_1)
	s_ashr_i32 s6, s2, 31
	s_load_b128 s[0:3], s[0:1], 0x148
	s_mov_b32 s7, s6
	v_fma_f32 v10, 0xcf800000, v9, |v8|
	v_cvt_u32_f32_e32 v9, v9
	v_mov_b32_e32 v8, 0
	s_delay_alu instid0(VALU_DEP_3) | instskip(NEXT) | instid1(VALU_DEP_3)
	v_cvt_u32_f32_e32 v10, v10
	v_readfirstlane_b32 s5, v9
	s_delay_alu instid0(VALU_DEP_2) | instskip(NEXT) | instid1(VALU_DEP_1)
	v_readfirstlane_b32 s4, v10
	s_xor_b64 s[4:5], s[4:5], s[6:7]
	s_delay_alu instid0(SALU_CYCLE_1) | instskip(SKIP_4) | instid1(SALU_CYCLE_1)
	s_sub_u32 s4, s4, s6
	s_subb_u32 s5, s5, s6
	s_and_b32 s6, s8, exec_lo
	s_cselect_b32 s5, s5, -1
	s_cselect_b32 s4, s4, -1
	v_cmp_lt_i64_e64 s6, s[4:5], 0
	v_cmp_gt_i64_e64 s10, s[4:5], -1
	s_delay_alu instid0(VALU_DEP_2)
	s_and_b32 vcc_lo, exec_lo, s6
	s_cbranch_vccnz .LBB37_77
; %bb.69:
	v_cmp_lt_i64_e64 s6, s[4:5], 1
	v_mov_b32_e32 v8, 1.0
	s_delay_alu instid0(VALU_DEP_2)
	s_and_b32 vcc_lo, exec_lo, s6
	s_cbranch_vccnz .LBB37_77
; %bb.70:
	s_waitcnt lgkmcnt(0)
	global_load_b32 v2, v2, s[2:3]
	s_cmp_lg_u64 s[4:5], 1
	s_cbranch_scc0 .LBB37_75
; %bb.71:
	v_cmp_lt_u64_e64 s6, 0x80, s[4:5]
	v_mov_b32_e32 v8, 0x7fc00000
	s_delay_alu instid0(VALU_DEP_2)
	s_and_b32 vcc_lo, exec_lo, s6
	s_cbranch_vccnz .LBB37_74
; %bb.72:
	s_waitcnt vmcnt(0)
	v_dual_add_f32 v9, v2, v2 :: v_dual_mov_b32 v10, 1.0
	s_lshl_b64 s[6:7], s[4:5], 1
	s_mov_b64 s[8:9], 2
	s_delay_alu instid0(VALU_DEP_1)
	v_mov_b32_e32 v8, v9
	.p2align	6
.LBB37_73:                              ; =>This Inner Loop Header: Depth=1
	s_clz_i32_u32 s11, s9
	s_delay_alu instid0(SALU_CYCLE_1) | instskip(NEXT) | instid1(SALU_CYCLE_1)
	s_min_u32 s11, s11, 32
	s_lshl_b64 s[12:13], s[8:9], s11
	s_sub_i32 s11, 32, s11
	s_min_u32 s12, s12, 1
	s_delay_alu instid0(SALU_CYCLE_1) | instskip(SKIP_3) | instid1(VALU_DEP_1)
	s_or_b32 s12, s13, s12
	s_add_u32 s8, s8, 2
	v_cvt_f32_u32_e32 v11, s12
	s_addc_u32 s9, s9, 0
	v_ldexp_f32 v11, v11, s11
	v_cmp_lt_u64_e64 s11, s[8:9], s[6:7]
	s_delay_alu instid0(VALU_DEP_2) | instskip(NEXT) | instid1(VALU_DEP_2)
	v_dual_mul_f32 v11, v10, v11 :: v_dual_mov_b32 v10, v8
	s_and_b32 vcc_lo, exec_lo, s11
	s_delay_alu instid0(VALU_DEP_1)
	v_fma_f32 v8, v9, v8, -v11
	s_cbranch_vccnz .LBB37_73
.LBB37_74:
	s_cbranch_execz .LBB37_76
	s_branch .LBB37_77
.LBB37_75:
                                        ; implicit-def: $vgpr8
.LBB37_76:
	s_waitcnt vmcnt(0)
	v_add_f32_e32 v8, v2, v2
.LBB37_77:
	s_delay_alu instid0(VALU_DEP_1)
	v_cndmask_b32_e64 v9, 0, 1, s10
	s_waitcnt vmcnt(0)
	v_mov_b32_e32 v2, 0
	s_and_not1_b32 vcc_lo, exec_lo, s10
	s_cbranch_vccnz .LBB37_86
; %bb.78:
	v_cmp_lt_i64_e64 s6, s[4:5], 1
	v_mov_b32_e32 v2, 1.0
	s_delay_alu instid0(VALU_DEP_2)
	s_and_b32 vcc_lo, exec_lo, s6
	s_cbranch_vccnz .LBB37_86
; %bb.79:
	s_waitcnt lgkmcnt(0)
	global_load_b32 v4, v4, s[2:3]
	s_cmp_lg_u64 s[4:5], 1
	s_cbranch_scc0 .LBB37_84
; %bb.80:
	v_cmp_lt_u64_e64 s6, 0x80, s[4:5]
	v_mov_b32_e32 v2, 0x7fc00000
	s_delay_alu instid0(VALU_DEP_2)
	s_and_b32 vcc_lo, exec_lo, s6
	s_cbranch_vccnz .LBB37_83
; %bb.81:
	s_waitcnt vmcnt(0)
	v_dual_add_f32 v10, v4, v4 :: v_dual_mov_b32 v11, 1.0
	s_lshl_b64 s[6:7], s[4:5], 1
	s_mov_b64 s[8:9], 2
	s_delay_alu instid0(VALU_DEP_1)
	v_mov_b32_e32 v2, v10
	.p2align	6
.LBB37_82:                              ; =>This Inner Loop Header: Depth=1
	s_clz_i32_u32 s10, s9
	s_delay_alu instid0(SALU_CYCLE_1) | instskip(NEXT) | instid1(SALU_CYCLE_1)
	s_min_u32 s12, s10, 32
	s_lshl_b64 s[10:11], s[8:9], s12
	s_delay_alu instid0(SALU_CYCLE_1) | instskip(NEXT) | instid1(SALU_CYCLE_1)
	s_min_u32 s10, s10, 1
	s_or_b32 s10, s11, s10
	s_delay_alu instid0(SALU_CYCLE_1) | instskip(SKIP_3) | instid1(VALU_DEP_1)
	v_cvt_f32_u32_e32 v12, s10
	s_sub_i32 s10, 32, s12
	s_add_u32 s8, s8, 2
	s_addc_u32 s9, s9, 0
	v_ldexp_f32 v12, v12, s10
	v_cmp_lt_u64_e64 s10, s[8:9], s[6:7]
	s_delay_alu instid0(VALU_DEP_2) | instskip(NEXT) | instid1(VALU_DEP_2)
	v_dual_mul_f32 v12, v11, v12 :: v_dual_mov_b32 v11, v2
	s_and_b32 vcc_lo, exec_lo, s10
	s_delay_alu instid0(VALU_DEP_1)
	v_fma_f32 v2, v10, v2, -v12
	s_cbranch_vccnz .LBB37_82
.LBB37_83:
	s_cbranch_execz .LBB37_85
	s_branch .LBB37_86
.LBB37_84:
                                        ; implicit-def: $vgpr2
.LBB37_85:
	s_waitcnt vmcnt(0)
	v_add_f32_e32 v2, v4, v4
.LBB37_86:
	v_cmp_ne_u32_e32 vcc_lo, 1, v9
	s_waitcnt vmcnt(0)
	v_mov_b32_e32 v4, 0
	s_cbranch_vccnz .LBB37_95
; %bb.87:
	v_cmp_lt_i64_e64 s6, s[4:5], 1
	v_mov_b32_e32 v4, 1.0
	s_delay_alu instid0(VALU_DEP_2)
	s_and_b32 vcc_lo, exec_lo, s6
	s_cbranch_vccnz .LBB37_95
; %bb.88:
	s_waitcnt lgkmcnt(0)
	global_load_b32 v5, v5, s[2:3]
	s_cmp_lg_u64 s[4:5], 1
	s_cbranch_scc0 .LBB37_93
; %bb.89:
	v_cmp_lt_u64_e64 s6, 0x80, s[4:5]
	v_mov_b32_e32 v4, 0x7fc00000
	s_delay_alu instid0(VALU_DEP_2)
	s_and_b32 vcc_lo, exec_lo, s6
	s_cbranch_vccnz .LBB37_92
; %bb.90:
	s_waitcnt vmcnt(0)
	v_dual_add_f32 v10, v5, v5 :: v_dual_mov_b32 v11, 1.0
	s_lshl_b64 s[6:7], s[4:5], 1
	s_mov_b64 s[8:9], 2
	s_delay_alu instid0(VALU_DEP_1)
	v_mov_b32_e32 v4, v10
	.p2align	6
.LBB37_91:                              ; =>This Inner Loop Header: Depth=1
	s_clz_i32_u32 s10, s9
	s_delay_alu instid0(SALU_CYCLE_1) | instskip(NEXT) | instid1(SALU_CYCLE_1)
	s_min_u32 s12, s10, 32
	s_lshl_b64 s[10:11], s[8:9], s12
	s_delay_alu instid0(SALU_CYCLE_1) | instskip(NEXT) | instid1(SALU_CYCLE_1)
	s_min_u32 s10, s10, 1
	s_or_b32 s10, s11, s10
	s_delay_alu instid0(SALU_CYCLE_1) | instskip(SKIP_3) | instid1(VALU_DEP_1)
	v_cvt_f32_u32_e32 v12, s10
	s_sub_i32 s10, 32, s12
	s_add_u32 s8, s8, 2
	s_addc_u32 s9, s9, 0
	v_ldexp_f32 v12, v12, s10
	v_cmp_lt_u64_e64 s10, s[8:9], s[6:7]
	s_delay_alu instid0(VALU_DEP_2) | instskip(NEXT) | instid1(VALU_DEP_2)
	v_dual_mul_f32 v12, v11, v12 :: v_dual_mov_b32 v11, v4
	s_and_b32 vcc_lo, exec_lo, s10
	s_delay_alu instid0(VALU_DEP_1)
	v_fma_f32 v4, v10, v4, -v12
	s_cbranch_vccnz .LBB37_91
.LBB37_92:
	s_cbranch_execz .LBB37_94
	s_branch .LBB37_95
.LBB37_93:
                                        ; implicit-def: $vgpr4
.LBB37_94:
	s_waitcnt vmcnt(0)
	v_add_f32_e32 v4, v5, v5
.LBB37_95:
	v_cmp_ne_u32_e32 vcc_lo, 1, v9
	v_mov_b32_e32 v9, 0
	s_cbranch_vccnz .LBB37_104
; %bb.96:
	v_cmp_lt_i64_e64 s6, s[4:5], 1
	v_mov_b32_e32 v9, 1.0
	s_delay_alu instid0(VALU_DEP_2)
	s_and_b32 vcc_lo, exec_lo, s6
	s_cbranch_vccnz .LBB37_104
; %bb.97:
	s_waitcnt lgkmcnt(0)
	global_load_b32 v5, v7, s[2:3]
	s_cmp_lg_u64 s[4:5], 1
	s_cbranch_scc0 .LBB37_102
; %bb.98:
	v_cmp_lt_u64_e64 s2, 0x80, s[4:5]
	v_mov_b32_e32 v9, 0x7fc00000
	s_delay_alu instid0(VALU_DEP_2)
	s_and_b32 vcc_lo, exec_lo, s2
	s_cbranch_vccnz .LBB37_101
; %bb.99:
	s_waitcnt vmcnt(0)
	v_dual_add_f32 v7, v5, v5 :: v_dual_mov_b32 v10, 1.0
	s_lshl_b64 s[2:3], s[4:5], 1
	s_mov_b64 s[4:5], 2
	s_delay_alu instid0(VALU_DEP_1)
	v_mov_b32_e32 v9, v7
	.p2align	6
.LBB37_100:                             ; =>This Inner Loop Header: Depth=1
	s_clz_i32_u32 s6, s5
	s_delay_alu instid0(SALU_CYCLE_1) | instskip(NEXT) | instid1(SALU_CYCLE_1)
	s_min_u32 s8, s6, 32
	s_lshl_b64 s[6:7], s[4:5], s8
	s_delay_alu instid0(SALU_CYCLE_1) | instskip(NEXT) | instid1(SALU_CYCLE_1)
	s_min_u32 s6, s6, 1
	s_or_b32 s6, s7, s6
	s_delay_alu instid0(SALU_CYCLE_1) | instskip(SKIP_3) | instid1(VALU_DEP_1)
	v_cvt_f32_u32_e32 v11, s6
	s_sub_i32 s6, 32, s8
	s_add_u32 s4, s4, 2
	s_addc_u32 s5, s5, 0
	v_ldexp_f32 v11, v11, s6
	v_cmp_lt_u64_e64 s6, s[4:5], s[2:3]
	s_delay_alu instid0(VALU_DEP_2) | instskip(NEXT) | instid1(VALU_DEP_2)
	v_dual_mul_f32 v11, v10, v11 :: v_dual_mov_b32 v10, v9
	s_and_b32 vcc_lo, exec_lo, s6
	s_delay_alu instid0(VALU_DEP_1)
	v_fma_f32 v9, v7, v9, -v11
	s_cbranch_vccnz .LBB37_100
.LBB37_101:
	s_cbranch_execz .LBB37_103
	s_branch .LBB37_104
.LBB37_102:
                                        ; implicit-def: $vgpr9
.LBB37_103:
	s_waitcnt vmcnt(0)
	v_add_f32_e32 v9, v5, v5
.LBB37_104:
	s_waitcnt lgkmcnt(0)
	s_clause 0x3
	global_store_b32 v0, v8, s[0:1]
	global_store_b32 v1, v2, s[0:1]
	;; [unrolled: 1-line block ×4, first 2 shown]
	s_nop 0
	s_sendmsg sendmsg(MSG_DEALLOC_VGPRS)
	s_endpgm
.LBB37_105:
	v_dual_mov_b32 v2, v3 :: v_dual_mov_b32 v1, 0
.LBB37_106:
	s_and_b32 s40, s40, 3
	s_delay_alu instid0(SALU_CYCLE_1)
	s_cmp_eq_u32 s40, 0
	s_cbranch_scc1 .LBB37_109
; %bb.107:
	s_lshl_b32 s22, s39, 3
	s_mul_i32 s24, s39, 12
	s_add_u32 s22, s22, s0
	s_addc_u32 s23, s1, 0
	s_add_u32 s22, s22, 0xc4
	s_addc_u32 s23, s23, 0
	;; [unrolled: 2-line block ×3, first 2 shown]
	.p2align	6
.LBB37_108:                             ; =>This Inner Loop Header: Depth=1
	s_clause 0x1
	s_load_b64 s[42:43], s[24:25], 0x4
	s_load_b32 s39, s[24:25], 0xc
	s_load_b64 s[44:45], s[22:23], 0x0
	s_add_u32 s24, s24, 12
	s_addc_u32 s25, s25, 0
	s_add_u32 s22, s22, 8
	s_addc_u32 s23, s23, 0
	s_add_i32 s40, s40, -1
	s_delay_alu instid0(SALU_CYCLE_1) | instskip(SKIP_2) | instid1(VALU_DEP_1)
	s_cmp_lg_u32 s40, 0
	s_waitcnt lgkmcnt(0)
	v_mul_hi_u32 v4, s43, v2
	v_add_nc_u32_e32 v4, v2, v4
	s_delay_alu instid0(VALU_DEP_1) | instskip(NEXT) | instid1(VALU_DEP_1)
	v_lshrrev_b32_e32 v7, s39, v4
	v_mul_lo_u32 v4, v7, s42
	s_delay_alu instid0(VALU_DEP_1) | instskip(NEXT) | instid1(VALU_DEP_1)
	v_sub_nc_u32_e32 v2, v2, v4
	v_mad_u64_u32 v[4:5], null, v2, s44, v[0:1]
	v_mad_u64_u32 v[5:6], null, v2, s45, v[1:2]
	v_mov_b32_e32 v2, v7
	s_delay_alu instid0(VALU_DEP_2)
	v_dual_mov_b32 v0, v4 :: v_dual_mov_b32 v1, v5
	s_cbranch_scc1 .LBB37_108
.LBB37_109:
	s_and_not1_b32 vcc_lo, exec_lo, s38
	s_cbranch_vccnz .LBB37_112
; %bb.110:
	v_mul_hi_u32 v0, s9, v3
	s_and_not1_b32 vcc_lo, exec_lo, s33
	s_delay_alu instid0(VALU_DEP_1) | instskip(NEXT) | instid1(VALU_DEP_1)
	v_add_nc_u32_e32 v0, v3, v0
	v_lshrrev_b32_e32 v2, s10, v0
	s_delay_alu instid0(VALU_DEP_1) | instskip(NEXT) | instid1(VALU_DEP_1)
	v_mul_lo_u32 v0, v2, s8
	v_sub_nc_u32_e32 v1, v3, v0
	s_delay_alu instid0(VALU_DEP_1)
	v_mul_lo_u32 v0, v1, s12
	v_mul_lo_u32 v1, v1, s13
	s_cbranch_vccnz .LBB37_112
; %bb.111:
	v_mul_hi_u32 v4, s18, v2
	s_delay_alu instid0(VALU_DEP_1) | instskip(NEXT) | instid1(VALU_DEP_1)
	v_add_nc_u32_e32 v4, v2, v4
	v_lshrrev_b32_e32 v4, s19, v4
	s_delay_alu instid0(VALU_DEP_1) | instskip(NEXT) | instid1(VALU_DEP_1)
	v_mul_lo_u32 v4, v4, s11
	v_sub_nc_u32_e32 v2, v2, v4
	s_delay_alu instid0(VALU_DEP_1) | instskip(SKIP_1) | instid1(VALU_DEP_1)
	v_mad_u64_u32 v[4:5], null, v2, s14, v[0:1]
	v_mad_u64_u32 v[5:6], null, v2, s15, v[1:2]
	v_dual_mov_b32 v0, v4 :: v_dual_mov_b32 v1, v5
.LBB37_112:
	v_mov_b32_e32 v2, 0
	s_and_not1_b32 vcc_lo, exec_lo, s31
	s_cbranch_vccnz .LBB37_136
; %bb.113:
	v_cmp_lt_i64_e64 s22, s[16:17], 1
	v_mov_b32_e32 v2, 1.0
	s_delay_alu instid0(VALU_DEP_2)
	s_and_b32 vcc_lo, exec_lo, s22
	s_cbranch_vccnz .LBB37_136
; %bb.114:
	global_load_b32 v1, v1, s[6:7]
	s_cmp_lg_u64 s[16:17], 1
	s_cbranch_scc0 .LBB37_133
; %bb.115:
	v_mov_b32_e32 v2, 0x7fc00000
	s_and_not1_b32 vcc_lo, exec_lo, s30
	s_cbranch_vccnz .LBB37_118
; %bb.116:
	s_waitcnt vmcnt(0)
	v_dual_add_f32 v4, v1, v1 :: v_dual_mov_b32 v5, 1.0
	s_mov_b64 s[22:23], 2
	s_delay_alu instid0(VALU_DEP_1)
	v_mov_b32_e32 v2, v4
	.p2align	6
.LBB37_117:                             ; =>This Inner Loop Header: Depth=1
	s_clz_i32_u32 s24, s23
	s_delay_alu instid0(SALU_CYCLE_1) | instskip(NEXT) | instid1(SALU_CYCLE_1)
	s_min_u32 s38, s24, 32
	s_lshl_b64 s[24:25], s[22:23], s38
	s_delay_alu instid0(SALU_CYCLE_1) | instskip(NEXT) | instid1(SALU_CYCLE_1)
	s_min_u32 s24, s24, 1
	s_or_b32 s24, s25, s24
	s_delay_alu instid0(SALU_CYCLE_1) | instskip(SKIP_3) | instid1(VALU_DEP_1)
	v_cvt_f32_u32_e32 v6, s24
	s_sub_i32 s24, 32, s38
	s_add_u32 s22, s22, 2
	s_addc_u32 s23, s23, 0
	v_ldexp_f32 v6, v6, s24
	v_cmp_lt_u64_e64 s24, s[22:23], s[2:3]
	s_delay_alu instid0(VALU_DEP_2) | instskip(NEXT) | instid1(VALU_DEP_2)
	v_dual_mul_f32 v6, v5, v6 :: v_dual_mov_b32 v5, v2
	s_and_b32 vcc_lo, exec_lo, s24
	s_delay_alu instid0(VALU_DEP_1)
	v_fma_f32 v2, v4, v2, -v6
	s_cbranch_vccnz .LBB37_117
.LBB37_118:
	s_mov_b32 s22, 0
	s_branch .LBB37_134
.LBB37_119:
	v_dual_mov_b32 v2, v3 :: v_dual_mov_b32 v1, 0
.LBB37_120:
	s_and_b32 s40, s40, 3
	s_delay_alu instid0(SALU_CYCLE_1)
	s_cmp_eq_u32 s40, 0
	s_cbranch_scc1 .LBB37_123
; %bb.121:
	s_lshl_b32 s22, s39, 3
	s_mul_i32 s24, s39, 12
	s_add_u32 s22, s22, s0
	s_addc_u32 s23, s1, 0
	s_add_u32 s22, s22, 0xc4
	s_addc_u32 s23, s23, 0
	;; [unrolled: 2-line block ×3, first 2 shown]
	.p2align	6
.LBB37_122:                             ; =>This Inner Loop Header: Depth=1
	s_clause 0x1
	s_load_b64 s[42:43], s[24:25], 0x4
	s_load_b32 s39, s[24:25], 0xc
	s_load_b64 s[44:45], s[22:23], 0x0
	s_add_u32 s24, s24, 12
	s_addc_u32 s25, s25, 0
	s_add_u32 s22, s22, 8
	s_addc_u32 s23, s23, 0
	s_add_i32 s40, s40, -1
	s_delay_alu instid0(SALU_CYCLE_1) | instskip(SKIP_2) | instid1(VALU_DEP_1)
	s_cmp_lg_u32 s40, 0
	s_waitcnt lgkmcnt(0)
	v_mul_hi_u32 v4, s43, v2
	v_add_nc_u32_e32 v4, v2, v4
	s_delay_alu instid0(VALU_DEP_1) | instskip(NEXT) | instid1(VALU_DEP_1)
	v_lshrrev_b32_e32 v7, s39, v4
	v_mul_lo_u32 v4, v7, s42
	s_delay_alu instid0(VALU_DEP_1) | instskip(NEXT) | instid1(VALU_DEP_1)
	v_sub_nc_u32_e32 v2, v2, v4
	v_mad_u64_u32 v[4:5], null, v2, s44, v[0:1]
	v_mad_u64_u32 v[5:6], null, v2, s45, v[1:2]
	v_mov_b32_e32 v2, v7
	s_delay_alu instid0(VALU_DEP_2)
	v_dual_mov_b32 v0, v4 :: v_dual_mov_b32 v1, v5
	s_cbranch_scc1 .LBB37_122
.LBB37_123:
	s_and_not1_b32 vcc_lo, exec_lo, s38
	s_cbranch_vccnz .LBB37_126
; %bb.124:
	v_mul_hi_u32 v0, s9, v3
	s_and_not1_b32 vcc_lo, exec_lo, s33
	s_delay_alu instid0(VALU_DEP_1) | instskip(NEXT) | instid1(VALU_DEP_1)
	v_add_nc_u32_e32 v0, v3, v0
	v_lshrrev_b32_e32 v2, s10, v0
	s_delay_alu instid0(VALU_DEP_1) | instskip(SKIP_1) | instid1(VALU_DEP_1)
	v_mul_lo_u32 v0, v2, s8
	s_waitcnt vmcnt(0)
	v_sub_nc_u32_e32 v1, v3, v0
	s_delay_alu instid0(VALU_DEP_1)
	v_mul_lo_u32 v0, v1, s12
	v_mul_lo_u32 v1, v1, s13
	s_cbranch_vccnz .LBB37_126
; %bb.125:
	v_mul_hi_u32 v4, s18, v2
	s_delay_alu instid0(VALU_DEP_1) | instskip(NEXT) | instid1(VALU_DEP_1)
	v_add_nc_u32_e32 v4, v2, v4
	v_lshrrev_b32_e32 v4, s19, v4
	s_delay_alu instid0(VALU_DEP_1) | instskip(NEXT) | instid1(VALU_DEP_1)
	v_mul_lo_u32 v4, v4, s11
	v_sub_nc_u32_e32 v2, v2, v4
	s_delay_alu instid0(VALU_DEP_1) | instskip(SKIP_1) | instid1(VALU_DEP_1)
	v_mad_u64_u32 v[4:5], null, v2, s14, v[0:1]
	v_mad_u64_u32 v[5:6], null, v2, s15, v[1:2]
	v_dual_mov_b32 v0, v4 :: v_dual_mov_b32 v1, v5
.LBB37_126:
	v_mov_b32_e32 v2, 0
	s_and_not1_b32 vcc_lo, exec_lo, s31
	s_cbranch_vccnz .LBB37_161
; %bb.127:
	v_cmp_lt_i64_e64 s22, s[16:17], 1
	v_mov_b32_e32 v2, 1.0
	s_delay_alu instid0(VALU_DEP_2)
	s_and_b32 vcc_lo, exec_lo, s22
	s_cbranch_vccnz .LBB37_161
; %bb.128:
	s_waitcnt vmcnt(0)
	global_load_b32 v1, v1, s[6:7]
	s_cmp_lg_u64 s[16:17], 1
	s_cbranch_scc0 .LBB37_158
; %bb.129:
	v_mov_b32_e32 v2, 0x7fc00000
	s_and_not1_b32 vcc_lo, exec_lo, s30
	s_cbranch_vccnz .LBB37_132
; %bb.130:
	s_waitcnt vmcnt(0)
	v_dual_add_f32 v4, v1, v1 :: v_dual_mov_b32 v5, 1.0
	s_mov_b64 s[22:23], 2
	s_delay_alu instid0(VALU_DEP_1)
	v_mov_b32_e32 v2, v4
	.p2align	6
.LBB37_131:                             ; =>This Inner Loop Header: Depth=1
	s_clz_i32_u32 s24, s23
	s_delay_alu instid0(SALU_CYCLE_1) | instskip(NEXT) | instid1(SALU_CYCLE_1)
	s_min_u32 s38, s24, 32
	s_lshl_b64 s[24:25], s[22:23], s38
	s_delay_alu instid0(SALU_CYCLE_1) | instskip(NEXT) | instid1(SALU_CYCLE_1)
	s_min_u32 s24, s24, 1
	s_or_b32 s24, s25, s24
	s_delay_alu instid0(SALU_CYCLE_1) | instskip(SKIP_3) | instid1(VALU_DEP_1)
	v_cvt_f32_u32_e32 v6, s24
	s_sub_i32 s24, 32, s38
	s_add_u32 s22, s22, 2
	s_addc_u32 s23, s23, 0
	v_ldexp_f32 v6, v6, s24
	v_cmp_lt_u64_e64 s24, s[22:23], s[2:3]
	s_delay_alu instid0(VALU_DEP_2) | instskip(NEXT) | instid1(VALU_DEP_2)
	v_dual_mul_f32 v6, v5, v6 :: v_dual_mov_b32 v5, v2
	s_and_b32 vcc_lo, exec_lo, s24
	s_delay_alu instid0(VALU_DEP_1)
	v_fma_f32 v2, v4, v2, -v6
	s_cbranch_vccnz .LBB37_131
.LBB37_132:
	s_mov_b32 s22, 0
	s_branch .LBB37_159
.LBB37_133:
	s_mov_b32 s22, -1
                                        ; implicit-def: $vgpr2
.LBB37_134:
	s_delay_alu instid0(SALU_CYCLE_1)
	s_and_not1_b32 vcc_lo, exec_lo, s22
	s_cbranch_vccnz .LBB37_136
; %bb.135:
	s_waitcnt vmcnt(0)
	v_add_f32_e32 v2, v1, v1
.LBB37_136:
	v_add_nc_u32_e32 v3, 0x80, v3
	global_store_b32 v0, v2, s[4:5]
	s_or_b32 exec_lo, exec_lo, s37
	s_delay_alu instid0(SALU_CYCLE_1)
	s_mov_b32 s37, exec_lo
	v_cmpx_gt_i32_e64 s34, v3
	s_cbranch_execnz .LBB37_15
.LBB37_137:
	s_or_b32 exec_lo, exec_lo, s37
	s_delay_alu instid0(SALU_CYCLE_1)
	s_mov_b32 s37, exec_lo
	v_cmpx_gt_i32_e64 s34, v3
	s_cbranch_execz .LBB37_162
.LBB37_138:
	s_and_not1_b32 vcc_lo, exec_lo, s28
	s_cbranch_vccnz .LBB37_143
; %bb.139:
	s_waitcnt vmcnt(0)
	v_dual_mov_b32 v0, 0 :: v_dual_mov_b32 v1, 0
	s_and_not1_b32 vcc_lo, exec_lo, s36
	s_mov_b32 s38, 0
	s_cbranch_vccnz .LBB37_148
; %bb.140:
	v_mov_b32_e32 v0, 0
	s_add_i32 s40, s35, 1
	s_cmp_eq_u32 s27, 2
	s_mov_b32 s39, 0
	s_cbranch_scc1 .LBB37_144
; %bb.141:
	v_dual_mov_b32 v1, 0 :: v_dual_mov_b32 v0, 0
	v_mov_b32_e32 v2, v3
	s_and_b32 s39, s40, 28
	s_mov_b32 s41, 0
	s_mov_b64 s[22:23], s[20:21]
	s_mov_b64 s[24:25], s[0:1]
.LBB37_142:                             ; =>This Inner Loop Header: Depth=1
	s_clause 0x1
	s_load_b256 s[44:51], s[24:25], 0x4
	s_load_b128 s[60:63], s[24:25], 0x24
	s_load_b256 s[52:59], s[22:23], 0x0
	s_add_u32 s24, s24, 48
	s_addc_u32 s25, s25, 0
	s_add_i32 s41, s41, 4
	s_add_u32 s22, s22, 32
	s_addc_u32 s23, s23, 0
	s_cmp_eq_u32 s39, s41
	s_waitcnt lgkmcnt(0)
	v_mul_hi_u32 v4, s45, v2
	s_delay_alu instid0(VALU_DEP_1) | instskip(NEXT) | instid1(VALU_DEP_1)
	v_add_nc_u32_e32 v4, v2, v4
	v_lshrrev_b32_e32 v4, s46, v4
	s_delay_alu instid0(VALU_DEP_1) | instskip(SKIP_1) | instid1(VALU_DEP_2)
	v_mul_hi_u32 v5, s48, v4
	v_mul_lo_u32 v7, v4, s44
	v_add_nc_u32_e32 v5, v4, v5
	s_delay_alu instid0(VALU_DEP_2) | instskip(NEXT) | instid1(VALU_DEP_2)
	v_sub_nc_u32_e32 v2, v2, v7
	v_lshrrev_b32_e32 v5, s49, v5
	s_delay_alu instid0(VALU_DEP_2) | instskip(SKIP_1) | instid1(VALU_DEP_3)
	v_mul_lo_u32 v7, v2, s52
	v_mul_lo_u32 v9, v2, s53
	v_mul_hi_u32 v6, s51, v5
	s_delay_alu instid0(VALU_DEP_1) | instskip(NEXT) | instid1(VALU_DEP_1)
	v_add_nc_u32_e32 v6, v5, v6
	v_lshrrev_b32_e32 v6, s60, v6
	s_delay_alu instid0(VALU_DEP_1) | instskip(SKIP_1) | instid1(VALU_DEP_2)
	v_mul_hi_u32 v8, s62, v6
	v_mul_lo_u32 v10, v6, s50
	v_add_nc_u32_e32 v2, v6, v8
	v_mul_lo_u32 v8, v5, s47
	s_delay_alu instid0(VALU_DEP_3) | instskip(NEXT) | instid1(VALU_DEP_3)
	v_sub_nc_u32_e32 v5, v5, v10
	v_lshrrev_b32_e32 v2, s63, v2
	s_delay_alu instid0(VALU_DEP_2) | instskip(SKIP_2) | instid1(VALU_DEP_4)
	v_mul_lo_u32 v10, v5, s56
	v_mul_lo_u32 v5, v5, s57
	v_sub_nc_u32_e32 v4, v4, v8
	v_mul_lo_u32 v11, v2, s61
	s_delay_alu instid0(VALU_DEP_2) | instskip(SKIP_1) | instid1(VALU_DEP_3)
	v_mul_lo_u32 v8, v4, s54
	v_mul_lo_u32 v4, v4, s55
	v_sub_nc_u32_e32 v6, v6, v11
	s_delay_alu instid0(VALU_DEP_3) | instskip(NEXT) | instid1(VALU_DEP_2)
	v_add3_u32 v0, v7, v0, v8
	v_mul_lo_u32 v11, v6, s58
	v_mul_lo_u32 v6, v6, s59
	v_add3_u32 v1, v9, v1, v4
	s_delay_alu instid0(VALU_DEP_3) | instskip(NEXT) | instid1(VALU_DEP_2)
	v_add3_u32 v0, v10, v0, v11
	v_add3_u32 v1, v5, v1, v6
	s_cbranch_scc0 .LBB37_142
	s_branch .LBB37_145
.LBB37_143:
	s_mov_b32 s38, -1
                                        ; implicit-def: $vgpr0
                                        ; implicit-def: $vgpr1
	s_branch .LBB37_148
.LBB37_144:
	v_dual_mov_b32 v2, v3 :: v_dual_mov_b32 v1, 0
.LBB37_145:
	s_and_b32 s40, s40, 3
	s_delay_alu instid0(SALU_CYCLE_1)
	s_cmp_eq_u32 s40, 0
	s_cbranch_scc1 .LBB37_148
; %bb.146:
	s_lshl_b32 s22, s39, 3
	s_mul_i32 s24, s39, 12
	s_add_u32 s22, s22, s0
	s_addc_u32 s23, s1, 0
	s_add_u32 s22, s22, 0xc4
	s_addc_u32 s23, s23, 0
	s_add_u32 s24, s0, s24
	s_addc_u32 s25, s1, 0
	.p2align	6
.LBB37_147:                             ; =>This Inner Loop Header: Depth=1
	s_clause 0x1
	s_load_b64 s[42:43], s[24:25], 0x4
	s_load_b32 s39, s[24:25], 0xc
	s_load_b64 s[44:45], s[22:23], 0x0
	s_add_u32 s24, s24, 12
	s_addc_u32 s25, s25, 0
	s_add_u32 s22, s22, 8
	s_addc_u32 s23, s23, 0
	s_add_i32 s40, s40, -1
	s_delay_alu instid0(SALU_CYCLE_1) | instskip(SKIP_2) | instid1(VALU_DEP_1)
	s_cmp_lg_u32 s40, 0
	s_waitcnt lgkmcnt(0)
	v_mul_hi_u32 v4, s43, v2
	v_add_nc_u32_e32 v4, v2, v4
	s_delay_alu instid0(VALU_DEP_1) | instskip(NEXT) | instid1(VALU_DEP_1)
	v_lshrrev_b32_e32 v7, s39, v4
	v_mul_lo_u32 v4, v7, s42
	s_delay_alu instid0(VALU_DEP_1) | instskip(NEXT) | instid1(VALU_DEP_1)
	v_sub_nc_u32_e32 v2, v2, v4
	v_mad_u64_u32 v[4:5], null, v2, s44, v[0:1]
	v_mad_u64_u32 v[5:6], null, v2, s45, v[1:2]
	v_mov_b32_e32 v2, v7
	s_delay_alu instid0(VALU_DEP_2)
	v_dual_mov_b32 v0, v4 :: v_dual_mov_b32 v1, v5
	s_cbranch_scc1 .LBB37_147
.LBB37_148:
	s_and_not1_b32 vcc_lo, exec_lo, s38
	s_cbranch_vccnz .LBB37_151
; %bb.149:
	v_mul_hi_u32 v0, s9, v3
	s_and_not1_b32 vcc_lo, exec_lo, s33
	s_delay_alu instid0(VALU_DEP_1) | instskip(NEXT) | instid1(VALU_DEP_1)
	v_add_nc_u32_e32 v0, v3, v0
	v_lshrrev_b32_e32 v2, s10, v0
	s_delay_alu instid0(VALU_DEP_1) | instskip(SKIP_1) | instid1(VALU_DEP_1)
	v_mul_lo_u32 v0, v2, s8
	s_waitcnt vmcnt(0)
	v_sub_nc_u32_e32 v1, v3, v0
	s_delay_alu instid0(VALU_DEP_1)
	v_mul_lo_u32 v0, v1, s12
	v_mul_lo_u32 v1, v1, s13
	s_cbranch_vccnz .LBB37_151
; %bb.150:
	v_mul_hi_u32 v4, s18, v2
	s_delay_alu instid0(VALU_DEP_1) | instskip(NEXT) | instid1(VALU_DEP_1)
	v_add_nc_u32_e32 v4, v2, v4
	v_lshrrev_b32_e32 v4, s19, v4
	s_delay_alu instid0(VALU_DEP_1) | instskip(NEXT) | instid1(VALU_DEP_1)
	v_mul_lo_u32 v4, v4, s11
	v_sub_nc_u32_e32 v2, v2, v4
	s_delay_alu instid0(VALU_DEP_1) | instskip(SKIP_1) | instid1(VALU_DEP_1)
	v_mad_u64_u32 v[4:5], null, v2, s14, v[0:1]
	v_mad_u64_u32 v[5:6], null, v2, s15, v[1:2]
	v_dual_mov_b32 v0, v4 :: v_dual_mov_b32 v1, v5
.LBB37_151:
	v_mov_b32_e32 v2, 0
	s_and_not1_b32 vcc_lo, exec_lo, s31
	s_cbranch_vccnz .LBB37_168
; %bb.152:
	v_cmp_lt_i64_e64 s22, s[16:17], 1
	v_mov_b32_e32 v2, 1.0
	s_delay_alu instid0(VALU_DEP_2)
	s_and_b32 vcc_lo, exec_lo, s22
	s_cbranch_vccnz .LBB37_168
; %bb.153:
	s_waitcnt vmcnt(0)
	global_load_b32 v1, v1, s[6:7]
	s_cmp_lg_u64 s[16:17], 1
	s_cbranch_scc0 .LBB37_165
; %bb.154:
	v_mov_b32_e32 v2, 0x7fc00000
	s_and_not1_b32 vcc_lo, exec_lo, s30
	s_cbranch_vccnz .LBB37_157
; %bb.155:
	s_waitcnt vmcnt(0)
	v_dual_add_f32 v4, v1, v1 :: v_dual_mov_b32 v5, 1.0
	s_mov_b64 s[22:23], 2
	s_delay_alu instid0(VALU_DEP_1)
	v_mov_b32_e32 v2, v4
	.p2align	6
.LBB37_156:                             ; =>This Inner Loop Header: Depth=1
	s_clz_i32_u32 s24, s23
	s_delay_alu instid0(SALU_CYCLE_1) | instskip(NEXT) | instid1(SALU_CYCLE_1)
	s_min_u32 s38, s24, 32
	s_lshl_b64 s[24:25], s[22:23], s38
	s_delay_alu instid0(SALU_CYCLE_1) | instskip(NEXT) | instid1(SALU_CYCLE_1)
	s_min_u32 s24, s24, 1
	s_or_b32 s24, s25, s24
	s_delay_alu instid0(SALU_CYCLE_1) | instskip(SKIP_3) | instid1(VALU_DEP_1)
	v_cvt_f32_u32_e32 v6, s24
	s_sub_i32 s24, 32, s38
	s_add_u32 s22, s22, 2
	s_addc_u32 s23, s23, 0
	v_ldexp_f32 v6, v6, s24
	v_cmp_lt_u64_e64 s24, s[22:23], s[2:3]
	s_delay_alu instid0(VALU_DEP_2) | instskip(NEXT) | instid1(VALU_DEP_2)
	v_dual_mul_f32 v6, v5, v6 :: v_dual_mov_b32 v5, v2
	s_and_b32 vcc_lo, exec_lo, s24
	s_delay_alu instid0(VALU_DEP_1)
	v_fma_f32 v2, v4, v2, -v6
	s_cbranch_vccnz .LBB37_156
.LBB37_157:
	s_mov_b32 s22, 0
	s_branch .LBB37_166
.LBB37_158:
	s_mov_b32 s22, -1
                                        ; implicit-def: $vgpr2
.LBB37_159:
	s_delay_alu instid0(SALU_CYCLE_1)
	s_and_not1_b32 vcc_lo, exec_lo, s22
	s_cbranch_vccnz .LBB37_161
; %bb.160:
	s_waitcnt vmcnt(0)
	v_add_f32_e32 v2, v1, v1
.LBB37_161:
	v_add_nc_u32_e32 v3, 0x80, v3
	global_store_b32 v0, v2, s[4:5]
	s_or_b32 exec_lo, exec_lo, s37
	s_delay_alu instid0(SALU_CYCLE_1)
	s_mov_b32 s37, exec_lo
	v_cmpx_gt_i32_e64 s34, v3
	s_cbranch_execnz .LBB37_138
.LBB37_162:
	s_or_b32 exec_lo, exec_lo, s37
	s_delay_alu instid0(SALU_CYCLE_1)
	s_mov_b32 s24, exec_lo
	v_cmpx_gt_i32_e64 s34, v3
	s_cbranch_execnz .LBB37_169
.LBB37_163:
	s_or_b32 exec_lo, exec_lo, s24
                                        ; implicit-def: $vgpr8
                                        ; implicit-def: $vgpr3
	s_and_not1_saveexec_b32 s2, s29
	s_cbranch_execnz .LBB37_8
.LBB37_164:
	s_nop 0
	s_sendmsg sendmsg(MSG_DEALLOC_VGPRS)
	s_endpgm
.LBB37_165:
	s_mov_b32 s22, -1
                                        ; implicit-def: $vgpr2
.LBB37_166:
	s_delay_alu instid0(SALU_CYCLE_1)
	s_and_not1_b32 vcc_lo, exec_lo, s22
	s_cbranch_vccnz .LBB37_168
; %bb.167:
	s_waitcnt vmcnt(0)
	v_add_f32_e32 v2, v1, v1
.LBB37_168:
	v_add_nc_u32_e32 v3, 0x80, v3
	global_store_b32 v0, v2, s[4:5]
	s_or_b32 exec_lo, exec_lo, s37
	s_delay_alu instid0(SALU_CYCLE_1)
	s_mov_b32 s24, exec_lo
	v_cmpx_gt_i32_e64 s34, v3
	s_cbranch_execz .LBB37_163
.LBB37_169:
	s_and_not1_b32 vcc_lo, exec_lo, s28
	s_cbranch_vccnz .LBB37_174
; %bb.170:
	s_waitcnt vmcnt(0)
	v_dual_mov_b32 v0, 0 :: v_dual_mov_b32 v1, 0
	s_and_not1_b32 vcc_lo, exec_lo, s36
	s_mov_b32 s25, 0
	s_cbranch_vccnz .LBB37_179
; %bb.171:
	v_mov_b32_e32 v0, 0
	s_add_i32 s35, s35, 1
	s_cmp_eq_u32 s27, 2
	s_mov_b32 s34, 0
	s_cbranch_scc1 .LBB37_175
; %bb.172:
	v_dual_mov_b32 v1, 0 :: v_dual_mov_b32 v0, 0
	v_mov_b32_e32 v2, v3
	s_and_b32 s34, s35, 28
	s_mov_b32 s36, 0
	s_mov_b64 s[22:23], s[0:1]
.LBB37_173:                             ; =>This Inner Loop Header: Depth=1
	s_clause 0x1
	s_load_b256 s[40:47], s[22:23], 0x4
	s_load_b128 s[56:59], s[22:23], 0x24
	s_load_b256 s[48:55], s[20:21], 0x0
	s_add_u32 s22, s22, 48
	s_addc_u32 s23, s23, 0
	s_add_i32 s36, s36, 4
	s_add_u32 s20, s20, 32
	s_addc_u32 s21, s21, 0
	s_cmp_eq_u32 s34, s36
	s_waitcnt lgkmcnt(0)
	v_mul_hi_u32 v4, s41, v2
	s_delay_alu instid0(VALU_DEP_1) | instskip(NEXT) | instid1(VALU_DEP_1)
	v_add_nc_u32_e32 v4, v2, v4
	v_lshrrev_b32_e32 v4, s42, v4
	s_delay_alu instid0(VALU_DEP_1) | instskip(SKIP_1) | instid1(VALU_DEP_2)
	v_mul_hi_u32 v5, s44, v4
	v_mul_lo_u32 v7, v4, s40
	v_add_nc_u32_e32 v5, v4, v5
	s_delay_alu instid0(VALU_DEP_2) | instskip(NEXT) | instid1(VALU_DEP_2)
	v_sub_nc_u32_e32 v2, v2, v7
	v_lshrrev_b32_e32 v5, s45, v5
	s_delay_alu instid0(VALU_DEP_2) | instskip(SKIP_1) | instid1(VALU_DEP_3)
	v_mul_lo_u32 v7, v2, s48
	v_mul_lo_u32 v9, v2, s49
	v_mul_hi_u32 v6, s47, v5
	s_delay_alu instid0(VALU_DEP_1) | instskip(NEXT) | instid1(VALU_DEP_1)
	v_add_nc_u32_e32 v6, v5, v6
	v_lshrrev_b32_e32 v6, s56, v6
	s_delay_alu instid0(VALU_DEP_1) | instskip(SKIP_1) | instid1(VALU_DEP_2)
	v_mul_hi_u32 v8, s58, v6
	v_mul_lo_u32 v10, v6, s46
	v_add_nc_u32_e32 v2, v6, v8
	v_mul_lo_u32 v8, v5, s43
	s_delay_alu instid0(VALU_DEP_3) | instskip(NEXT) | instid1(VALU_DEP_3)
	v_sub_nc_u32_e32 v5, v5, v10
	v_lshrrev_b32_e32 v2, s59, v2
	s_delay_alu instid0(VALU_DEP_2) | instskip(SKIP_2) | instid1(VALU_DEP_4)
	v_mul_lo_u32 v10, v5, s52
	v_mul_lo_u32 v5, v5, s53
	v_sub_nc_u32_e32 v4, v4, v8
	v_mul_lo_u32 v11, v2, s57
	s_delay_alu instid0(VALU_DEP_2) | instskip(SKIP_1) | instid1(VALU_DEP_3)
	v_mul_lo_u32 v8, v4, s50
	v_mul_lo_u32 v4, v4, s51
	v_sub_nc_u32_e32 v6, v6, v11
	s_delay_alu instid0(VALU_DEP_3) | instskip(NEXT) | instid1(VALU_DEP_2)
	v_add3_u32 v0, v7, v0, v8
	v_mul_lo_u32 v11, v6, s54
	v_mul_lo_u32 v6, v6, s55
	v_add3_u32 v1, v9, v1, v4
	s_delay_alu instid0(VALU_DEP_3) | instskip(NEXT) | instid1(VALU_DEP_2)
	v_add3_u32 v0, v10, v0, v11
	v_add3_u32 v1, v5, v1, v6
	s_cbranch_scc0 .LBB37_173
	s_branch .LBB37_176
.LBB37_174:
	s_mov_b32 s25, -1
                                        ; implicit-def: $vgpr0
                                        ; implicit-def: $vgpr1
	s_branch .LBB37_179
.LBB37_175:
	v_dual_mov_b32 v2, v3 :: v_dual_mov_b32 v1, 0
.LBB37_176:
	s_and_b32 s35, s35, 3
	s_delay_alu instid0(SALU_CYCLE_1)
	s_cmp_eq_u32 s35, 0
	s_cbranch_scc1 .LBB37_179
; %bb.177:
	s_lshl_b32 s20, s34, 3
	s_mul_i32 s22, s34, 12
	s_add_u32 s20, s20, s0
	s_addc_u32 s21, s1, 0
	s_add_u32 s20, s20, 0xc4
	s_addc_u32 s21, s21, 0
	;; [unrolled: 2-line block ×3, first 2 shown]
	.p2align	6
.LBB37_178:                             ; =>This Inner Loop Header: Depth=1
	s_clause 0x1
	s_load_b64 s[36:37], s[22:23], 0x4
	s_load_b32 s34, s[22:23], 0xc
	s_load_b64 s[38:39], s[20:21], 0x0
	s_add_u32 s22, s22, 12
	s_addc_u32 s23, s23, 0
	s_add_u32 s20, s20, 8
	s_addc_u32 s21, s21, 0
	s_add_i32 s35, s35, -1
	s_delay_alu instid0(SALU_CYCLE_1) | instskip(SKIP_2) | instid1(VALU_DEP_1)
	s_cmp_lg_u32 s35, 0
	s_waitcnt lgkmcnt(0)
	v_mul_hi_u32 v4, s37, v2
	v_add_nc_u32_e32 v4, v2, v4
	s_delay_alu instid0(VALU_DEP_1) | instskip(NEXT) | instid1(VALU_DEP_1)
	v_lshrrev_b32_e32 v7, s34, v4
	v_mul_lo_u32 v4, v7, s36
	s_delay_alu instid0(VALU_DEP_1) | instskip(NEXT) | instid1(VALU_DEP_1)
	v_sub_nc_u32_e32 v2, v2, v4
	v_mad_u64_u32 v[4:5], null, v2, s38, v[0:1]
	v_mad_u64_u32 v[5:6], null, v2, s39, v[1:2]
	v_mov_b32_e32 v2, v7
	s_delay_alu instid0(VALU_DEP_2)
	v_dual_mov_b32 v0, v4 :: v_dual_mov_b32 v1, v5
	s_cbranch_scc1 .LBB37_178
.LBB37_179:
	s_and_not1_b32 vcc_lo, exec_lo, s25
	s_cbranch_vccnz .LBB37_182
; %bb.180:
	v_mul_hi_u32 v0, s9, v3
	s_and_not1_b32 vcc_lo, exec_lo, s33
	s_delay_alu instid0(VALU_DEP_1) | instskip(NEXT) | instid1(VALU_DEP_1)
	v_add_nc_u32_e32 v0, v3, v0
	v_lshrrev_b32_e32 v2, s10, v0
	s_delay_alu instid0(VALU_DEP_1) | instskip(SKIP_1) | instid1(VALU_DEP_1)
	v_mul_lo_u32 v0, v2, s8
	s_waitcnt vmcnt(0)
	v_sub_nc_u32_e32 v1, v3, v0
	s_delay_alu instid0(VALU_DEP_1)
	v_mul_lo_u32 v0, v1, s12
	v_mul_lo_u32 v1, v1, s13
	s_cbranch_vccnz .LBB37_182
; %bb.181:
	v_mul_hi_u32 v3, s18, v2
	s_delay_alu instid0(VALU_DEP_1) | instskip(NEXT) | instid1(VALU_DEP_1)
	v_add_nc_u32_e32 v3, v2, v3
	v_lshrrev_b32_e32 v3, s19, v3
	s_delay_alu instid0(VALU_DEP_1) | instskip(NEXT) | instid1(VALU_DEP_1)
	v_mul_lo_u32 v3, v3, s11
	v_sub_nc_u32_e32 v5, v2, v3
	s_delay_alu instid0(VALU_DEP_1) | instskip(NEXT) | instid1(VALU_DEP_1)
	v_mad_u64_u32 v[2:3], null, v5, s14, v[0:1]
	v_mad_u64_u32 v[3:4], null, v5, s15, v[1:2]
	s_delay_alu instid0(VALU_DEP_1)
	v_dual_mov_b32 v0, v2 :: v_dual_mov_b32 v1, v3
.LBB37_182:
	v_mov_b32_e32 v2, 0
	s_and_not1_b32 vcc_lo, exec_lo, s31
	s_cbranch_vccnz .LBB37_192
; %bb.183:
	v_cmp_lt_i64_e64 s8, s[16:17], 1
	v_mov_b32_e32 v2, 1.0
	s_delay_alu instid0(VALU_DEP_2)
	s_and_b32 vcc_lo, exec_lo, s8
	s_cbranch_vccnz .LBB37_192
; %bb.184:
	s_waitcnt vmcnt(0)
	global_load_b32 v1, v1, s[6:7]
	s_cmp_lg_u64 s[16:17], 1
	s_cbranch_scc0 .LBB37_189
; %bb.185:
	v_mov_b32_e32 v2, 0x7fc00000
	s_and_not1_b32 vcc_lo, exec_lo, s30
	s_cbranch_vccnz .LBB37_188
; %bb.186:
	s_waitcnt vmcnt(0)
	v_dual_add_f32 v3, v1, v1 :: v_dual_mov_b32 v4, 1.0
	s_mov_b64 s[6:7], 2
	s_delay_alu instid0(VALU_DEP_1)
	v_mov_b32_e32 v2, v3
	.p2align	6
.LBB37_187:                             ; =>This Inner Loop Header: Depth=1
	s_clz_i32_u32 s8, s7
	s_delay_alu instid0(SALU_CYCLE_1) | instskip(NEXT) | instid1(SALU_CYCLE_1)
	s_min_u32 s10, s8, 32
	s_lshl_b64 s[8:9], s[6:7], s10
	s_delay_alu instid0(SALU_CYCLE_1) | instskip(NEXT) | instid1(SALU_CYCLE_1)
	s_min_u32 s8, s8, 1
	s_or_b32 s8, s9, s8
	s_delay_alu instid0(SALU_CYCLE_1) | instskip(SKIP_3) | instid1(VALU_DEP_1)
	v_cvt_f32_u32_e32 v5, s8
	s_sub_i32 s8, 32, s10
	s_add_u32 s6, s6, 2
	s_addc_u32 s7, s7, 0
	v_ldexp_f32 v5, v5, s8
	v_cmp_lt_u64_e64 s8, s[6:7], s[2:3]
	s_delay_alu instid0(VALU_DEP_2) | instskip(NEXT) | instid1(VALU_DEP_2)
	v_dual_mul_f32 v5, v4, v5 :: v_dual_mov_b32 v4, v2
	s_and_b32 vcc_lo, exec_lo, s8
	s_delay_alu instid0(VALU_DEP_1)
	v_fma_f32 v2, v3, v2, -v5
	s_cbranch_vccnz .LBB37_187
.LBB37_188:
	s_mov_b32 s2, 0
	s_branch .LBB37_190
.LBB37_189:
	s_mov_b32 s2, -1
                                        ; implicit-def: $vgpr2
.LBB37_190:
	s_delay_alu instid0(SALU_CYCLE_1)
	s_and_not1_b32 vcc_lo, exec_lo, s2
	s_cbranch_vccnz .LBB37_192
; %bb.191:
	s_waitcnt vmcnt(0)
	v_add_f32_e32 v2, v1, v1
.LBB37_192:
	global_store_b32 v0, v2, s[4:5]
	s_or_b32 exec_lo, exec_lo, s24
                                        ; implicit-def: $vgpr8
                                        ; implicit-def: $vgpr3
	s_and_not1_saveexec_b32 s2, s29
	s_cbranch_execz .LBB37_164
	s_branch .LBB37_8
	.section	.rodata,"a",@progbits
	.p2align	6, 0x0
	.amdhsa_kernel _ZN2at6native32elementwise_kernel_manual_unrollILi128ELi4EZNS0_22gpu_kernel_impl_nocastINS0_13BUnaryFunctorIfffZZZNS0_12_GLOBAL__N_132hermite_polynomial_h_kernel_cudaERNS_18TensorIteratorBaseEENKUlvE_clEvENKUlvE0_clEvEUlffE_EEEEvS6_RKT_EUlibE_EEviT1_
		.amdhsa_group_segment_fixed_size 0
		.amdhsa_private_segment_fixed_size 0
		.amdhsa_kernarg_size 360
		.amdhsa_user_sgpr_count 15
		.amdhsa_user_sgpr_dispatch_ptr 0
		.amdhsa_user_sgpr_queue_ptr 0
		.amdhsa_user_sgpr_kernarg_segment_ptr 1
		.amdhsa_user_sgpr_dispatch_id 0
		.amdhsa_user_sgpr_private_segment_size 0
		.amdhsa_wavefront_size32 1
		.amdhsa_uses_dynamic_stack 0
		.amdhsa_enable_private_segment 0
		.amdhsa_system_sgpr_workgroup_id_x 1
		.amdhsa_system_sgpr_workgroup_id_y 0
		.amdhsa_system_sgpr_workgroup_id_z 0
		.amdhsa_system_sgpr_workgroup_info 0
		.amdhsa_system_vgpr_workitem_id 0
		.amdhsa_next_free_vgpr 18
		.amdhsa_next_free_sgpr 64
		.amdhsa_reserve_vcc 1
		.amdhsa_float_round_mode_32 0
		.amdhsa_float_round_mode_16_64 0
		.amdhsa_float_denorm_mode_32 3
		.amdhsa_float_denorm_mode_16_64 3
		.amdhsa_dx10_clamp 1
		.amdhsa_ieee_mode 1
		.amdhsa_fp16_overflow 0
		.amdhsa_workgroup_processor_mode 1
		.amdhsa_memory_ordered 1
		.amdhsa_forward_progress 0
		.amdhsa_shared_vgpr_count 0
		.amdhsa_exception_fp_ieee_invalid_op 0
		.amdhsa_exception_fp_denorm_src 0
		.amdhsa_exception_fp_ieee_div_zero 0
		.amdhsa_exception_fp_ieee_overflow 0
		.amdhsa_exception_fp_ieee_underflow 0
		.amdhsa_exception_fp_ieee_inexact 0
		.amdhsa_exception_int_div_zero 0
	.end_amdhsa_kernel
	.section	.text._ZN2at6native32elementwise_kernel_manual_unrollILi128ELi4EZNS0_22gpu_kernel_impl_nocastINS0_13BUnaryFunctorIfffZZZNS0_12_GLOBAL__N_132hermite_polynomial_h_kernel_cudaERNS_18TensorIteratorBaseEENKUlvE_clEvENKUlvE0_clEvEUlffE_EEEEvS6_RKT_EUlibE_EEviT1_,"axG",@progbits,_ZN2at6native32elementwise_kernel_manual_unrollILi128ELi4EZNS0_22gpu_kernel_impl_nocastINS0_13BUnaryFunctorIfffZZZNS0_12_GLOBAL__N_132hermite_polynomial_h_kernel_cudaERNS_18TensorIteratorBaseEENKUlvE_clEvENKUlvE0_clEvEUlffE_EEEEvS6_RKT_EUlibE_EEviT1_,comdat
.Lfunc_end37:
	.size	_ZN2at6native32elementwise_kernel_manual_unrollILi128ELi4EZNS0_22gpu_kernel_impl_nocastINS0_13BUnaryFunctorIfffZZZNS0_12_GLOBAL__N_132hermite_polynomial_h_kernel_cudaERNS_18TensorIteratorBaseEENKUlvE_clEvENKUlvE0_clEvEUlffE_EEEEvS6_RKT_EUlibE_EEviT1_, .Lfunc_end37-_ZN2at6native32elementwise_kernel_manual_unrollILi128ELi4EZNS0_22gpu_kernel_impl_nocastINS0_13BUnaryFunctorIfffZZZNS0_12_GLOBAL__N_132hermite_polynomial_h_kernel_cudaERNS_18TensorIteratorBaseEENKUlvE_clEvENKUlvE0_clEvEUlffE_EEEEvS6_RKT_EUlibE_EEviT1_
                                        ; -- End function
	.section	.AMDGPU.csdata,"",@progbits
; Kernel info:
; codeLenInByte = 8804
; NumSgprs: 66
; NumVgprs: 18
; ScratchSize: 0
; MemoryBound: 0
; FloatMode: 240
; IeeeMode: 1
; LDSByteSize: 0 bytes/workgroup (compile time only)
; SGPRBlocks: 8
; VGPRBlocks: 2
; NumSGPRsForWavesPerEU: 66
; NumVGPRsForWavesPerEU: 18
; Occupancy: 16
; WaveLimiterHint : 1
; COMPUTE_PGM_RSRC2:SCRATCH_EN: 0
; COMPUTE_PGM_RSRC2:USER_SGPR: 15
; COMPUTE_PGM_RSRC2:TRAP_HANDLER: 0
; COMPUTE_PGM_RSRC2:TGID_X_EN: 1
; COMPUTE_PGM_RSRC2:TGID_Y_EN: 0
; COMPUTE_PGM_RSRC2:TGID_Z_EN: 0
; COMPUTE_PGM_RSRC2:TIDIG_COMP_CNT: 0
	.section	.text._ZN2at6native32elementwise_kernel_manual_unrollILi128ELi4EZNS0_15gpu_kernel_implINS0_13BUnaryFunctorIfffZZZNS0_12_GLOBAL__N_132hermite_polynomial_h_kernel_cudaERNS_18TensorIteratorBaseEENKUlvE_clEvENKUlvE0_clEvEUlffE_EEEEvS6_RKT_EUlibE_EEviT1_,"axG",@progbits,_ZN2at6native32elementwise_kernel_manual_unrollILi128ELi4EZNS0_15gpu_kernel_implINS0_13BUnaryFunctorIfffZZZNS0_12_GLOBAL__N_132hermite_polynomial_h_kernel_cudaERNS_18TensorIteratorBaseEENKUlvE_clEvENKUlvE0_clEvEUlffE_EEEEvS6_RKT_EUlibE_EEviT1_,comdat
	.globl	_ZN2at6native32elementwise_kernel_manual_unrollILi128ELi4EZNS0_15gpu_kernel_implINS0_13BUnaryFunctorIfffZZZNS0_12_GLOBAL__N_132hermite_polynomial_h_kernel_cudaERNS_18TensorIteratorBaseEENKUlvE_clEvENKUlvE0_clEvEUlffE_EEEEvS6_RKT_EUlibE_EEviT1_ ; -- Begin function _ZN2at6native32elementwise_kernel_manual_unrollILi128ELi4EZNS0_15gpu_kernel_implINS0_13BUnaryFunctorIfffZZZNS0_12_GLOBAL__N_132hermite_polynomial_h_kernel_cudaERNS_18TensorIteratorBaseEENKUlvE_clEvENKUlvE0_clEvEUlffE_EEEEvS6_RKT_EUlibE_EEviT1_
	.p2align	8
	.type	_ZN2at6native32elementwise_kernel_manual_unrollILi128ELi4EZNS0_15gpu_kernel_implINS0_13BUnaryFunctorIfffZZZNS0_12_GLOBAL__N_132hermite_polynomial_h_kernel_cudaERNS_18TensorIteratorBaseEENKUlvE_clEvENKUlvE0_clEvEUlffE_EEEEvS6_RKT_EUlibE_EEviT1_,@function
_ZN2at6native32elementwise_kernel_manual_unrollILi128ELi4EZNS0_15gpu_kernel_implINS0_13BUnaryFunctorIfffZZZNS0_12_GLOBAL__N_132hermite_polynomial_h_kernel_cudaERNS_18TensorIteratorBaseEENKUlvE_clEvENKUlvE0_clEvEUlffE_EEEEvS6_RKT_EUlibE_EEviT1_: ; @_ZN2at6native32elementwise_kernel_manual_unrollILi128ELi4EZNS0_15gpu_kernel_implINS0_13BUnaryFunctorIfffZZZNS0_12_GLOBAL__N_132hermite_polynomial_h_kernel_cudaERNS_18TensorIteratorBaseEENKUlvE_clEvENKUlvE0_clEvEUlffE_EEEEvS6_RKT_EUlibE_EEviT1_
; %bb.0:
	s_clause 0x3
	s_load_b64 s[8:9], s[0:1], 0x24
	s_load_b32 s18, s[0:1], 0x0
	s_load_b64 s[2:3], s[0:1], 0x18
	s_load_b128 s[4:7], s[0:1], 0x8
	v_lshl_or_b32 v6, s15, 9, v0
	s_mov_b32 s14, 0
	s_mov_b32 s16, 0
	s_mov_b32 s0, exec_lo
	s_delay_alu instid0(VALU_DEP_1) | instskip(SKIP_2) | instid1(VALU_DEP_2)
	v_or_b32_e32 v0, 0x180, v6
	s_waitcnt lgkmcnt(0)
	v_lshrrev_b16 v7, 8, s9
	v_cmpx_le_i32_e64 s18, v0
	s_xor_b32 s15, exec_lo, s0
	s_cbranch_execz .LBB38_1072
; %bb.1:
	v_trunc_f32_e32 v0, s8
	v_cmp_class_f32_e64 s12, s8, 0x1f8
	s_mov_b32 s22, 0
	s_mov_b32 s20, 0
	;; [unrolled: 1-line block ×3, first 2 shown]
	v_mul_f32_e64 v1, 0x2f800000, |v0|
	v_readfirstlane_b32 s10, v0
	s_mov_b32 s21, exec_lo
	s_delay_alu instid0(VALU_DEP_2) | instskip(NEXT) | instid1(VALU_DEP_2)
	v_floor_f32_e32 v1, v1
	s_ashr_i32 s10, s10, 31
	s_delay_alu instid0(SALU_CYCLE_1) | instskip(NEXT) | instid1(VALU_DEP_1)
	s_mov_b32 s11, s10
	v_fma_f32 v2, 0xcf800000, v1, |v0|
	v_cvt_u32_f32_e32 v1, v1
	s_delay_alu instid0(VALU_DEP_2) | instskip(NEXT) | instid1(VALU_DEP_2)
	v_cvt_u32_f32_e32 v2, v2
	v_readfirstlane_b32 s1, v1
	s_delay_alu instid0(VALU_DEP_2) | instskip(NEXT) | instid1(VALU_DEP_1)
	v_readfirstlane_b32 s0, v2
	s_xor_b64 s[0:1], s[0:1], s[10:11]
	s_delay_alu instid0(SALU_CYCLE_1)
	s_sub_u32 s0, s0, s10
	s_subb_u32 s1, s1, s10
	s_and_b32 s10, s12, exec_lo
	s_cselect_b32 s13, s1, -1
	s_cselect_b32 s12, s0, -1
	s_mov_b32 s1, -1
	v_cmp_gt_i64_e64 s17, s[12:13], -1
	v_cmp_gt_u64_e64 s16, 0x81, s[12:13]
	s_lshl_b64 s[10:11], s[12:13], 1
	v_cmpx_gt_i32_e64 s18, v6
	s_cbranch_execz .LBB38_261
; %bb.2:
	v_mul_lo_u32 v0, v6, s3
	v_cmp_gt_i16_e32 vcc_lo, 11, v7
	s_delay_alu instid0(VALU_DEP_2) | instskip(SKIP_1) | instid1(VALU_DEP_1)
	v_ashrrev_i32_e32 v1, 31, v0
	v_add_co_u32 v0, s0, s6, v0
	v_add_co_ci_u32_e64 v1, s0, s7, v1, s0
	s_cbranch_vccnz .LBB38_9
; %bb.3:
	v_cmp_lt_i16_e32 vcc_lo, 25, v7
	s_cbranch_vccz .LBB38_18
; %bb.4:
	v_cmp_lt_i16_e32 vcc_lo, 28, v7
	s_cbranch_vccz .LBB38_19
	;; [unrolled: 3-line block ×4, first 2 shown]
; %bb.7:
	v_cmp_eq_u16_e32 vcc_lo, 46, v7
	s_mov_b32 s1, 0
	s_cbranch_vccz .LBB38_36
; %bb.8:
	global_load_b32 v2, v[0:1], off
	s_mov_b32 s0, -1
	s_waitcnt vmcnt(0)
	v_lshlrev_b32_e32 v2, 16, v2
	s_branch .LBB38_38
.LBB38_9:
	s_mov_b32 s0, 0
                                        ; implicit-def: $vgpr2
	s_and_b32 vcc_lo, exec_lo, s1
	s_cbranch_vccnz .LBB38_211
.LBB38_10:
	s_and_not1_b32 vcc_lo, exec_lo, s0
	s_cbranch_vccnz .LBB38_258
.LBB38_11:
	v_mov_b32_e32 v0, 0
	s_and_not1_b32 vcc_lo, exec_lo, s17
	s_cbranch_vccnz .LBB38_24
; %bb.12:
	v_cmp_lt_i64_e64 s0, s[12:13], 1
	v_mov_b32_e32 v0, 1.0
	s_delay_alu instid0(VALU_DEP_2)
	s_and_b32 vcc_lo, exec_lo, s0
	s_cbranch_vccnz .LBB38_24
; %bb.13:
	s_cmp_lg_u64 s[12:13], 1
	s_cbranch_scc0 .LBB38_21
; %bb.14:
	v_mov_b32_e32 v0, 0x7fc00000
	s_and_not1_b32 vcc_lo, exec_lo, s16
	s_cbranch_vccnz .LBB38_17
; %bb.15:
	s_waitcnt vmcnt(0)
	v_add_f32_e32 v1, v2, v2
	v_mov_b32_e32 v3, 1.0
	s_mov_b64 s[0:1], 2
	s_delay_alu instid0(VALU_DEP_2)
	v_mov_b32_e32 v0, v1
	.p2align	6
.LBB38_16:                              ; =>This Inner Loop Header: Depth=1
	s_clz_i32_u32 s19, s1
	s_delay_alu instid0(SALU_CYCLE_1) | instskip(NEXT) | instid1(SALU_CYCLE_1)
	s_min_u32 s19, s19, 32
	s_lshl_b64 s[24:25], s[0:1], s19
	s_sub_i32 s19, 32, s19
	s_min_u32 s23, s24, 1
	s_delay_alu instid0(SALU_CYCLE_1) | instskip(SKIP_3) | instid1(VALU_DEP_1)
	s_or_b32 s23, s25, s23
	s_add_u32 s0, s0, 2
	v_cvt_f32_u32_e32 v4, s23
	s_addc_u32 s1, s1, 0
	v_ldexp_f32 v4, v4, s19
	v_cmp_lt_u64_e64 s19, s[0:1], s[10:11]
	s_delay_alu instid0(VALU_DEP_2) | instskip(NEXT) | instid1(VALU_DEP_2)
	v_dual_mul_f32 v4, v3, v4 :: v_dual_mov_b32 v3, v0
	s_and_b32 vcc_lo, exec_lo, s19
	s_delay_alu instid0(VALU_DEP_1)
	v_fma_f32 v0, v1, v0, -v4
	s_cbranch_vccnz .LBB38_16
.LBB38_17:
	s_mov_b32 s0, 0
	s_branch .LBB38_22
.LBB38_18:
	s_mov_b32 s0, 0
                                        ; implicit-def: $vgpr2
	s_and_b32 vcc_lo, exec_lo, s1
	s_cbranch_vccnz .LBB38_176
	s_branch .LBB38_210
.LBB38_19:
	s_mov_b32 s0, 0
                                        ; implicit-def: $vgpr2
	s_branch .LBB38_157
.LBB38_20:
	s_mov_b32 s0, 0
                                        ; implicit-def: $vgpr2
	s_branch .LBB38_152
.LBB38_21:
	s_mov_b32 s0, -1
                                        ; implicit-def: $vgpr0
.LBB38_22:
	s_delay_alu instid0(SALU_CYCLE_1)
	s_and_not1_b32 vcc_lo, exec_lo, s0
	s_cbranch_vccnz .LBB38_24
; %bb.23:
	s_waitcnt vmcnt(0)
	s_delay_alu instid0(VALU_DEP_4)
	v_add_f32_e32 v0, v2, v2
.LBB38_24:
	v_mul_lo_u32 v1, v6, s2
	v_and_b32_e64 v4, 0xff, s9
	s_delay_alu instid0(VALU_DEP_1) | instskip(NEXT) | instid1(VALU_DEP_3)
	v_cmp_gt_i16_e32 vcc_lo, 11, v4
	v_ashrrev_i32_e32 v3, 31, v1
	s_waitcnt vmcnt(0)
	v_add_co_u32 v2, s0, s4, v1
	s_delay_alu instid0(VALU_DEP_1)
	v_add_co_ci_u32_e64 v3, s0, s5, v3, s0
	s_cbranch_vccnz .LBB38_31
; %bb.25:
	v_cmp_lt_i16_e32 vcc_lo, 25, v4
	s_cbranch_vccz .LBB38_33
; %bb.26:
	v_cmp_lt_i16_e32 vcc_lo, 28, v4
	s_cbranch_vccz .LBB38_34
; %bb.27:
	v_cmp_lt_i16_e32 vcc_lo, 43, v4
	s_cbranch_vccz .LBB38_35
; %bb.28:
	v_cmp_lt_i16_e32 vcc_lo, 45, v4
	s_cbranch_vccz .LBB38_41
; %bb.29:
	v_cmp_eq_u16_e32 vcc_lo, 46, v4
	s_mov_b32 s19, 0
	s_mov_b32 s0, -1
	s_mov_b32 s1, 0
	s_cbranch_vccz .LBB38_42
; %bb.30:
	v_bfe_u32 v1, v0, 16, 1
	v_cmp_o_f32_e32 vcc_lo, v0, v0
	s_mov_b32 s1, -1
	s_mov_b32 s0, 0
	s_delay_alu instid0(VALU_DEP_2) | instskip(NEXT) | instid1(VALU_DEP_1)
	v_add3_u32 v1, v0, v1, 0x7fff
	v_lshrrev_b32_e32 v1, 16, v1
	s_delay_alu instid0(VALU_DEP_1)
	v_cndmask_b32_e32 v1, 0x7fc0, v1, vcc_lo
	global_store_b32 v[2:3], v1, off
	s_branch .LBB38_42
.LBB38_31:
	s_mov_b32 s0, 0
	s_mov_b32 s1, 0
	s_cbranch_execnz .LBB38_111
.LBB38_32:
	s_and_not1_b32 vcc_lo, exec_lo, s1
	s_cbranch_vccnz .LBB38_259
	s_branch .LBB38_149
.LBB38_33:
	s_mov_b32 s19, -1
	s_mov_b32 s0, 0
	s_mov_b32 s1, 0
	s_branch .LBB38_69
.LBB38_34:
	s_mov_b32 s19, -1
	s_mov_b32 s0, 0
	s_mov_b32 s1, 0
	s_branch .LBB38_52
.LBB38_35:
	s_mov_b32 s19, -1
	s_mov_b32 s0, 0
	s_mov_b32 s1, 0
	s_branch .LBB38_48
.LBB38_36:
	s_mov_b32 s20, -1
.LBB38_37:
	s_mov_b32 s0, 0
                                        ; implicit-def: $vgpr2
.LBB38_38:
	s_and_b32 vcc_lo, exec_lo, s1
	s_cbranch_vccz .LBB38_151
; %bb.39:
	v_cmp_eq_u16_e32 vcc_lo, 44, v7
	s_cbranch_vccz .LBB38_150
; %bb.40:
	global_load_u8 v2, v[0:1], off
	s_mov_b32 s20, 0
	s_mov_b32 s0, -1
	s_waitcnt vmcnt(0)
	v_lshlrev_b32_e32 v3, 23, v2
	v_cmp_ne_u32_e32 vcc_lo, 0xff, v2
	s_delay_alu instid0(VALU_DEP_2) | instskip(SKIP_1) | instid1(VALU_DEP_2)
	v_cndmask_b32_e32 v3, 0x7f800001, v3, vcc_lo
	v_cmp_ne_u32_e32 vcc_lo, 0, v2
	v_cndmask_b32_e32 v2, 0x400000, v3, vcc_lo
	s_branch .LBB38_151
.LBB38_41:
	s_mov_b32 s19, -1
	s_mov_b32 s0, 0
	s_mov_b32 s1, 0
.LBB38_42:
	s_and_b32 vcc_lo, exec_lo, s19
	s_cbranch_vccz .LBB38_47
; %bb.43:
	v_cmp_eq_u16_e32 vcc_lo, 44, v4
	s_mov_b32 s0, -1
	s_cbranch_vccz .LBB38_47
; %bb.44:
	v_bfe_u32 v5, v0, 23, 8
	v_mov_b32_e32 v1, 0xff
	s_mov_b32 s1, exec_lo
	s_delay_alu instid0(VALU_DEP_2)
	v_cmpx_ne_u32_e32 0xff, v5
; %bb.45:
	v_and_b32_e32 v1, 0x400000, v0
	v_and_or_b32 v5, 0x3fffff, v0, v5
	s_delay_alu instid0(VALU_DEP_2) | instskip(NEXT) | instid1(VALU_DEP_2)
	v_cmp_ne_u32_e32 vcc_lo, 0, v1
	v_cmp_ne_u32_e64 s0, 0, v5
	v_lshrrev_b32_e32 v1, 23, v0
	s_delay_alu instid0(VALU_DEP_2) | instskip(NEXT) | instid1(SALU_CYCLE_1)
	s_and_b32 s0, vcc_lo, s0
	v_cndmask_b32_e64 v5, 0, 1, s0
	s_delay_alu instid0(VALU_DEP_1)
	v_add_nc_u32_e32 v1, v1, v5
; %bb.46:
	s_or_b32 exec_lo, exec_lo, s1
	s_mov_b32 s1, -1
	s_mov_b32 s0, 0
	global_store_b8 v[2:3], v1, off
.LBB38_47:
	s_mov_b32 s19, 0
.LBB38_48:
	s_delay_alu instid0(SALU_CYCLE_1)
	s_and_b32 vcc_lo, exec_lo, s19
	s_cbranch_vccz .LBB38_51
; %bb.49:
	v_cmp_eq_u16_e32 vcc_lo, 29, v4
	s_mov_b32 s0, -1
	s_cbranch_vccz .LBB38_51
; %bb.50:
	v_trunc_f32_e32 v1, v0
	s_mov_b32 s1, -1
	s_mov_b32 s0, 0
	s_mov_b32 s19, 0
	s_delay_alu instid0(VALU_DEP_1) | instskip(NEXT) | instid1(VALU_DEP_1)
	v_mul_f32_e32 v5, 0x2f800000, v1
	v_floor_f32_e32 v5, v5
	s_delay_alu instid0(VALU_DEP_1) | instskip(SKIP_1) | instid1(VALU_DEP_2)
	v_fmamk_f32 v1, v5, 0xcf800000, v1
	v_cvt_u32_f32_e32 v9, v5
	v_cvt_u32_f32_e32 v8, v1
	global_store_b64 v[2:3], v[8:9], off
	s_branch .LBB38_52
.LBB38_51:
	s_mov_b32 s19, 0
.LBB38_52:
	s_delay_alu instid0(SALU_CYCLE_1)
	s_and_b32 vcc_lo, exec_lo, s19
	s_cbranch_vccz .LBB38_68
; %bb.53:
	v_cmp_gt_i16_e32 vcc_lo, 27, v4
	s_mov_b32 s1, -1
	s_cbranch_vccnz .LBB38_59
; %bb.54:
	v_cmp_lt_i16_e32 vcc_lo, 27, v4
	s_cbranch_vccz .LBB38_56
; %bb.55:
	v_cvt_u32_f32_e32 v1, v0
	s_mov_b32 s1, 0
	global_store_b32 v[2:3], v1, off
.LBB38_56:
	s_and_not1_b32 vcc_lo, exec_lo, s1
	s_cbranch_vccnz .LBB38_58
; %bb.57:
	v_cvt_u32_f32_e32 v1, v0
	global_store_b16 v[2:3], v1, off
.LBB38_58:
	s_mov_b32 s1, 0
.LBB38_59:
	s_delay_alu instid0(SALU_CYCLE_1)
	s_and_not1_b32 vcc_lo, exec_lo, s1
	s_cbranch_vccnz .LBB38_67
; %bb.60:
	v_and_b32_e32 v1, 0x7fffffff, v0
	v_mov_b32_e32 v5, 0x80
	s_mov_b32 s1, exec_lo
	s_delay_alu instid0(VALU_DEP_2)
	v_cmpx_gt_u32_e32 0x43800000, v1
	s_cbranch_execz .LBB38_66
; %bb.61:
	v_cmp_lt_u32_e32 vcc_lo, 0x3bffffff, v1
	s_mov_b32 s19, 0
                                        ; implicit-def: $vgpr1
	s_and_saveexec_b32 s23, vcc_lo
	s_delay_alu instid0(SALU_CYCLE_1)
	s_xor_b32 s23, exec_lo, s23
	s_cbranch_execz .LBB38_295
; %bb.62:
	v_bfe_u32 v1, v0, 20, 1
	s_mov_b32 s19, exec_lo
	s_delay_alu instid0(VALU_DEP_1) | instskip(NEXT) | instid1(VALU_DEP_1)
	v_add3_u32 v1, v0, v1, 0x487ffff
	v_lshrrev_b32_e32 v1, 20, v1
	s_or_saveexec_b32 s23, s23
                                        ; implicit-def: $sgpr24
	s_delay_alu instid0(SALU_CYCLE_1)
	s_xor_b32 exec_lo, exec_lo, s23
	s_cbranch_execnz .LBB38_296
.LBB38_63:
	s_or_b32 exec_lo, exec_lo, s23
	v_mov_b32_e32 v5, s24
	s_and_saveexec_b32 s23, s19
.LBB38_64:
	v_lshrrev_b32_e32 v5, 24, v0
	s_delay_alu instid0(VALU_DEP_1)
	v_and_or_b32 v5, 0x80, v5, v1
.LBB38_65:
	s_or_b32 exec_lo, exec_lo, s23
.LBB38_66:
	s_delay_alu instid0(SALU_CYCLE_1)
	s_or_b32 exec_lo, exec_lo, s1
	global_store_b8 v[2:3], v5, off
.LBB38_67:
	s_mov_b32 s1, -1
.LBB38_68:
	s_mov_b32 s19, 0
.LBB38_69:
	s_delay_alu instid0(SALU_CYCLE_1)
	s_and_b32 vcc_lo, exec_lo, s19
	s_cbranch_vccz .LBB38_110
; %bb.70:
	v_cmp_lt_i16_e32 vcc_lo, 22, v4
	s_mov_b32 s19, -1
	s_cbranch_vccz .LBB38_102
; %bb.71:
	v_cmp_gt_i16_e32 vcc_lo, 24, v4
	s_mov_b32 s1, -1
	s_cbranch_vccnz .LBB38_91
; %bb.72:
	v_cmp_lt_i16_e32 vcc_lo, 24, v4
	s_cbranch_vccz .LBB38_80
; %bb.73:
	v_and_b32_e32 v1, 0x7fffffff, v0
	v_mov_b32_e32 v5, 0x80
	s_mov_b32 s1, exec_lo
	s_delay_alu instid0(VALU_DEP_2)
	v_cmpx_gt_u32_e32 0x47800000, v1
	s_cbranch_execz .LBB38_79
; %bb.74:
	v_cmp_lt_u32_e32 vcc_lo, 0x37ffffff, v1
	s_mov_b32 s19, 0
                                        ; implicit-def: $vgpr1
	s_and_saveexec_b32 s23, vcc_lo
	s_delay_alu instid0(SALU_CYCLE_1)
	s_xor_b32 s23, exec_lo, s23
	s_cbranch_execz .LBB38_299
; %bb.75:
	v_bfe_u32 v1, v0, 21, 1
	s_mov_b32 s19, exec_lo
	s_delay_alu instid0(VALU_DEP_1) | instskip(NEXT) | instid1(VALU_DEP_1)
	v_add3_u32 v1, v0, v1, 0x88fffff
	v_lshrrev_b32_e32 v1, 21, v1
	s_or_saveexec_b32 s23, s23
                                        ; implicit-def: $sgpr24
	s_delay_alu instid0(SALU_CYCLE_1)
	s_xor_b32 exec_lo, exec_lo, s23
	s_cbranch_execnz .LBB38_300
.LBB38_76:
	s_or_b32 exec_lo, exec_lo, s23
	v_mov_b32_e32 v5, s24
	s_and_saveexec_b32 s23, s19
.LBB38_77:
	v_lshrrev_b32_e32 v5, 24, v0
	s_delay_alu instid0(VALU_DEP_1)
	v_and_or_b32 v5, 0x80, v5, v1
.LBB38_78:
	s_or_b32 exec_lo, exec_lo, s23
.LBB38_79:
	s_delay_alu instid0(SALU_CYCLE_1)
	s_or_b32 exec_lo, exec_lo, s1
	s_mov_b32 s1, 0
	global_store_b8 v[2:3], v5, off
.LBB38_80:
	s_and_b32 vcc_lo, exec_lo, s1
	s_cbranch_vccz .LBB38_90
; %bb.81:
	v_and_b32_e32 v5, 0x7fffffff, v0
	s_mov_b32 s1, exec_lo
                                        ; implicit-def: $vgpr1
	s_delay_alu instid0(VALU_DEP_1)
	v_cmpx_gt_u32_e32 0x43f00000, v5
	s_xor_b32 s1, exec_lo, s1
	s_cbranch_execz .LBB38_87
; %bb.82:
	s_mov_b32 s19, exec_lo
                                        ; implicit-def: $vgpr1
	v_cmpx_lt_u32_e32 0x3c7fffff, v5
	s_xor_b32 s19, exec_lo, s19
; %bb.83:
	v_bfe_u32 v1, v0, 20, 1
	s_delay_alu instid0(VALU_DEP_1) | instskip(NEXT) | instid1(VALU_DEP_1)
	v_add3_u32 v1, v0, v1, 0x407ffff
	v_and_b32_e32 v5, 0xff00000, v1
	v_lshrrev_b32_e32 v1, 20, v1
	s_delay_alu instid0(VALU_DEP_2) | instskip(NEXT) | instid1(VALU_DEP_2)
	v_cmp_ne_u32_e32 vcc_lo, 0x7f00000, v5
	v_cndmask_b32_e32 v1, 0x7e, v1, vcc_lo
; %bb.84:
	s_and_not1_saveexec_b32 s19, s19
; %bb.85:
	v_add_f32_e64 v1, 0x46800000, |v0|
; %bb.86:
	s_or_b32 exec_lo, exec_lo, s19
                                        ; implicit-def: $vgpr5
.LBB38_87:
	s_and_not1_saveexec_b32 s1, s1
; %bb.88:
	v_mov_b32_e32 v1, 0x7f
	v_cmp_lt_u32_e32 vcc_lo, 0x7f800000, v5
	s_delay_alu instid0(VALU_DEP_2)
	v_cndmask_b32_e32 v1, 0x7e, v1, vcc_lo
; %bb.89:
	s_or_b32 exec_lo, exec_lo, s1
	v_lshrrev_b32_e32 v5, 24, v0
	s_delay_alu instid0(VALU_DEP_1)
	v_and_or_b32 v1, 0x80, v5, v1
	global_store_b8 v[2:3], v1, off
.LBB38_90:
	s_mov_b32 s1, 0
.LBB38_91:
	s_delay_alu instid0(SALU_CYCLE_1)
	s_and_not1_b32 vcc_lo, exec_lo, s1
	s_cbranch_vccnz .LBB38_101
; %bb.92:
	v_and_b32_e32 v5, 0x7fffffff, v0
	s_mov_b32 s1, exec_lo
                                        ; implicit-def: $vgpr1
	s_delay_alu instid0(VALU_DEP_1)
	v_cmpx_gt_u32_e32 0x47800000, v5
	s_xor_b32 s1, exec_lo, s1
	s_cbranch_execz .LBB38_98
; %bb.93:
	s_mov_b32 s19, exec_lo
                                        ; implicit-def: $vgpr1
	v_cmpx_lt_u32_e32 0x387fffff, v5
	s_xor_b32 s19, exec_lo, s19
; %bb.94:
	v_bfe_u32 v1, v0, 21, 1
	s_delay_alu instid0(VALU_DEP_1) | instskip(NEXT) | instid1(VALU_DEP_1)
	v_add3_u32 v1, v0, v1, 0x80fffff
	v_lshrrev_b32_e32 v1, 21, v1
; %bb.95:
	s_and_not1_saveexec_b32 s19, s19
; %bb.96:
	v_add_f32_e64 v1, 0x43000000, |v0|
; %bb.97:
	s_or_b32 exec_lo, exec_lo, s19
                                        ; implicit-def: $vgpr5
.LBB38_98:
	s_and_not1_saveexec_b32 s1, s1
; %bb.99:
	v_mov_b32_e32 v1, 0x7f
	v_cmp_lt_u32_e32 vcc_lo, 0x7f800000, v5
	s_delay_alu instid0(VALU_DEP_2)
	v_cndmask_b32_e32 v1, 0x7c, v1, vcc_lo
; %bb.100:
	s_or_b32 exec_lo, exec_lo, s1
	v_lshrrev_b32_e32 v5, 24, v0
	s_delay_alu instid0(VALU_DEP_1)
	v_and_or_b32 v1, 0x80, v5, v1
	global_store_b8 v[2:3], v1, off
.LBB38_101:
	s_mov_b32 s19, 0
	s_mov_b32 s1, -1
.LBB38_102:
	s_and_not1_b32 vcc_lo, exec_lo, s19
	s_cbranch_vccnz .LBB38_110
; %bb.103:
	v_cmp_lt_i16_e32 vcc_lo, 14, v4
	s_mov_b32 s19, -1
	s_cbranch_vccz .LBB38_107
; %bb.104:
	v_cmp_eq_u16_e32 vcc_lo, 15, v4
	s_mov_b32 s0, -1
	s_cbranch_vccz .LBB38_106
; %bb.105:
	v_bfe_u32 v1, v0, 16, 1
	v_cmp_o_f32_e32 vcc_lo, v0, v0
	s_mov_b32 s1, -1
	s_mov_b32 s0, 0
	s_delay_alu instid0(VALU_DEP_2) | instskip(NEXT) | instid1(VALU_DEP_1)
	v_add3_u32 v1, v0, v1, 0x7fff
	v_lshrrev_b32_e32 v1, 16, v1
	s_delay_alu instid0(VALU_DEP_1)
	v_cndmask_b32_e32 v1, 0x7fc0, v1, vcc_lo
	global_store_b16 v[2:3], v1, off
.LBB38_106:
	s_mov_b32 s19, 0
.LBB38_107:
	s_delay_alu instid0(SALU_CYCLE_1)
	s_and_b32 vcc_lo, exec_lo, s19
	s_cbranch_vccz .LBB38_110
; %bb.108:
	v_cmp_eq_u16_e32 vcc_lo, 11, v4
	s_mov_b32 s0, -1
	s_cbranch_vccz .LBB38_110
; %bb.109:
	v_cmp_neq_f32_e32 vcc_lo, 0, v0
	s_mov_b32 s0, 0
	s_mov_b32 s1, -1
	v_cndmask_b32_e64 v1, 0, 1, vcc_lo
	global_store_b8 v[2:3], v1, off
.LBB38_110:
	s_branch .LBB38_32
.LBB38_111:
	v_cmp_gt_i16_e32 vcc_lo, 5, v4
	s_mov_b32 s1, -1
	s_cbranch_vccnz .LBB38_132
; %bb.112:
	v_cmp_gt_i16_e32 vcc_lo, 8, v4
	s_cbranch_vccnz .LBB38_122
; %bb.113:
	v_cmp_gt_i16_e32 vcc_lo, 9, v4
	s_cbranch_vccnz .LBB38_119
; %bb.114:
	v_cmp_lt_i16_e32 vcc_lo, 9, v4
	s_cbranch_vccz .LBB38_116
; %bb.115:
	v_cvt_f64_f32_e32 v[8:9], v0
	v_mov_b32_e32 v10, 0
	s_mov_b32 s1, 0
	s_delay_alu instid0(VALU_DEP_1)
	v_mov_b32_e32 v11, v10
	global_store_b128 v[2:3], v[8:11], off
.LBB38_116:
	s_and_not1_b32 vcc_lo, exec_lo, s1
	s_cbranch_vccnz .LBB38_118
; %bb.117:
	v_mov_b32_e32 v1, 0
	global_store_b64 v[2:3], v[0:1], off
.LBB38_118:
	s_mov_b32 s1, 0
.LBB38_119:
	s_delay_alu instid0(SALU_CYCLE_1)
	s_and_not1_b32 vcc_lo, exec_lo, s1
	s_cbranch_vccnz .LBB38_121
; %bb.120:
	v_cvt_f16_f32_e32 v1, v0
	s_delay_alu instid0(VALU_DEP_1)
	v_and_b32_e32 v1, 0xffff, v1
	global_store_b32 v[2:3], v1, off
.LBB38_121:
	s_mov_b32 s1, 0
.LBB38_122:
	s_delay_alu instid0(SALU_CYCLE_1)
	s_and_not1_b32 vcc_lo, exec_lo, s1
	s_cbranch_vccnz .LBB38_131
; %bb.123:
	v_cmp_gt_i16_e32 vcc_lo, 6, v4
	s_mov_b32 s1, -1
	s_cbranch_vccnz .LBB38_129
; %bb.124:
	v_cmp_lt_i16_e32 vcc_lo, 6, v4
	s_cbranch_vccz .LBB38_126
; %bb.125:
	v_cvt_f64_f32_e32 v[8:9], v0
	s_mov_b32 s1, 0
	global_store_b64 v[2:3], v[8:9], off
.LBB38_126:
	s_and_not1_b32 vcc_lo, exec_lo, s1
	s_cbranch_vccnz .LBB38_128
; %bb.127:
	global_store_b32 v[2:3], v0, off
.LBB38_128:
	s_mov_b32 s1, 0
.LBB38_129:
	s_delay_alu instid0(SALU_CYCLE_1)
	s_and_not1_b32 vcc_lo, exec_lo, s1
	s_cbranch_vccnz .LBB38_131
; %bb.130:
	v_cvt_f16_f32_e32 v1, v0
	global_store_b16 v[2:3], v1, off
.LBB38_131:
	s_mov_b32 s1, 0
.LBB38_132:
	s_delay_alu instid0(SALU_CYCLE_1)
	s_and_not1_b32 vcc_lo, exec_lo, s1
	s_cbranch_vccnz .LBB38_148
; %bb.133:
	v_cmp_gt_i16_e32 vcc_lo, 2, v4
	s_mov_b32 s1, -1
	s_cbranch_vccnz .LBB38_143
; %bb.134:
	v_cmp_gt_i16_e32 vcc_lo, 3, v4
	s_cbranch_vccnz .LBB38_140
; %bb.135:
	v_cmp_lt_i16_e32 vcc_lo, 3, v4
	s_cbranch_vccz .LBB38_137
; %bb.136:
	v_trunc_f32_e32 v1, v0
	s_mov_b32 s1, 0
	s_delay_alu instid0(VALU_DEP_1) | instskip(NEXT) | instid1(VALU_DEP_1)
	v_mul_f32_e64 v5, 0x2f800000, |v1|
	v_floor_f32_e32 v5, v5
	s_delay_alu instid0(VALU_DEP_1) | instskip(SKIP_2) | instid1(VALU_DEP_3)
	v_fma_f32 v8, 0xcf800000, v5, |v1|
	v_ashrrev_i32_e32 v1, 31, v1
	v_cvt_u32_f32_e32 v5, v5
	v_cvt_u32_f32_e32 v8, v8
	s_delay_alu instid0(VALU_DEP_2) | instskip(NEXT) | instid1(VALU_DEP_2)
	v_xor_b32_e32 v5, v5, v1
	v_xor_b32_e32 v8, v8, v1
	s_delay_alu instid0(VALU_DEP_1) | instskip(NEXT) | instid1(VALU_DEP_3)
	v_sub_co_u32 v8, vcc_lo, v8, v1
	v_sub_co_ci_u32_e32 v9, vcc_lo, v5, v1, vcc_lo
	global_store_b64 v[2:3], v[8:9], off
.LBB38_137:
	s_and_not1_b32 vcc_lo, exec_lo, s1
	s_cbranch_vccnz .LBB38_139
; %bb.138:
	v_cvt_i32_f32_e32 v1, v0
	global_store_b32 v[2:3], v1, off
.LBB38_139:
	s_mov_b32 s1, 0
.LBB38_140:
	s_delay_alu instid0(SALU_CYCLE_1)
	s_and_not1_b32 vcc_lo, exec_lo, s1
	s_cbranch_vccnz .LBB38_142
; %bb.141:
	v_cvt_i32_f32_e32 v1, v0
	global_store_b16 v[2:3], v1, off
.LBB38_142:
	s_mov_b32 s1, 0
.LBB38_143:
	s_delay_alu instid0(SALU_CYCLE_1)
	s_and_not1_b32 vcc_lo, exec_lo, s1
	s_cbranch_vccnz .LBB38_148
; %bb.144:
	v_cmp_lt_i16_e32 vcc_lo, 0, v4
	s_mov_b32 s1, -1
	s_cbranch_vccz .LBB38_146
; %bb.145:
	v_cvt_i32_f32_e32 v1, v0
	s_mov_b32 s1, 0
	global_store_b8 v[2:3], v1, off
.LBB38_146:
	s_and_not1_b32 vcc_lo, exec_lo, s1
	s_cbranch_vccnz .LBB38_148
; %bb.147:
	v_trunc_f32_e32 v0, v0
	s_delay_alu instid0(VALU_DEP_1) | instskip(NEXT) | instid1(VALU_DEP_1)
	v_mul_f32_e64 v1, 0x2f800000, |v0|
	v_floor_f32_e32 v1, v1
	s_delay_alu instid0(VALU_DEP_1) | instskip(SKIP_1) | instid1(VALU_DEP_2)
	v_fma_f32 v1, 0xcf800000, v1, |v0|
	v_ashrrev_i32_e32 v0, 31, v0
	v_cvt_u32_f32_e32 v1, v1
	s_delay_alu instid0(VALU_DEP_1) | instskip(NEXT) | instid1(VALU_DEP_1)
	v_xor_b32_e32 v1, v1, v0
	v_sub_nc_u32_e32 v0, v1, v0
	global_store_b8 v[2:3], v0, off
.LBB38_148:
.LBB38_149:
	v_add_nc_u32_e32 v6, 0x80, v6
	s_mov_b32 s1, -1
	s_branch .LBB38_260
.LBB38_150:
	s_mov_b32 s20, -1
                                        ; implicit-def: $vgpr2
.LBB38_151:
	s_mov_b32 s1, 0
.LBB38_152:
	s_delay_alu instid0(SALU_CYCLE_1)
	s_and_b32 vcc_lo, exec_lo, s1
	s_cbranch_vccz .LBB38_156
; %bb.153:
	v_cmp_eq_u16_e32 vcc_lo, 29, v7
	s_cbranch_vccz .LBB38_155
; %bb.154:
	global_load_b64 v[2:3], v[0:1], off
	s_mov_b32 s0, -1
	s_mov_b32 s20, 0
	s_mov_b32 s1, 0
	s_waitcnt vmcnt(0)
	v_clz_i32_u32_e32 v4, v3
	s_delay_alu instid0(VALU_DEP_1) | instskip(NEXT) | instid1(VALU_DEP_1)
	v_min_u32_e32 v4, 32, v4
	v_lshlrev_b64 v[2:3], v4, v[2:3]
	s_delay_alu instid0(VALU_DEP_1) | instskip(NEXT) | instid1(VALU_DEP_1)
	v_min_u32_e32 v2, 1, v2
	v_or_b32_e32 v2, v3, v2
	v_sub_nc_u32_e32 v3, 32, v4
	s_delay_alu instid0(VALU_DEP_2) | instskip(NEXT) | instid1(VALU_DEP_1)
	v_cvt_f32_u32_e32 v2, v2
	v_ldexp_f32 v2, v2, v3
	s_branch .LBB38_157
.LBB38_155:
	s_mov_b32 s20, -1
                                        ; implicit-def: $vgpr2
.LBB38_156:
	s_mov_b32 s1, 0
.LBB38_157:
	s_delay_alu instid0(SALU_CYCLE_1)
	s_and_b32 vcc_lo, exec_lo, s1
	s_cbranch_vccz .LBB38_175
; %bb.158:
	v_cmp_gt_i16_e32 vcc_lo, 27, v7
	s_cbranch_vccnz .LBB38_161
; %bb.159:
	v_cmp_lt_i16_e32 vcc_lo, 27, v7
	s_cbranch_vccz .LBB38_162
; %bb.160:
	global_load_b32 v2, v[0:1], off
	s_mov_b32 s0, 0
	s_waitcnt vmcnt(0)
	v_cvt_f32_u32_e32 v2, v2
	s_branch .LBB38_163
.LBB38_161:
	s_mov_b32 s0, -1
                                        ; implicit-def: $vgpr2
	s_branch .LBB38_166
.LBB38_162:
	s_mov_b32 s0, -1
                                        ; implicit-def: $vgpr2
.LBB38_163:
	s_delay_alu instid0(SALU_CYCLE_1)
	s_and_not1_b32 vcc_lo, exec_lo, s0
	s_cbranch_vccnz .LBB38_165
; %bb.164:
	global_load_u16 v2, v[0:1], off
	s_waitcnt vmcnt(0)
	v_cvt_f32_u32_e32 v2, v2
.LBB38_165:
	s_mov_b32 s0, 0
.LBB38_166:
	s_delay_alu instid0(SALU_CYCLE_1)
	s_and_not1_b32 vcc_lo, exec_lo, s0
	s_cbranch_vccnz .LBB38_174
; %bb.167:
	global_load_u8 v3, v[0:1], off
	s_mov_b32 s0, 0
	s_mov_b32 s19, exec_lo
                                        ; implicit-def: $sgpr1
	s_waitcnt vmcnt(0)
	v_cmpx_lt_i16_e32 0x7f, v3
	s_xor_b32 s19, exec_lo, s19
	s_cbranch_execz .LBB38_187
; %bb.168:
	s_mov_b32 s0, -1
	s_mov_b32 s23, exec_lo
                                        ; implicit-def: $sgpr1
	v_cmpx_eq_u16_e32 0x80, v3
; %bb.169:
	s_mov_b32 s1, 0x7f800001
	s_xor_b32 s0, exec_lo, -1
; %bb.170:
	s_or_b32 exec_lo, exec_lo, s23
	s_delay_alu instid0(SALU_CYCLE_1)
	s_and_b32 s0, s0, exec_lo
	s_or_saveexec_b32 s19, s19
	v_mov_b32_e32 v2, s1
	s_xor_b32 exec_lo, exec_lo, s19
	s_cbranch_execnz .LBB38_188
.LBB38_171:
	s_or_b32 exec_lo, exec_lo, s19
	s_and_saveexec_b32 s1, s0
	s_cbranch_execz .LBB38_173
.LBB38_172:
	v_and_b32_e32 v2, 0xffff, v3
	s_delay_alu instid0(VALU_DEP_1) | instskip(NEXT) | instid1(VALU_DEP_1)
	v_and_b32_e32 v4, 7, v2
	v_clz_i32_u32_e32 v5, v4
	s_delay_alu instid0(VALU_DEP_1) | instskip(NEXT) | instid1(VALU_DEP_1)
	v_min_u32_e32 v5, 32, v5
	v_subrev_nc_u32_e32 v8, 28, v5
	v_sub_nc_u32_e32 v5, 29, v5
	s_delay_alu instid0(VALU_DEP_2) | instskip(SKIP_1) | instid1(VALU_DEP_2)
	v_lshlrev_b32_e32 v8, v8, v2
	v_bfe_u32 v2, v2, 3, 4
	v_and_b32_e32 v8, 7, v8
	s_delay_alu instid0(VALU_DEP_2) | instskip(SKIP_1) | instid1(VALU_DEP_1)
	v_cmp_eq_u32_e32 vcc_lo, 0, v2
	v_dual_cndmask_b32 v2, v2, v5 :: v_dual_lshlrev_b32 v3, 24, v3
	v_dual_cndmask_b32 v4, v4, v8 :: v_dual_and_b32 v3, 0x80000000, v3
	s_delay_alu instid0(VALU_DEP_2) | instskip(NEXT) | instid1(VALU_DEP_2)
	v_lshl_add_u32 v2, v2, 23, 0x3b800000
	v_lshlrev_b32_e32 v4, 20, v4
	s_delay_alu instid0(VALU_DEP_1)
	v_or3_b32 v2, v3, v2, v4
.LBB38_173:
	s_or_b32 exec_lo, exec_lo, s1
.LBB38_174:
	s_mov_b32 s0, -1
.LBB38_175:
	s_branch .LBB38_210
.LBB38_176:
	v_cmp_lt_i16_e32 vcc_lo, 22, v7
	s_cbranch_vccz .LBB38_186
; %bb.177:
	v_cmp_gt_i16_e32 vcc_lo, 24, v7
	s_cbranch_vccnz .LBB38_189
; %bb.178:
	v_cmp_lt_i16_e32 vcc_lo, 24, v7
	s_cbranch_vccz .LBB38_190
; %bb.179:
	global_load_u8 v3, v[0:1], off
	s_mov_b32 s0, 0
	s_mov_b32 s19, exec_lo
                                        ; implicit-def: $sgpr1
	s_waitcnt vmcnt(0)
	v_cmpx_lt_i16_e32 0x7f, v3
	s_xor_b32 s19, exec_lo, s19
	s_cbranch_execz .LBB38_202
; %bb.180:
	s_mov_b32 s0, -1
	s_mov_b32 s23, exec_lo
                                        ; implicit-def: $sgpr1
	v_cmpx_eq_u16_e32 0x80, v3
; %bb.181:
	s_mov_b32 s1, 0x7f800001
	s_xor_b32 s0, exec_lo, -1
; %bb.182:
	s_or_b32 exec_lo, exec_lo, s23
	s_delay_alu instid0(SALU_CYCLE_1)
	s_and_b32 s0, s0, exec_lo
	s_or_saveexec_b32 s19, s19
	v_mov_b32_e32 v2, s1
	s_xor_b32 exec_lo, exec_lo, s19
	s_cbranch_execnz .LBB38_203
.LBB38_183:
	s_or_b32 exec_lo, exec_lo, s19
	s_and_saveexec_b32 s1, s0
	s_cbranch_execz .LBB38_185
.LBB38_184:
	v_and_b32_e32 v2, 0xffff, v3
	s_delay_alu instid0(VALU_DEP_1) | instskip(NEXT) | instid1(VALU_DEP_1)
	v_and_b32_e32 v4, 3, v2
	v_clz_i32_u32_e32 v5, v4
	s_delay_alu instid0(VALU_DEP_1) | instskip(NEXT) | instid1(VALU_DEP_1)
	v_min_u32_e32 v5, 32, v5
	v_subrev_nc_u32_e32 v8, 29, v5
	v_sub_nc_u32_e32 v5, 30, v5
	s_delay_alu instid0(VALU_DEP_2) | instskip(SKIP_1) | instid1(VALU_DEP_2)
	v_lshlrev_b32_e32 v8, v8, v2
	v_bfe_u32 v2, v2, 2, 5
	v_and_b32_e32 v8, 3, v8
	s_delay_alu instid0(VALU_DEP_2) | instskip(SKIP_1) | instid1(VALU_DEP_1)
	v_cmp_eq_u32_e32 vcc_lo, 0, v2
	v_dual_cndmask_b32 v2, v2, v5 :: v_dual_lshlrev_b32 v3, 24, v3
	v_dual_cndmask_b32 v4, v4, v8 :: v_dual_and_b32 v3, 0x80000000, v3
	s_delay_alu instid0(VALU_DEP_2) | instskip(NEXT) | instid1(VALU_DEP_2)
	v_lshl_add_u32 v2, v2, 23, 0x37800000
	v_lshlrev_b32_e32 v4, 21, v4
	s_delay_alu instid0(VALU_DEP_1)
	v_or3_b32 v2, v3, v2, v4
.LBB38_185:
	s_or_b32 exec_lo, exec_lo, s1
	s_mov_b32 s0, 0
	s_branch .LBB38_191
.LBB38_186:
	s_mov_b32 s1, -1
                                        ; implicit-def: $vgpr2
	s_branch .LBB38_197
.LBB38_187:
	s_or_saveexec_b32 s19, s19
	v_mov_b32_e32 v2, s1
	s_xor_b32 exec_lo, exec_lo, s19
	s_cbranch_execz .LBB38_171
.LBB38_188:
	v_cmp_ne_u16_e32 vcc_lo, 0, v3
	v_mov_b32_e32 v2, 0
	s_and_not1_b32 s0, s0, exec_lo
	s_and_b32 s1, vcc_lo, exec_lo
	s_delay_alu instid0(SALU_CYCLE_1)
	s_or_b32 s0, s0, s1
	s_or_b32 exec_lo, exec_lo, s19
	s_and_saveexec_b32 s1, s0
	s_cbranch_execnz .LBB38_172
	s_branch .LBB38_173
.LBB38_189:
	s_mov_b32 s0, -1
                                        ; implicit-def: $vgpr2
	s_branch .LBB38_194
.LBB38_190:
	s_mov_b32 s0, -1
                                        ; implicit-def: $vgpr2
.LBB38_191:
	s_delay_alu instid0(SALU_CYCLE_1)
	s_and_b32 vcc_lo, exec_lo, s0
	s_cbranch_vccz .LBB38_193
; %bb.192:
	global_load_u8 v2, v[0:1], off
	s_waitcnt vmcnt(0)
	v_lshlrev_b32_e32 v2, 24, v2
	s_delay_alu instid0(VALU_DEP_1) | instskip(NEXT) | instid1(VALU_DEP_1)
	v_and_b32_e32 v3, 0x7f000000, v2
	v_clz_i32_u32_e32 v4, v3
	v_add_nc_u32_e32 v8, 0x1000000, v3
	v_cmp_ne_u32_e32 vcc_lo, 0, v3
	s_delay_alu instid0(VALU_DEP_3) | instskip(NEXT) | instid1(VALU_DEP_1)
	v_min_u32_e32 v4, 32, v4
	v_sub_nc_u32_e64 v4, v4, 4 clamp
	s_delay_alu instid0(VALU_DEP_1) | instskip(SKIP_1) | instid1(VALU_DEP_2)
	v_lshlrev_b32_e32 v5, v4, v3
	v_lshlrev_b32_e32 v4, 23, v4
	v_lshrrev_b32_e32 v5, 4, v5
	s_delay_alu instid0(VALU_DEP_1) | instskip(SKIP_1) | instid1(VALU_DEP_2)
	v_sub_nc_u32_e32 v4, v5, v4
	v_ashrrev_i32_e32 v5, 8, v8
	v_add_nc_u32_e32 v4, 0x3c000000, v4
	s_delay_alu instid0(VALU_DEP_1) | instskip(NEXT) | instid1(VALU_DEP_1)
	v_and_or_b32 v4, 0x7f800000, v5, v4
	v_cndmask_b32_e32 v3, 0, v4, vcc_lo
	s_delay_alu instid0(VALU_DEP_1)
	v_and_or_b32 v2, 0x80000000, v2, v3
.LBB38_193:
	s_mov_b32 s0, 0
.LBB38_194:
	s_delay_alu instid0(SALU_CYCLE_1)
	s_and_not1_b32 vcc_lo, exec_lo, s0
	s_cbranch_vccnz .LBB38_196
; %bb.195:
	global_load_u8 v2, v[0:1], off
	s_waitcnt vmcnt(0)
	v_lshlrev_b32_e32 v3, 25, v2
	v_lshlrev_b16 v2, 8, v2
	s_delay_alu instid0(VALU_DEP_2) | instskip(NEXT) | instid1(VALU_DEP_2)
	v_lshrrev_b32_e32 v4, 4, v3
	v_and_or_b32 v5, 0x7f00, v2, 0.5
	v_bfe_i32 v2, v2, 0, 16
	s_delay_alu instid0(VALU_DEP_3) | instskip(NEXT) | instid1(VALU_DEP_1)
	v_or_b32_e32 v4, 0x70000000, v4
	v_dual_add_f32 v5, -0.5, v5 :: v_dual_mul_f32 v4, 0x7800000, v4
	v_cmp_gt_u32_e32 vcc_lo, 0x8000000, v3
	s_delay_alu instid0(VALU_DEP_2) | instskip(NEXT) | instid1(VALU_DEP_1)
	v_cndmask_b32_e32 v3, v4, v5, vcc_lo
	v_and_or_b32 v2, 0x80000000, v2, v3
.LBB38_196:
	s_mov_b32 s1, 0
	s_mov_b32 s0, -1
.LBB38_197:
	s_and_not1_b32 vcc_lo, exec_lo, s1
	s_cbranch_vccnz .LBB38_210
; %bb.198:
	v_cmp_lt_i16_e32 vcc_lo, 14, v7
	s_cbranch_vccz .LBB38_201
; %bb.199:
	v_cmp_eq_u16_e32 vcc_lo, 15, v7
	s_cbranch_vccz .LBB38_204
; %bb.200:
	global_load_u16 v2, v[0:1], off
	s_mov_b32 s0, -1
	s_mov_b32 s20, 0
	s_waitcnt vmcnt(0)
	v_lshlrev_b32_e32 v2, 16, v2
	s_branch .LBB38_205
.LBB38_201:
	s_mov_b32 s1, -1
                                        ; implicit-def: $vgpr2
	s_branch .LBB38_206
.LBB38_202:
	s_or_saveexec_b32 s19, s19
	v_mov_b32_e32 v2, s1
	s_xor_b32 exec_lo, exec_lo, s19
	s_cbranch_execz .LBB38_183
.LBB38_203:
	v_cmp_ne_u16_e32 vcc_lo, 0, v3
	v_mov_b32_e32 v2, 0
	s_and_not1_b32 s0, s0, exec_lo
	s_and_b32 s1, vcc_lo, exec_lo
	s_delay_alu instid0(SALU_CYCLE_1)
	s_or_b32 s0, s0, s1
	s_or_b32 exec_lo, exec_lo, s19
	s_and_saveexec_b32 s1, s0
	s_cbranch_execnz .LBB38_184
	s_branch .LBB38_185
.LBB38_204:
	s_mov_b32 s20, -1
                                        ; implicit-def: $vgpr2
.LBB38_205:
	s_mov_b32 s1, 0
.LBB38_206:
	s_delay_alu instid0(SALU_CYCLE_1)
	s_and_b32 vcc_lo, exec_lo, s1
	s_cbranch_vccz .LBB38_210
; %bb.207:
	v_cmp_eq_u16_e32 vcc_lo, 11, v7
	s_cbranch_vccz .LBB38_209
; %bb.208:
	global_load_u8 v2, v[0:1], off
	s_mov_b32 s20, 0
	s_mov_b32 s0, -1
	s_waitcnt vmcnt(0)
	v_cmp_ne_u16_e32 vcc_lo, 0, v2
	v_cndmask_b32_e64 v2, 0, 1.0, vcc_lo
	s_branch .LBB38_210
.LBB38_209:
	s_mov_b32 s20, -1
                                        ; implicit-def: $vgpr2
.LBB38_210:
	s_branch .LBB38_10
.LBB38_211:
	v_cmp_gt_i16_e32 vcc_lo, 5, v7
	s_cbranch_vccnz .LBB38_216
; %bb.212:
	v_cmp_gt_i16_e32 vcc_lo, 8, v7
	s_cbranch_vccnz .LBB38_217
; %bb.213:
	;; [unrolled: 3-line block ×3, first 2 shown]
	v_cmp_lt_i16_e32 vcc_lo, 9, v7
	s_cbranch_vccz .LBB38_219
; %bb.215:
	global_load_b64 v[2:3], v[0:1], off
	s_mov_b32 s0, 0
	s_waitcnt vmcnt(0)
	v_cvt_f32_f64_e32 v2, v[2:3]
	s_branch .LBB38_220
.LBB38_216:
                                        ; implicit-def: $vgpr2
	s_branch .LBB38_238
.LBB38_217:
	s_mov_b32 s0, -1
                                        ; implicit-def: $vgpr2
	s_branch .LBB38_226
.LBB38_218:
	s_mov_b32 s0, -1
                                        ; implicit-def: $vgpr2
	s_branch .LBB38_223
.LBB38_219:
	s_mov_b32 s0, -1
                                        ; implicit-def: $vgpr2
.LBB38_220:
	s_delay_alu instid0(SALU_CYCLE_1)
	s_and_not1_b32 vcc_lo, exec_lo, s0
	s_cbranch_vccnz .LBB38_222
; %bb.221:
	global_load_b32 v2, v[0:1], off
.LBB38_222:
	s_mov_b32 s0, 0
.LBB38_223:
	s_delay_alu instid0(SALU_CYCLE_1)
	s_and_not1_b32 vcc_lo, exec_lo, s0
	s_cbranch_vccnz .LBB38_225
; %bb.224:
	global_load_b32 v2, v[0:1], off
	s_waitcnt vmcnt(0)
	v_cvt_f32_f16_e32 v2, v2
.LBB38_225:
	s_mov_b32 s0, 0
.LBB38_226:
	s_delay_alu instid0(SALU_CYCLE_1)
	s_and_not1_b32 vcc_lo, exec_lo, s0
	s_cbranch_vccnz .LBB38_237
; %bb.227:
	v_cmp_gt_i16_e32 vcc_lo, 6, v7
	s_cbranch_vccnz .LBB38_230
; %bb.228:
	v_cmp_lt_i16_e32 vcc_lo, 6, v7
	s_cbranch_vccz .LBB38_231
; %bb.229:
	global_load_b64 v[2:3], v[0:1], off
	s_mov_b32 s0, 0
	s_waitcnt vmcnt(0)
	v_cvt_f32_f64_e32 v2, v[2:3]
	s_branch .LBB38_232
.LBB38_230:
	s_mov_b32 s0, -1
                                        ; implicit-def: $vgpr2
	s_branch .LBB38_235
.LBB38_231:
	s_mov_b32 s0, -1
                                        ; implicit-def: $vgpr2
.LBB38_232:
	s_delay_alu instid0(SALU_CYCLE_1)
	s_and_not1_b32 vcc_lo, exec_lo, s0
	s_cbranch_vccnz .LBB38_234
; %bb.233:
	global_load_b32 v2, v[0:1], off
.LBB38_234:
	s_mov_b32 s0, 0
.LBB38_235:
	s_delay_alu instid0(SALU_CYCLE_1)
	s_and_not1_b32 vcc_lo, exec_lo, s0
	s_cbranch_vccnz .LBB38_237
; %bb.236:
	global_load_u16 v2, v[0:1], off
	s_waitcnt vmcnt(0)
	v_cvt_f32_f16_e32 v2, v2
.LBB38_237:
	s_cbranch_execnz .LBB38_257
.LBB38_238:
	v_cmp_gt_i16_e32 vcc_lo, 2, v7
	s_cbranch_vccnz .LBB38_242
; %bb.239:
	v_cmp_gt_i16_e32 vcc_lo, 3, v7
	s_cbranch_vccnz .LBB38_243
; %bb.240:
	v_cmp_lt_i16_e32 vcc_lo, 3, v7
	s_cbranch_vccz .LBB38_244
; %bb.241:
	global_load_b64 v[2:3], v[0:1], off
	s_mov_b32 s0, 0
	s_waitcnt vmcnt(0)
	v_xor_b32_e32 v4, v2, v3
	v_cls_i32_e32 v5, v3
	s_delay_alu instid0(VALU_DEP_2) | instskip(NEXT) | instid1(VALU_DEP_2)
	v_ashrrev_i32_e32 v4, 31, v4
	v_add_nc_u32_e32 v5, -1, v5
	s_delay_alu instid0(VALU_DEP_2) | instskip(NEXT) | instid1(VALU_DEP_1)
	v_add_nc_u32_e32 v4, 32, v4
	v_min_u32_e32 v4, v5, v4
	s_delay_alu instid0(VALU_DEP_1) | instskip(NEXT) | instid1(VALU_DEP_1)
	v_lshlrev_b64 v[2:3], v4, v[2:3]
	v_min_u32_e32 v2, 1, v2
	s_delay_alu instid0(VALU_DEP_1) | instskip(SKIP_1) | instid1(VALU_DEP_2)
	v_or_b32_e32 v2, v3, v2
	v_sub_nc_u32_e32 v3, 32, v4
	v_cvt_f32_i32_e32 v2, v2
	s_delay_alu instid0(VALU_DEP_1)
	v_ldexp_f32 v2, v2, v3
	s_branch .LBB38_245
.LBB38_242:
	s_mov_b32 s0, -1
                                        ; implicit-def: $vgpr2
	s_branch .LBB38_251
.LBB38_243:
	s_mov_b32 s0, -1
                                        ; implicit-def: $vgpr2
	s_branch .LBB38_248
.LBB38_244:
	s_mov_b32 s0, -1
                                        ; implicit-def: $vgpr2
.LBB38_245:
	s_delay_alu instid0(SALU_CYCLE_1)
	s_and_not1_b32 vcc_lo, exec_lo, s0
	s_cbranch_vccnz .LBB38_247
; %bb.246:
	global_load_b32 v2, v[0:1], off
	s_waitcnt vmcnt(0)
	v_cvt_f32_i32_e32 v2, v2
.LBB38_247:
	s_mov_b32 s0, 0
.LBB38_248:
	s_delay_alu instid0(SALU_CYCLE_1)
	s_and_not1_b32 vcc_lo, exec_lo, s0
	s_cbranch_vccnz .LBB38_250
; %bb.249:
	global_load_i16 v2, v[0:1], off
	s_waitcnt vmcnt(0)
	v_cvt_f32_i32_e32 v2, v2
.LBB38_250:
	s_mov_b32 s0, 0
.LBB38_251:
	s_delay_alu instid0(SALU_CYCLE_1)
	s_and_not1_b32 vcc_lo, exec_lo, s0
	s_cbranch_vccnz .LBB38_257
; %bb.252:
	v_cmp_lt_i16_e32 vcc_lo, 0, v7
	s_mov_b32 s0, 0
	s_cbranch_vccz .LBB38_254
; %bb.253:
	global_load_i8 v2, v[0:1], off
	s_waitcnt vmcnt(0)
	v_cvt_f32_i32_e32 v2, v2
	s_branch .LBB38_255
.LBB38_254:
	s_mov_b32 s0, -1
                                        ; implicit-def: $vgpr2
.LBB38_255:
	s_delay_alu instid0(SALU_CYCLE_1)
	s_and_not1_b32 vcc_lo, exec_lo, s0
	s_cbranch_vccnz .LBB38_257
; %bb.256:
	global_load_u8 v0, v[0:1], off
	s_waitcnt vmcnt(0)
	v_cvt_f32_ubyte0_e32 v2, v0
.LBB38_257:
	s_branch .LBB38_11
.LBB38_258:
	s_mov_b32 s0, 0
.LBB38_259:
	s_mov_b32 s1, 0
                                        ; implicit-def: $vgpr6
.LBB38_260:
	s_and_b32 s19, s0, exec_lo
	s_and_b32 s20, s20, exec_lo
	s_or_not1_b32 s1, s1, exec_lo
.LBB38_261:
	s_or_b32 exec_lo, exec_lo, s21
	s_mov_b32 s23, 0
	s_mov_b32 s0, 0
                                        ; implicit-def: $vgpr0_vgpr1
                                        ; implicit-def: $vgpr5
	s_and_saveexec_b32 s21, s1
	s_cbranch_execz .LBB38_889
; %bb.262:
	s_mov_b32 s26, -1
	s_mov_b32 s22, s20
	s_mov_b32 s23, s19
	s_mov_b32 s24, exec_lo
	v_cmpx_gt_i32_e64 s18, v6
	s_cbranch_execz .LBB38_531
; %bb.263:
	v_mul_lo_u32 v0, v6, s3
	v_cmp_gt_i16_e32 vcc_lo, 11, v7
	s_delay_alu instid0(VALU_DEP_2) | instskip(SKIP_1) | instid1(VALU_DEP_1)
	v_ashrrev_i32_e32 v1, 31, v0
	v_add_co_u32 v0, s0, s6, v0
	v_add_co_ci_u32_e64 v1, s0, s7, v1, s0
	s_cbranch_vccnz .LBB38_270
; %bb.264:
	v_cmp_lt_i16_e32 vcc_lo, 25, v7
	s_cbranch_vccz .LBB38_279
; %bb.265:
	v_cmp_lt_i16_e32 vcc_lo, 28, v7
	s_cbranch_vccz .LBB38_280
	;; [unrolled: 3-line block ×4, first 2 shown]
; %bb.268:
	v_cmp_eq_u16_e32 vcc_lo, 46, v7
	s_mov_b32 s1, 0
	s_cbranch_vccz .LBB38_301
; %bb.269:
	global_load_b32 v2, v[0:1], off
	s_mov_b32 s0, -1
	s_mov_b32 s22, 0
	s_waitcnt vmcnt(0)
	v_lshlrev_b32_e32 v2, 16, v2
	s_branch .LBB38_303
.LBB38_270:
	s_mov_b32 s0, 0
	s_mov_b32 s22, s20
                                        ; implicit-def: $vgpr2
	s_cbranch_execnz .LBB38_480
.LBB38_271:
	s_and_not1_b32 vcc_lo, exec_lo, s0
	s_cbranch_vccnz .LBB38_528
.LBB38_272:
	v_mov_b32_e32 v0, 0
	s_and_not1_b32 vcc_lo, exec_lo, s17
	s_cbranch_vccnz .LBB38_285
; %bb.273:
	v_cmp_lt_i64_e64 s0, s[12:13], 1
	v_mov_b32_e32 v0, 1.0
	s_delay_alu instid0(VALU_DEP_2)
	s_and_b32 vcc_lo, exec_lo, s0
	s_cbranch_vccnz .LBB38_285
; %bb.274:
	s_cmp_lg_u64 s[12:13], 1
	s_cbranch_scc0 .LBB38_282
; %bb.275:
	v_mov_b32_e32 v0, 0x7fc00000
	s_and_not1_b32 vcc_lo, exec_lo, s16
	s_cbranch_vccnz .LBB38_278
; %bb.276:
	s_waitcnt vmcnt(0)
	v_add_f32_e32 v1, v2, v2
	v_mov_b32_e32 v3, 1.0
	s_mov_b64 s[0:1], 2
	s_delay_alu instid0(VALU_DEP_2)
	v_mov_b32_e32 v0, v1
.LBB38_277:                             ; =>This Inner Loop Header: Depth=1
	s_clz_i32_u32 s23, s1
	s_delay_alu instid0(SALU_CYCLE_1) | instskip(NEXT) | instid1(SALU_CYCLE_1)
	s_min_u32 s23, s23, 32
	s_lshl_b64 s[26:27], s[0:1], s23
	s_sub_i32 s23, 32, s23
	s_min_u32 s25, s26, 1
	s_delay_alu instid0(SALU_CYCLE_1) | instskip(SKIP_3) | instid1(VALU_DEP_1)
	s_or_b32 s25, s27, s25
	s_add_u32 s0, s0, 2
	v_cvt_f32_u32_e32 v4, s25
	s_addc_u32 s1, s1, 0
	v_ldexp_f32 v4, v4, s23
	v_cmp_lt_u64_e64 s23, s[0:1], s[10:11]
	s_delay_alu instid0(VALU_DEP_2) | instskip(NEXT) | instid1(VALU_DEP_2)
	v_dual_mul_f32 v4, v3, v4 :: v_dual_mov_b32 v3, v0
	s_and_b32 vcc_lo, exec_lo, s23
	s_delay_alu instid0(VALU_DEP_1)
	v_fma_f32 v0, v1, v0, -v4
	s_cbranch_vccnz .LBB38_277
.LBB38_278:
	s_mov_b32 s0, 0
	s_branch .LBB38_283
.LBB38_279:
	s_mov_b32 s1, -1
	s_mov_b32 s0, 0
	s_mov_b32 s22, s20
                                        ; implicit-def: $vgpr2
	s_branch .LBB38_444
.LBB38_280:
	s_mov_b32 s1, -1
	s_mov_b32 s0, 0
	s_mov_b32 s22, s20
                                        ; implicit-def: $vgpr2
	s_branch .LBB38_425
.LBB38_281:
	s_mov_b32 s1, -1
	s_mov_b32 s0, 0
	s_mov_b32 s22, s20
                                        ; implicit-def: $vgpr2
	s_branch .LBB38_420
.LBB38_282:
	s_mov_b32 s0, -1
                                        ; implicit-def: $vgpr0
.LBB38_283:
	s_delay_alu instid0(SALU_CYCLE_1)
	s_and_not1_b32 vcc_lo, exec_lo, s0
	s_cbranch_vccnz .LBB38_285
; %bb.284:
	s_waitcnt vmcnt(0)
	s_delay_alu instid0(VALU_DEP_4)
	v_add_f32_e32 v0, v2, v2
.LBB38_285:
	v_mul_lo_u32 v1, v6, s2
	v_and_b32_e64 v4, 0xff, s9
	s_delay_alu instid0(VALU_DEP_1) | instskip(NEXT) | instid1(VALU_DEP_3)
	v_cmp_gt_i16_e32 vcc_lo, 11, v4
	v_ashrrev_i32_e32 v3, 31, v1
	s_waitcnt vmcnt(0)
	v_add_co_u32 v2, s0, s4, v1
	s_delay_alu instid0(VALU_DEP_1)
	v_add_co_ci_u32_e64 v3, s0, s5, v3, s0
	s_cbranch_vccnz .LBB38_292
; %bb.286:
	v_cmp_lt_i16_e32 vcc_lo, 25, v4
	s_cbranch_vccz .LBB38_293
; %bb.287:
	v_cmp_lt_i16_e32 vcc_lo, 28, v4
	s_cbranch_vccz .LBB38_294
	;; [unrolled: 3-line block ×4, first 2 shown]
; %bb.290:
	v_cmp_eq_u16_e32 vcc_lo, 46, v4
	s_mov_b32 s23, 0
	s_mov_b32 s0, -1
	s_mov_b32 s1, 0
	s_cbranch_vccz .LBB38_307
; %bb.291:
	v_bfe_u32 v1, v0, 16, 1
	v_cmp_o_f32_e32 vcc_lo, v0, v0
	s_mov_b32 s1, -1
	s_mov_b32 s0, 0
	s_delay_alu instid0(VALU_DEP_2) | instskip(NEXT) | instid1(VALU_DEP_1)
	v_add3_u32 v1, v0, v1, 0x7fff
	v_lshrrev_b32_e32 v1, 16, v1
	s_delay_alu instid0(VALU_DEP_1)
	v_cndmask_b32_e32 v1, 0x7fc0, v1, vcc_lo
	global_store_b32 v[2:3], v1, off
	s_branch .LBB38_307
.LBB38_292:
	s_mov_b32 s23, -1
	s_mov_b32 s1, 0
	s_mov_b32 s0, s19
	s_branch .LBB38_376
.LBB38_293:
	s_mov_b32 s23, -1
	s_mov_b32 s1, 0
	s_mov_b32 s0, s19
	s_branch .LBB38_334
.LBB38_294:
	s_mov_b32 s23, -1
	s_mov_b32 s1, 0
	s_mov_b32 s0, s19
	s_branch .LBB38_317
.LBB38_295:
	s_or_saveexec_b32 s23, s23
                                        ; implicit-def: $sgpr24
	s_delay_alu instid0(SALU_CYCLE_1)
	s_xor_b32 exec_lo, exec_lo, s23
	s_cbranch_execz .LBB38_63
.LBB38_296:
	v_add_f32_e64 v1, 0x46000000, |v0|
	s_and_not1_b32 s19, s19, exec_lo
	s_mov_b32 s24, 0
	s_delay_alu instid0(VALU_DEP_1) | instskip(NEXT) | instid1(VALU_DEP_1)
	v_and_b32_e32 v1, 0xff, v1
	v_cmp_ne_u32_e32 vcc_lo, 0, v1
	s_and_b32 s25, vcc_lo, exec_lo
	s_delay_alu instid0(SALU_CYCLE_1)
	s_or_b32 s19, s19, s25
	s_or_b32 exec_lo, exec_lo, s23
	v_mov_b32_e32 v5, s24
	s_and_saveexec_b32 s23, s19
	s_cbranch_execnz .LBB38_64
	s_branch .LBB38_65
.LBB38_297:
	s_mov_b32 s1, -1
	s_mov_b32 s0, 0
	s_mov_b32 s22, s20
	s_branch .LBB38_302
.LBB38_298:
	s_mov_b32 s23, -1
	s_mov_b32 s1, 0
	s_mov_b32 s0, s19
	s_branch .LBB38_313
.LBB38_299:
	s_or_saveexec_b32 s23, s23
                                        ; implicit-def: $sgpr24
	s_delay_alu instid0(SALU_CYCLE_1)
	s_xor_b32 exec_lo, exec_lo, s23
	s_cbranch_execz .LBB38_76
.LBB38_300:
	v_add_f32_e64 v1, 0x42800000, |v0|
	s_and_not1_b32 s19, s19, exec_lo
	s_mov_b32 s24, 0
	s_delay_alu instid0(VALU_DEP_1) | instskip(NEXT) | instid1(VALU_DEP_1)
	v_and_b32_e32 v1, 0xff, v1
	v_cmp_ne_u32_e32 vcc_lo, 0, v1
	s_and_b32 s25, vcc_lo, exec_lo
	s_delay_alu instid0(SALU_CYCLE_1)
	s_or_b32 s19, s19, s25
	s_or_b32 exec_lo, exec_lo, s23
	v_mov_b32_e32 v5, s24
	s_and_saveexec_b32 s23, s19
	s_cbranch_execnz .LBB38_77
	s_branch .LBB38_78
.LBB38_301:
	s_mov_b32 s22, -1
	s_mov_b32 s0, 0
.LBB38_302:
                                        ; implicit-def: $vgpr2
.LBB38_303:
	s_and_b32 vcc_lo, exec_lo, s1
	s_cbranch_vccz .LBB38_419
; %bb.304:
	v_cmp_eq_u16_e32 vcc_lo, 44, v7
	s_cbranch_vccz .LBB38_418
; %bb.305:
	global_load_u8 v2, v[0:1], off
	s_mov_b32 s22, 0
	s_mov_b32 s0, -1
	s_waitcnt vmcnt(0)
	v_lshlrev_b32_e32 v3, 23, v2
	v_cmp_ne_u32_e32 vcc_lo, 0xff, v2
	s_delay_alu instid0(VALU_DEP_2) | instskip(SKIP_1) | instid1(VALU_DEP_2)
	v_cndmask_b32_e32 v3, 0x7f800001, v3, vcc_lo
	v_cmp_ne_u32_e32 vcc_lo, 0, v2
	v_cndmask_b32_e32 v2, 0x400000, v3, vcc_lo
	s_branch .LBB38_419
.LBB38_306:
	s_mov_b32 s23, -1
	s_mov_b32 s1, 0
	s_mov_b32 s0, s19
.LBB38_307:
	s_and_b32 vcc_lo, exec_lo, s23
	s_cbranch_vccz .LBB38_312
; %bb.308:
	v_cmp_eq_u16_e32 vcc_lo, 44, v4
	s_mov_b32 s0, -1
	s_cbranch_vccz .LBB38_312
; %bb.309:
	v_bfe_u32 v5, v0, 23, 8
	v_mov_b32_e32 v1, 0xff
	s_mov_b32 s1, exec_lo
	s_delay_alu instid0(VALU_DEP_2)
	v_cmpx_ne_u32_e32 0xff, v5
; %bb.310:
	v_and_b32_e32 v1, 0x400000, v0
	v_and_or_b32 v5, 0x3fffff, v0, v5
	s_delay_alu instid0(VALU_DEP_2) | instskip(NEXT) | instid1(VALU_DEP_2)
	v_cmp_ne_u32_e32 vcc_lo, 0, v1
	v_cmp_ne_u32_e64 s0, 0, v5
	v_lshrrev_b32_e32 v1, 23, v0
	s_delay_alu instid0(VALU_DEP_2) | instskip(NEXT) | instid1(SALU_CYCLE_1)
	s_and_b32 s0, vcc_lo, s0
	v_cndmask_b32_e64 v5, 0, 1, s0
	s_delay_alu instid0(VALU_DEP_1)
	v_add_nc_u32_e32 v1, v1, v5
; %bb.311:
	s_or_b32 exec_lo, exec_lo, s1
	s_mov_b32 s1, -1
	s_mov_b32 s0, 0
	global_store_b8 v[2:3], v1, off
.LBB38_312:
	s_mov_b32 s23, 0
.LBB38_313:
	s_delay_alu instid0(SALU_CYCLE_1)
	s_and_b32 vcc_lo, exec_lo, s23
	s_cbranch_vccz .LBB38_316
; %bb.314:
	v_cmp_eq_u16_e32 vcc_lo, 29, v4
	s_mov_b32 s0, -1
	s_cbranch_vccz .LBB38_316
; %bb.315:
	v_trunc_f32_e32 v1, v0
	s_mov_b32 s1, -1
	s_mov_b32 s0, 0
	s_mov_b32 s23, 0
	s_delay_alu instid0(VALU_DEP_1) | instskip(NEXT) | instid1(VALU_DEP_1)
	v_mul_f32_e32 v5, 0x2f800000, v1
	v_floor_f32_e32 v5, v5
	s_delay_alu instid0(VALU_DEP_1) | instskip(SKIP_1) | instid1(VALU_DEP_2)
	v_fmamk_f32 v1, v5, 0xcf800000, v1
	v_cvt_u32_f32_e32 v9, v5
	v_cvt_u32_f32_e32 v8, v1
	global_store_b64 v[2:3], v[8:9], off
	s_branch .LBB38_317
.LBB38_316:
	s_mov_b32 s23, 0
.LBB38_317:
	s_delay_alu instid0(SALU_CYCLE_1)
	s_and_b32 vcc_lo, exec_lo, s23
	s_cbranch_vccz .LBB38_333
; %bb.318:
	v_cmp_gt_i16_e32 vcc_lo, 27, v4
	s_mov_b32 s1, -1
	s_cbranch_vccnz .LBB38_324
; %bb.319:
	v_cmp_lt_i16_e32 vcc_lo, 27, v4
	s_cbranch_vccz .LBB38_321
; %bb.320:
	v_cvt_u32_f32_e32 v1, v0
	s_mov_b32 s1, 0
	global_store_b32 v[2:3], v1, off
.LBB38_321:
	s_and_not1_b32 vcc_lo, exec_lo, s1
	s_cbranch_vccnz .LBB38_323
; %bb.322:
	v_cvt_u32_f32_e32 v1, v0
	global_store_b16 v[2:3], v1, off
.LBB38_323:
	s_mov_b32 s1, 0
.LBB38_324:
	s_delay_alu instid0(SALU_CYCLE_1)
	s_and_not1_b32 vcc_lo, exec_lo, s1
	s_cbranch_vccnz .LBB38_332
; %bb.325:
	v_and_b32_e32 v1, 0x7fffffff, v0
	v_mov_b32_e32 v5, 0x80
	s_mov_b32 s1, exec_lo
	s_delay_alu instid0(VALU_DEP_2)
	v_cmpx_gt_u32_e32 0x43800000, v1
	s_cbranch_execz .LBB38_331
; %bb.326:
	v_cmp_lt_u32_e32 vcc_lo, 0x3bffffff, v1
	s_mov_b32 s23, 0
                                        ; implicit-def: $vgpr1
	s_and_saveexec_b32 s25, vcc_lo
	s_delay_alu instid0(SALU_CYCLE_1)
	s_xor_b32 s25, exec_lo, s25
	s_cbranch_execz .LBB38_544
; %bb.327:
	v_bfe_u32 v1, v0, 20, 1
	s_mov_b32 s23, exec_lo
	s_delay_alu instid0(VALU_DEP_1) | instskip(NEXT) | instid1(VALU_DEP_1)
	v_add3_u32 v1, v0, v1, 0x487ffff
	v_lshrrev_b32_e32 v1, 20, v1
	s_or_saveexec_b32 s25, s25
                                        ; implicit-def: $sgpr26
	s_delay_alu instid0(SALU_CYCLE_1)
	s_xor_b32 exec_lo, exec_lo, s25
	s_cbranch_execnz .LBB38_545
.LBB38_328:
	s_or_b32 exec_lo, exec_lo, s25
	v_mov_b32_e32 v5, s26
	s_and_saveexec_b32 s25, s23
.LBB38_329:
	v_lshrrev_b32_e32 v5, 24, v0
	s_delay_alu instid0(VALU_DEP_1)
	v_and_or_b32 v5, 0x80, v5, v1
.LBB38_330:
	s_or_b32 exec_lo, exec_lo, s25
.LBB38_331:
	s_delay_alu instid0(SALU_CYCLE_1)
	s_or_b32 exec_lo, exec_lo, s1
	global_store_b8 v[2:3], v5, off
.LBB38_332:
	s_mov_b32 s1, -1
.LBB38_333:
	s_mov_b32 s23, 0
.LBB38_334:
	s_delay_alu instid0(SALU_CYCLE_1)
	s_and_b32 vcc_lo, exec_lo, s23
	s_cbranch_vccz .LBB38_375
; %bb.335:
	v_cmp_lt_i16_e32 vcc_lo, 22, v4
	s_mov_b32 s23, -1
	s_cbranch_vccz .LBB38_367
; %bb.336:
	v_cmp_gt_i16_e32 vcc_lo, 24, v4
	s_mov_b32 s1, -1
	s_cbranch_vccnz .LBB38_356
; %bb.337:
	v_cmp_lt_i16_e32 vcc_lo, 24, v4
	s_cbranch_vccz .LBB38_345
; %bb.338:
	v_and_b32_e32 v1, 0x7fffffff, v0
	v_mov_b32_e32 v5, 0x80
	s_mov_b32 s1, exec_lo
	s_delay_alu instid0(VALU_DEP_2)
	v_cmpx_gt_u32_e32 0x47800000, v1
	s_cbranch_execz .LBB38_344
; %bb.339:
	v_cmp_lt_u32_e32 vcc_lo, 0x37ffffff, v1
	s_mov_b32 s23, 0
                                        ; implicit-def: $vgpr1
	s_and_saveexec_b32 s25, vcc_lo
	s_delay_alu instid0(SALU_CYCLE_1)
	s_xor_b32 s25, exec_lo, s25
	s_cbranch_execz .LBB38_547
; %bb.340:
	v_bfe_u32 v1, v0, 21, 1
	s_mov_b32 s23, exec_lo
	s_delay_alu instid0(VALU_DEP_1) | instskip(NEXT) | instid1(VALU_DEP_1)
	v_add3_u32 v1, v0, v1, 0x88fffff
	v_lshrrev_b32_e32 v1, 21, v1
	s_or_saveexec_b32 s25, s25
                                        ; implicit-def: $sgpr26
	s_delay_alu instid0(SALU_CYCLE_1)
	s_xor_b32 exec_lo, exec_lo, s25
	s_cbranch_execnz .LBB38_548
.LBB38_341:
	s_or_b32 exec_lo, exec_lo, s25
	v_mov_b32_e32 v5, s26
	s_and_saveexec_b32 s25, s23
.LBB38_342:
	v_lshrrev_b32_e32 v5, 24, v0
	s_delay_alu instid0(VALU_DEP_1)
	v_and_or_b32 v5, 0x80, v5, v1
.LBB38_343:
	s_or_b32 exec_lo, exec_lo, s25
.LBB38_344:
	s_delay_alu instid0(SALU_CYCLE_1)
	s_or_b32 exec_lo, exec_lo, s1
	s_mov_b32 s1, 0
	global_store_b8 v[2:3], v5, off
.LBB38_345:
	s_and_b32 vcc_lo, exec_lo, s1
	s_cbranch_vccz .LBB38_355
; %bb.346:
	v_and_b32_e32 v5, 0x7fffffff, v0
	s_mov_b32 s1, exec_lo
                                        ; implicit-def: $vgpr1
	s_delay_alu instid0(VALU_DEP_1)
	v_cmpx_gt_u32_e32 0x43f00000, v5
	s_xor_b32 s1, exec_lo, s1
	s_cbranch_execz .LBB38_352
; %bb.347:
	s_mov_b32 s23, exec_lo
                                        ; implicit-def: $vgpr1
	v_cmpx_lt_u32_e32 0x3c7fffff, v5
	s_xor_b32 s23, exec_lo, s23
; %bb.348:
	v_bfe_u32 v1, v0, 20, 1
	s_delay_alu instid0(VALU_DEP_1) | instskip(NEXT) | instid1(VALU_DEP_1)
	v_add3_u32 v1, v0, v1, 0x407ffff
	v_and_b32_e32 v5, 0xff00000, v1
	v_lshrrev_b32_e32 v1, 20, v1
	s_delay_alu instid0(VALU_DEP_2) | instskip(NEXT) | instid1(VALU_DEP_2)
	v_cmp_ne_u32_e32 vcc_lo, 0x7f00000, v5
	v_cndmask_b32_e32 v1, 0x7e, v1, vcc_lo
; %bb.349:
	s_and_not1_saveexec_b32 s23, s23
; %bb.350:
	v_add_f32_e64 v1, 0x46800000, |v0|
; %bb.351:
	s_or_b32 exec_lo, exec_lo, s23
                                        ; implicit-def: $vgpr5
.LBB38_352:
	s_and_not1_saveexec_b32 s1, s1
; %bb.353:
	v_mov_b32_e32 v1, 0x7f
	v_cmp_lt_u32_e32 vcc_lo, 0x7f800000, v5
	s_delay_alu instid0(VALU_DEP_2)
	v_cndmask_b32_e32 v1, 0x7e, v1, vcc_lo
; %bb.354:
	s_or_b32 exec_lo, exec_lo, s1
	v_lshrrev_b32_e32 v5, 24, v0
	s_delay_alu instid0(VALU_DEP_1)
	v_and_or_b32 v1, 0x80, v5, v1
	global_store_b8 v[2:3], v1, off
.LBB38_355:
	s_mov_b32 s1, 0
.LBB38_356:
	s_delay_alu instid0(SALU_CYCLE_1)
	s_and_not1_b32 vcc_lo, exec_lo, s1
	s_cbranch_vccnz .LBB38_366
; %bb.357:
	v_and_b32_e32 v5, 0x7fffffff, v0
	s_mov_b32 s1, exec_lo
                                        ; implicit-def: $vgpr1
	s_delay_alu instid0(VALU_DEP_1)
	v_cmpx_gt_u32_e32 0x47800000, v5
	s_xor_b32 s1, exec_lo, s1
	s_cbranch_execz .LBB38_363
; %bb.358:
	s_mov_b32 s23, exec_lo
                                        ; implicit-def: $vgpr1
	v_cmpx_lt_u32_e32 0x387fffff, v5
	s_xor_b32 s23, exec_lo, s23
; %bb.359:
	v_bfe_u32 v1, v0, 21, 1
	s_delay_alu instid0(VALU_DEP_1) | instskip(NEXT) | instid1(VALU_DEP_1)
	v_add3_u32 v1, v0, v1, 0x80fffff
	v_lshrrev_b32_e32 v1, 21, v1
; %bb.360:
	s_and_not1_saveexec_b32 s23, s23
; %bb.361:
	v_add_f32_e64 v1, 0x43000000, |v0|
; %bb.362:
	s_or_b32 exec_lo, exec_lo, s23
                                        ; implicit-def: $vgpr5
.LBB38_363:
	s_and_not1_saveexec_b32 s1, s1
; %bb.364:
	v_mov_b32_e32 v1, 0x7f
	v_cmp_lt_u32_e32 vcc_lo, 0x7f800000, v5
	s_delay_alu instid0(VALU_DEP_2)
	v_cndmask_b32_e32 v1, 0x7c, v1, vcc_lo
; %bb.365:
	s_or_b32 exec_lo, exec_lo, s1
	v_lshrrev_b32_e32 v5, 24, v0
	s_delay_alu instid0(VALU_DEP_1)
	v_and_or_b32 v1, 0x80, v5, v1
	global_store_b8 v[2:3], v1, off
.LBB38_366:
	s_mov_b32 s23, 0
	s_mov_b32 s1, -1
.LBB38_367:
	s_and_not1_b32 vcc_lo, exec_lo, s23
	s_cbranch_vccnz .LBB38_375
; %bb.368:
	v_cmp_lt_i16_e32 vcc_lo, 14, v4
	s_mov_b32 s23, -1
	s_cbranch_vccz .LBB38_372
; %bb.369:
	v_cmp_eq_u16_e32 vcc_lo, 15, v4
	s_mov_b32 s0, -1
	s_cbranch_vccz .LBB38_371
; %bb.370:
	v_bfe_u32 v1, v0, 16, 1
	v_cmp_o_f32_e32 vcc_lo, v0, v0
	s_mov_b32 s1, -1
	s_mov_b32 s0, 0
	s_delay_alu instid0(VALU_DEP_2) | instskip(NEXT) | instid1(VALU_DEP_1)
	v_add3_u32 v1, v0, v1, 0x7fff
	v_lshrrev_b32_e32 v1, 16, v1
	s_delay_alu instid0(VALU_DEP_1)
	v_cndmask_b32_e32 v1, 0x7fc0, v1, vcc_lo
	global_store_b16 v[2:3], v1, off
.LBB38_371:
	s_mov_b32 s23, 0
.LBB38_372:
	s_delay_alu instid0(SALU_CYCLE_1)
	s_and_b32 vcc_lo, exec_lo, s23
	s_cbranch_vccz .LBB38_375
; %bb.373:
	v_cmp_eq_u16_e32 vcc_lo, 11, v4
	s_mov_b32 s0, -1
	s_cbranch_vccz .LBB38_375
; %bb.374:
	v_cmp_neq_f32_e32 vcc_lo, 0, v0
	s_mov_b32 s0, 0
	s_mov_b32 s1, -1
	v_cndmask_b32_e64 v1, 0, 1, vcc_lo
	global_store_b8 v[2:3], v1, off
.LBB38_375:
	s_mov_b32 s23, 0
.LBB38_376:
	s_delay_alu instid0(SALU_CYCLE_1)
	s_and_b32 vcc_lo, exec_lo, s23
	s_cbranch_vccz .LBB38_415
; %bb.377:
	v_cmp_gt_i16_e32 vcc_lo, 5, v4
	s_mov_b32 s1, -1
	s_cbranch_vccnz .LBB38_398
; %bb.378:
	v_cmp_gt_i16_e32 vcc_lo, 8, v4
	s_cbranch_vccnz .LBB38_388
; %bb.379:
	v_cmp_gt_i16_e32 vcc_lo, 9, v4
	s_cbranch_vccnz .LBB38_385
; %bb.380:
	v_cmp_lt_i16_e32 vcc_lo, 9, v4
	s_cbranch_vccz .LBB38_382
; %bb.381:
	v_cvt_f64_f32_e32 v[8:9], v0
	v_mov_b32_e32 v10, 0
	s_mov_b32 s1, 0
	s_delay_alu instid0(VALU_DEP_1)
	v_mov_b32_e32 v11, v10
	global_store_b128 v[2:3], v[8:11], off
.LBB38_382:
	s_and_not1_b32 vcc_lo, exec_lo, s1
	s_cbranch_vccnz .LBB38_384
; %bb.383:
	v_mov_b32_e32 v1, 0
	global_store_b64 v[2:3], v[0:1], off
.LBB38_384:
	s_mov_b32 s1, 0
.LBB38_385:
	s_delay_alu instid0(SALU_CYCLE_1)
	s_and_not1_b32 vcc_lo, exec_lo, s1
	s_cbranch_vccnz .LBB38_387
; %bb.386:
	v_cvt_f16_f32_e32 v1, v0
	s_delay_alu instid0(VALU_DEP_1)
	v_and_b32_e32 v1, 0xffff, v1
	global_store_b32 v[2:3], v1, off
.LBB38_387:
	s_mov_b32 s1, 0
.LBB38_388:
	s_delay_alu instid0(SALU_CYCLE_1)
	s_and_not1_b32 vcc_lo, exec_lo, s1
	s_cbranch_vccnz .LBB38_397
; %bb.389:
	v_cmp_gt_i16_e32 vcc_lo, 6, v4
	s_mov_b32 s1, -1
	s_cbranch_vccnz .LBB38_395
; %bb.390:
	v_cmp_lt_i16_e32 vcc_lo, 6, v4
	s_cbranch_vccz .LBB38_392
; %bb.391:
	v_cvt_f64_f32_e32 v[8:9], v0
	s_mov_b32 s1, 0
	global_store_b64 v[2:3], v[8:9], off
.LBB38_392:
	s_and_not1_b32 vcc_lo, exec_lo, s1
	s_cbranch_vccnz .LBB38_394
; %bb.393:
	global_store_b32 v[2:3], v0, off
.LBB38_394:
	s_mov_b32 s1, 0
.LBB38_395:
	s_delay_alu instid0(SALU_CYCLE_1)
	s_and_not1_b32 vcc_lo, exec_lo, s1
	s_cbranch_vccnz .LBB38_397
; %bb.396:
	v_cvt_f16_f32_e32 v1, v0
	global_store_b16 v[2:3], v1, off
.LBB38_397:
	s_mov_b32 s1, 0
.LBB38_398:
	s_delay_alu instid0(SALU_CYCLE_1)
	s_and_not1_b32 vcc_lo, exec_lo, s1
	s_cbranch_vccnz .LBB38_414
; %bb.399:
	v_cmp_gt_i16_e32 vcc_lo, 2, v4
	s_mov_b32 s1, -1
	s_cbranch_vccnz .LBB38_409
; %bb.400:
	v_cmp_gt_i16_e32 vcc_lo, 3, v4
	s_cbranch_vccnz .LBB38_406
; %bb.401:
	v_cmp_lt_i16_e32 vcc_lo, 3, v4
	s_cbranch_vccz .LBB38_403
; %bb.402:
	v_trunc_f32_e32 v1, v0
	s_mov_b32 s1, 0
	s_delay_alu instid0(VALU_DEP_1) | instskip(NEXT) | instid1(VALU_DEP_1)
	v_mul_f32_e64 v5, 0x2f800000, |v1|
	v_floor_f32_e32 v5, v5
	s_delay_alu instid0(VALU_DEP_1) | instskip(SKIP_2) | instid1(VALU_DEP_3)
	v_fma_f32 v8, 0xcf800000, v5, |v1|
	v_ashrrev_i32_e32 v1, 31, v1
	v_cvt_u32_f32_e32 v5, v5
	v_cvt_u32_f32_e32 v8, v8
	s_delay_alu instid0(VALU_DEP_2) | instskip(NEXT) | instid1(VALU_DEP_2)
	v_xor_b32_e32 v5, v5, v1
	v_xor_b32_e32 v8, v8, v1
	s_delay_alu instid0(VALU_DEP_1) | instskip(NEXT) | instid1(VALU_DEP_3)
	v_sub_co_u32 v8, vcc_lo, v8, v1
	v_sub_co_ci_u32_e32 v9, vcc_lo, v5, v1, vcc_lo
	global_store_b64 v[2:3], v[8:9], off
.LBB38_403:
	s_and_not1_b32 vcc_lo, exec_lo, s1
	s_cbranch_vccnz .LBB38_405
; %bb.404:
	v_cvt_i32_f32_e32 v1, v0
	global_store_b32 v[2:3], v1, off
.LBB38_405:
	s_mov_b32 s1, 0
.LBB38_406:
	s_delay_alu instid0(SALU_CYCLE_1)
	s_and_not1_b32 vcc_lo, exec_lo, s1
	s_cbranch_vccnz .LBB38_408
; %bb.407:
	v_cvt_i32_f32_e32 v1, v0
	global_store_b16 v[2:3], v1, off
.LBB38_408:
	s_mov_b32 s1, 0
.LBB38_409:
	s_delay_alu instid0(SALU_CYCLE_1)
	s_and_not1_b32 vcc_lo, exec_lo, s1
	s_cbranch_vccnz .LBB38_414
; %bb.410:
	v_cmp_lt_i16_e32 vcc_lo, 0, v4
	s_mov_b32 s1, -1
	s_cbranch_vccz .LBB38_412
; %bb.411:
	v_cvt_i32_f32_e32 v1, v0
	s_mov_b32 s1, 0
	global_store_b8 v[2:3], v1, off
.LBB38_412:
	s_and_not1_b32 vcc_lo, exec_lo, s1
	s_cbranch_vccnz .LBB38_414
; %bb.413:
	v_trunc_f32_e32 v0, v0
	s_delay_alu instid0(VALU_DEP_1) | instskip(NEXT) | instid1(VALU_DEP_1)
	v_mul_f32_e64 v1, 0x2f800000, |v0|
	v_floor_f32_e32 v1, v1
	s_delay_alu instid0(VALU_DEP_1) | instskip(SKIP_1) | instid1(VALU_DEP_2)
	v_fma_f32 v1, 0xcf800000, v1, |v0|
	v_ashrrev_i32_e32 v0, 31, v0
	v_cvt_u32_f32_e32 v1, v1
	s_delay_alu instid0(VALU_DEP_1) | instskip(NEXT) | instid1(VALU_DEP_1)
	v_xor_b32_e32 v1, v1, v0
	v_sub_nc_u32_e32 v0, v1, v0
	global_store_b8 v[2:3], v0, off
.LBB38_414:
	s_mov_b32 s1, -1
.LBB38_415:
	s_delay_alu instid0(SALU_CYCLE_1)
	s_and_not1_b32 vcc_lo, exec_lo, s1
	s_cbranch_vccnz .LBB38_417
; %bb.416:
	v_add_nc_u32_e32 v6, 0x80, v6
	s_mov_b32 s1, -1
	s_branch .LBB38_530
.LBB38_417:
	s_mov_b32 s1, 0
	s_branch .LBB38_529
.LBB38_418:
	s_mov_b32 s22, -1
                                        ; implicit-def: $vgpr2
.LBB38_419:
	s_mov_b32 s1, 0
.LBB38_420:
	s_delay_alu instid0(SALU_CYCLE_1)
	s_and_b32 vcc_lo, exec_lo, s1
	s_cbranch_vccz .LBB38_424
; %bb.421:
	v_cmp_eq_u16_e32 vcc_lo, 29, v7
	s_cbranch_vccz .LBB38_423
; %bb.422:
	global_load_b64 v[2:3], v[0:1], off
	s_mov_b32 s0, -1
	s_mov_b32 s22, 0
	s_mov_b32 s1, 0
	s_waitcnt vmcnt(0)
	v_clz_i32_u32_e32 v4, v3
	s_delay_alu instid0(VALU_DEP_1) | instskip(NEXT) | instid1(VALU_DEP_1)
	v_min_u32_e32 v4, 32, v4
	v_lshlrev_b64 v[2:3], v4, v[2:3]
	s_delay_alu instid0(VALU_DEP_1) | instskip(NEXT) | instid1(VALU_DEP_1)
	v_min_u32_e32 v2, 1, v2
	v_or_b32_e32 v2, v3, v2
	v_sub_nc_u32_e32 v3, 32, v4
	s_delay_alu instid0(VALU_DEP_2) | instskip(NEXT) | instid1(VALU_DEP_1)
	v_cvt_f32_u32_e32 v2, v2
	v_ldexp_f32 v2, v2, v3
	s_branch .LBB38_425
.LBB38_423:
	s_mov_b32 s22, -1
                                        ; implicit-def: $vgpr2
.LBB38_424:
	s_mov_b32 s1, 0
.LBB38_425:
	s_delay_alu instid0(SALU_CYCLE_1)
	s_and_b32 vcc_lo, exec_lo, s1
	s_cbranch_vccz .LBB38_443
; %bb.426:
	v_cmp_gt_i16_e32 vcc_lo, 27, v7
	s_cbranch_vccnz .LBB38_429
; %bb.427:
	v_cmp_lt_i16_e32 vcc_lo, 27, v7
	s_cbranch_vccz .LBB38_430
; %bb.428:
	global_load_b32 v2, v[0:1], off
	s_mov_b32 s0, 0
	s_waitcnt vmcnt(0)
	v_cvt_f32_u32_e32 v2, v2
	s_branch .LBB38_431
.LBB38_429:
	s_mov_b32 s0, -1
                                        ; implicit-def: $vgpr2
	s_branch .LBB38_434
.LBB38_430:
	s_mov_b32 s0, -1
                                        ; implicit-def: $vgpr2
.LBB38_431:
	s_delay_alu instid0(SALU_CYCLE_1)
	s_and_not1_b32 vcc_lo, exec_lo, s0
	s_cbranch_vccnz .LBB38_433
; %bb.432:
	global_load_u16 v2, v[0:1], off
	s_waitcnt vmcnt(0)
	v_cvt_f32_u32_e32 v2, v2
.LBB38_433:
	s_mov_b32 s0, 0
.LBB38_434:
	s_delay_alu instid0(SALU_CYCLE_1)
	s_and_not1_b32 vcc_lo, exec_lo, s0
	s_cbranch_vccnz .LBB38_442
; %bb.435:
	global_load_u8 v3, v[0:1], off
	s_mov_b32 s0, 0
	s_mov_b32 s23, exec_lo
                                        ; implicit-def: $sgpr1
	s_waitcnt vmcnt(0)
	v_cmpx_lt_i16_e32 0x7f, v3
	s_xor_b32 s23, exec_lo, s23
	s_cbranch_execz .LBB38_456
; %bb.436:
	s_mov_b32 s0, -1
	s_mov_b32 s25, exec_lo
                                        ; implicit-def: $sgpr1
	v_cmpx_eq_u16_e32 0x80, v3
; %bb.437:
	s_mov_b32 s1, 0x7f800001
	s_xor_b32 s0, exec_lo, -1
; %bb.438:
	s_or_b32 exec_lo, exec_lo, s25
	s_delay_alu instid0(SALU_CYCLE_1)
	s_and_b32 s0, s0, exec_lo
	s_or_saveexec_b32 s23, s23
	v_mov_b32_e32 v2, s1
	s_xor_b32 exec_lo, exec_lo, s23
	s_cbranch_execnz .LBB38_457
.LBB38_439:
	s_or_b32 exec_lo, exec_lo, s23
	s_and_saveexec_b32 s1, s0
	s_cbranch_execz .LBB38_441
.LBB38_440:
	v_and_b32_e32 v2, 0xffff, v3
	s_delay_alu instid0(VALU_DEP_1) | instskip(NEXT) | instid1(VALU_DEP_1)
	v_and_b32_e32 v4, 7, v2
	v_clz_i32_u32_e32 v5, v4
	s_delay_alu instid0(VALU_DEP_1) | instskip(NEXT) | instid1(VALU_DEP_1)
	v_min_u32_e32 v5, 32, v5
	v_subrev_nc_u32_e32 v8, 28, v5
	v_sub_nc_u32_e32 v5, 29, v5
	s_delay_alu instid0(VALU_DEP_2) | instskip(SKIP_1) | instid1(VALU_DEP_2)
	v_lshlrev_b32_e32 v8, v8, v2
	v_bfe_u32 v2, v2, 3, 4
	v_and_b32_e32 v8, 7, v8
	s_delay_alu instid0(VALU_DEP_2) | instskip(SKIP_1) | instid1(VALU_DEP_1)
	v_cmp_eq_u32_e32 vcc_lo, 0, v2
	v_dual_cndmask_b32 v2, v2, v5 :: v_dual_lshlrev_b32 v3, 24, v3
	v_dual_cndmask_b32 v4, v4, v8 :: v_dual_and_b32 v3, 0x80000000, v3
	s_delay_alu instid0(VALU_DEP_2) | instskip(NEXT) | instid1(VALU_DEP_2)
	v_lshl_add_u32 v2, v2, 23, 0x3b800000
	v_lshlrev_b32_e32 v4, 20, v4
	s_delay_alu instid0(VALU_DEP_1)
	v_or3_b32 v2, v3, v2, v4
.LBB38_441:
	s_or_b32 exec_lo, exec_lo, s1
.LBB38_442:
	s_mov_b32 s0, -1
.LBB38_443:
	s_mov_b32 s1, 0
.LBB38_444:
	s_delay_alu instid0(SALU_CYCLE_1)
	s_and_b32 vcc_lo, exec_lo, s1
	s_cbranch_vccz .LBB38_479
; %bb.445:
	v_cmp_lt_i16_e32 vcc_lo, 22, v7
	s_cbranch_vccz .LBB38_455
; %bb.446:
	v_cmp_gt_i16_e32 vcc_lo, 24, v7
	s_cbranch_vccnz .LBB38_458
; %bb.447:
	v_cmp_lt_i16_e32 vcc_lo, 24, v7
	s_cbranch_vccz .LBB38_459
; %bb.448:
	global_load_u8 v3, v[0:1], off
	s_mov_b32 s0, 0
	s_mov_b32 s23, exec_lo
                                        ; implicit-def: $sgpr1
	s_waitcnt vmcnt(0)
	v_cmpx_lt_i16_e32 0x7f, v3
	s_xor_b32 s23, exec_lo, s23
	s_cbranch_execz .LBB38_471
; %bb.449:
	s_mov_b32 s0, -1
	s_mov_b32 s25, exec_lo
                                        ; implicit-def: $sgpr1
	v_cmpx_eq_u16_e32 0x80, v3
; %bb.450:
	s_mov_b32 s1, 0x7f800001
	s_xor_b32 s0, exec_lo, -1
; %bb.451:
	s_or_b32 exec_lo, exec_lo, s25
	s_delay_alu instid0(SALU_CYCLE_1)
	s_and_b32 s0, s0, exec_lo
	s_or_saveexec_b32 s23, s23
	v_mov_b32_e32 v2, s1
	s_xor_b32 exec_lo, exec_lo, s23
	s_cbranch_execnz .LBB38_472
.LBB38_452:
	s_or_b32 exec_lo, exec_lo, s23
	s_and_saveexec_b32 s1, s0
	s_cbranch_execz .LBB38_454
.LBB38_453:
	v_and_b32_e32 v2, 0xffff, v3
	s_delay_alu instid0(VALU_DEP_1) | instskip(NEXT) | instid1(VALU_DEP_1)
	v_and_b32_e32 v4, 3, v2
	v_clz_i32_u32_e32 v5, v4
	s_delay_alu instid0(VALU_DEP_1) | instskip(NEXT) | instid1(VALU_DEP_1)
	v_min_u32_e32 v5, 32, v5
	v_subrev_nc_u32_e32 v8, 29, v5
	v_sub_nc_u32_e32 v5, 30, v5
	s_delay_alu instid0(VALU_DEP_2) | instskip(SKIP_1) | instid1(VALU_DEP_2)
	v_lshlrev_b32_e32 v8, v8, v2
	v_bfe_u32 v2, v2, 2, 5
	v_and_b32_e32 v8, 3, v8
	s_delay_alu instid0(VALU_DEP_2) | instskip(SKIP_1) | instid1(VALU_DEP_1)
	v_cmp_eq_u32_e32 vcc_lo, 0, v2
	v_dual_cndmask_b32 v2, v2, v5 :: v_dual_lshlrev_b32 v3, 24, v3
	v_dual_cndmask_b32 v4, v4, v8 :: v_dual_and_b32 v3, 0x80000000, v3
	s_delay_alu instid0(VALU_DEP_2) | instskip(NEXT) | instid1(VALU_DEP_2)
	v_lshl_add_u32 v2, v2, 23, 0x37800000
	v_lshlrev_b32_e32 v4, 21, v4
	s_delay_alu instid0(VALU_DEP_1)
	v_or3_b32 v2, v3, v2, v4
.LBB38_454:
	s_or_b32 exec_lo, exec_lo, s1
	s_mov_b32 s0, 0
	s_branch .LBB38_460
.LBB38_455:
	s_mov_b32 s1, -1
                                        ; implicit-def: $vgpr2
	s_branch .LBB38_466
.LBB38_456:
	s_or_saveexec_b32 s23, s23
	v_mov_b32_e32 v2, s1
	s_xor_b32 exec_lo, exec_lo, s23
	s_cbranch_execz .LBB38_439
.LBB38_457:
	v_cmp_ne_u16_e32 vcc_lo, 0, v3
	v_mov_b32_e32 v2, 0
	s_and_not1_b32 s0, s0, exec_lo
	s_and_b32 s1, vcc_lo, exec_lo
	s_delay_alu instid0(SALU_CYCLE_1)
	s_or_b32 s0, s0, s1
	s_or_b32 exec_lo, exec_lo, s23
	s_and_saveexec_b32 s1, s0
	s_cbranch_execnz .LBB38_440
	s_branch .LBB38_441
.LBB38_458:
	s_mov_b32 s0, -1
                                        ; implicit-def: $vgpr2
	s_branch .LBB38_463
.LBB38_459:
	s_mov_b32 s0, -1
                                        ; implicit-def: $vgpr2
.LBB38_460:
	s_delay_alu instid0(SALU_CYCLE_1)
	s_and_b32 vcc_lo, exec_lo, s0
	s_cbranch_vccz .LBB38_462
; %bb.461:
	global_load_u8 v2, v[0:1], off
	s_waitcnt vmcnt(0)
	v_lshlrev_b32_e32 v2, 24, v2
	s_delay_alu instid0(VALU_DEP_1) | instskip(NEXT) | instid1(VALU_DEP_1)
	v_and_b32_e32 v3, 0x7f000000, v2
	v_clz_i32_u32_e32 v4, v3
	v_add_nc_u32_e32 v8, 0x1000000, v3
	v_cmp_ne_u32_e32 vcc_lo, 0, v3
	s_delay_alu instid0(VALU_DEP_3) | instskip(NEXT) | instid1(VALU_DEP_1)
	v_min_u32_e32 v4, 32, v4
	v_sub_nc_u32_e64 v4, v4, 4 clamp
	s_delay_alu instid0(VALU_DEP_1) | instskip(SKIP_1) | instid1(VALU_DEP_2)
	v_lshlrev_b32_e32 v5, v4, v3
	v_lshlrev_b32_e32 v4, 23, v4
	v_lshrrev_b32_e32 v5, 4, v5
	s_delay_alu instid0(VALU_DEP_1) | instskip(SKIP_1) | instid1(VALU_DEP_2)
	v_sub_nc_u32_e32 v4, v5, v4
	v_ashrrev_i32_e32 v5, 8, v8
	v_add_nc_u32_e32 v4, 0x3c000000, v4
	s_delay_alu instid0(VALU_DEP_1) | instskip(NEXT) | instid1(VALU_DEP_1)
	v_and_or_b32 v4, 0x7f800000, v5, v4
	v_cndmask_b32_e32 v3, 0, v4, vcc_lo
	s_delay_alu instid0(VALU_DEP_1)
	v_and_or_b32 v2, 0x80000000, v2, v3
.LBB38_462:
	s_mov_b32 s0, 0
.LBB38_463:
	s_delay_alu instid0(SALU_CYCLE_1)
	s_and_not1_b32 vcc_lo, exec_lo, s0
	s_cbranch_vccnz .LBB38_465
; %bb.464:
	global_load_u8 v2, v[0:1], off
	s_waitcnt vmcnt(0)
	v_lshlrev_b32_e32 v3, 25, v2
	v_lshlrev_b16 v2, 8, v2
	s_delay_alu instid0(VALU_DEP_2) | instskip(NEXT) | instid1(VALU_DEP_2)
	v_lshrrev_b32_e32 v4, 4, v3
	v_and_or_b32 v5, 0x7f00, v2, 0.5
	v_bfe_i32 v2, v2, 0, 16
	s_delay_alu instid0(VALU_DEP_3) | instskip(NEXT) | instid1(VALU_DEP_1)
	v_or_b32_e32 v4, 0x70000000, v4
	v_dual_add_f32 v5, -0.5, v5 :: v_dual_mul_f32 v4, 0x7800000, v4
	v_cmp_gt_u32_e32 vcc_lo, 0x8000000, v3
	s_delay_alu instid0(VALU_DEP_2) | instskip(NEXT) | instid1(VALU_DEP_1)
	v_cndmask_b32_e32 v3, v4, v5, vcc_lo
	v_and_or_b32 v2, 0x80000000, v2, v3
.LBB38_465:
	s_mov_b32 s1, 0
	s_mov_b32 s0, -1
.LBB38_466:
	s_and_not1_b32 vcc_lo, exec_lo, s1
	s_cbranch_vccnz .LBB38_479
; %bb.467:
	v_cmp_lt_i16_e32 vcc_lo, 14, v7
	s_cbranch_vccz .LBB38_470
; %bb.468:
	v_cmp_eq_u16_e32 vcc_lo, 15, v7
	s_cbranch_vccz .LBB38_473
; %bb.469:
	global_load_u16 v2, v[0:1], off
	s_mov_b32 s0, -1
	s_mov_b32 s22, 0
	s_waitcnt vmcnt(0)
	v_lshlrev_b32_e32 v2, 16, v2
	s_branch .LBB38_474
.LBB38_470:
	s_mov_b32 s1, -1
                                        ; implicit-def: $vgpr2
	s_branch .LBB38_475
.LBB38_471:
	s_or_saveexec_b32 s23, s23
	v_mov_b32_e32 v2, s1
	s_xor_b32 exec_lo, exec_lo, s23
	s_cbranch_execz .LBB38_452
.LBB38_472:
	v_cmp_ne_u16_e32 vcc_lo, 0, v3
	v_mov_b32_e32 v2, 0
	s_and_not1_b32 s0, s0, exec_lo
	s_and_b32 s1, vcc_lo, exec_lo
	s_delay_alu instid0(SALU_CYCLE_1)
	s_or_b32 s0, s0, s1
	s_or_b32 exec_lo, exec_lo, s23
	s_and_saveexec_b32 s1, s0
	s_cbranch_execnz .LBB38_453
	s_branch .LBB38_454
.LBB38_473:
	s_mov_b32 s22, -1
                                        ; implicit-def: $vgpr2
.LBB38_474:
	s_mov_b32 s1, 0
.LBB38_475:
	s_delay_alu instid0(SALU_CYCLE_1)
	s_and_b32 vcc_lo, exec_lo, s1
	s_cbranch_vccz .LBB38_479
; %bb.476:
	v_cmp_eq_u16_e32 vcc_lo, 11, v7
	s_cbranch_vccz .LBB38_478
; %bb.477:
	global_load_u8 v2, v[0:1], off
	s_mov_b32 s22, 0
	s_mov_b32 s0, -1
	s_waitcnt vmcnt(0)
	v_cmp_ne_u16_e32 vcc_lo, 0, v2
	v_cndmask_b32_e64 v2, 0, 1.0, vcc_lo
	s_branch .LBB38_479
.LBB38_478:
	s_mov_b32 s22, -1
                                        ; implicit-def: $vgpr2
.LBB38_479:
	s_branch .LBB38_271
.LBB38_480:
	v_cmp_gt_i16_e32 vcc_lo, 5, v7
	s_cbranch_vccnz .LBB38_485
; %bb.481:
	v_cmp_gt_i16_e32 vcc_lo, 8, v7
	s_cbranch_vccnz .LBB38_486
; %bb.482:
	;; [unrolled: 3-line block ×3, first 2 shown]
	v_cmp_lt_i16_e32 vcc_lo, 9, v7
	s_cbranch_vccz .LBB38_488
; %bb.484:
	global_load_b64 v[2:3], v[0:1], off
	s_mov_b32 s0, 0
	s_waitcnt vmcnt(0)
	v_cvt_f32_f64_e32 v2, v[2:3]
	s_branch .LBB38_489
.LBB38_485:
	s_mov_b32 s0, -1
                                        ; implicit-def: $vgpr2
	s_branch .LBB38_507
.LBB38_486:
	s_mov_b32 s0, -1
                                        ; implicit-def: $vgpr2
	s_branch .LBB38_495
.LBB38_487:
	s_mov_b32 s0, -1
                                        ; implicit-def: $vgpr2
	s_branch .LBB38_492
.LBB38_488:
	s_mov_b32 s0, -1
                                        ; implicit-def: $vgpr2
.LBB38_489:
	s_delay_alu instid0(SALU_CYCLE_1)
	s_and_not1_b32 vcc_lo, exec_lo, s0
	s_cbranch_vccnz .LBB38_491
; %bb.490:
	global_load_b32 v2, v[0:1], off
.LBB38_491:
	s_mov_b32 s0, 0
.LBB38_492:
	s_delay_alu instid0(SALU_CYCLE_1)
	s_and_not1_b32 vcc_lo, exec_lo, s0
	s_cbranch_vccnz .LBB38_494
; %bb.493:
	global_load_b32 v2, v[0:1], off
	s_waitcnt vmcnt(0)
	v_cvt_f32_f16_e32 v2, v2
.LBB38_494:
	s_mov_b32 s0, 0
.LBB38_495:
	s_delay_alu instid0(SALU_CYCLE_1)
	s_and_not1_b32 vcc_lo, exec_lo, s0
	s_cbranch_vccnz .LBB38_506
; %bb.496:
	v_cmp_gt_i16_e32 vcc_lo, 6, v7
	s_cbranch_vccnz .LBB38_499
; %bb.497:
	v_cmp_lt_i16_e32 vcc_lo, 6, v7
	s_cbranch_vccz .LBB38_500
; %bb.498:
	global_load_b64 v[2:3], v[0:1], off
	s_mov_b32 s0, 0
	s_waitcnt vmcnt(0)
	v_cvt_f32_f64_e32 v2, v[2:3]
	s_branch .LBB38_501
.LBB38_499:
	s_mov_b32 s0, -1
                                        ; implicit-def: $vgpr2
	s_branch .LBB38_504
.LBB38_500:
	s_mov_b32 s0, -1
                                        ; implicit-def: $vgpr2
.LBB38_501:
	s_delay_alu instid0(SALU_CYCLE_1)
	s_and_not1_b32 vcc_lo, exec_lo, s0
	s_cbranch_vccnz .LBB38_503
; %bb.502:
	global_load_b32 v2, v[0:1], off
.LBB38_503:
	s_mov_b32 s0, 0
.LBB38_504:
	s_delay_alu instid0(SALU_CYCLE_1)
	s_and_not1_b32 vcc_lo, exec_lo, s0
	s_cbranch_vccnz .LBB38_506
; %bb.505:
	global_load_u16 v2, v[0:1], off
	s_waitcnt vmcnt(0)
	v_cvt_f32_f16_e32 v2, v2
.LBB38_506:
	s_mov_b32 s0, 0
.LBB38_507:
	s_delay_alu instid0(SALU_CYCLE_1)
	s_and_not1_b32 vcc_lo, exec_lo, s0
	s_cbranch_vccnz .LBB38_527
; %bb.508:
	v_cmp_gt_i16_e32 vcc_lo, 2, v7
	s_cbranch_vccnz .LBB38_512
; %bb.509:
	v_cmp_gt_i16_e32 vcc_lo, 3, v7
	s_cbranch_vccnz .LBB38_513
; %bb.510:
	v_cmp_lt_i16_e32 vcc_lo, 3, v7
	s_cbranch_vccz .LBB38_514
; %bb.511:
	global_load_b64 v[2:3], v[0:1], off
	s_mov_b32 s0, 0
	s_waitcnt vmcnt(0)
	v_xor_b32_e32 v4, v2, v3
	v_cls_i32_e32 v5, v3
	s_delay_alu instid0(VALU_DEP_2) | instskip(NEXT) | instid1(VALU_DEP_2)
	v_ashrrev_i32_e32 v4, 31, v4
	v_add_nc_u32_e32 v5, -1, v5
	s_delay_alu instid0(VALU_DEP_2) | instskip(NEXT) | instid1(VALU_DEP_1)
	v_add_nc_u32_e32 v4, 32, v4
	v_min_u32_e32 v4, v5, v4
	s_delay_alu instid0(VALU_DEP_1) | instskip(NEXT) | instid1(VALU_DEP_1)
	v_lshlrev_b64 v[2:3], v4, v[2:3]
	v_min_u32_e32 v2, 1, v2
	s_delay_alu instid0(VALU_DEP_1) | instskip(SKIP_1) | instid1(VALU_DEP_2)
	v_or_b32_e32 v2, v3, v2
	v_sub_nc_u32_e32 v3, 32, v4
	v_cvt_f32_i32_e32 v2, v2
	s_delay_alu instid0(VALU_DEP_1)
	v_ldexp_f32 v2, v2, v3
	s_branch .LBB38_515
.LBB38_512:
	s_mov_b32 s0, -1
                                        ; implicit-def: $vgpr2
	s_branch .LBB38_521
.LBB38_513:
	s_mov_b32 s0, -1
                                        ; implicit-def: $vgpr2
	s_branch .LBB38_518
.LBB38_514:
	s_mov_b32 s0, -1
                                        ; implicit-def: $vgpr2
.LBB38_515:
	s_delay_alu instid0(SALU_CYCLE_1)
	s_and_not1_b32 vcc_lo, exec_lo, s0
	s_cbranch_vccnz .LBB38_517
; %bb.516:
	global_load_b32 v2, v[0:1], off
	s_waitcnt vmcnt(0)
	v_cvt_f32_i32_e32 v2, v2
.LBB38_517:
	s_mov_b32 s0, 0
.LBB38_518:
	s_delay_alu instid0(SALU_CYCLE_1)
	s_and_not1_b32 vcc_lo, exec_lo, s0
	s_cbranch_vccnz .LBB38_520
; %bb.519:
	global_load_i16 v2, v[0:1], off
	s_waitcnt vmcnt(0)
	v_cvt_f32_i32_e32 v2, v2
.LBB38_520:
	s_mov_b32 s0, 0
.LBB38_521:
	s_delay_alu instid0(SALU_CYCLE_1)
	s_and_not1_b32 vcc_lo, exec_lo, s0
	s_cbranch_vccnz .LBB38_527
; %bb.522:
	v_cmp_lt_i16_e32 vcc_lo, 0, v7
	s_mov_b32 s0, 0
	s_cbranch_vccz .LBB38_524
; %bb.523:
	global_load_i8 v2, v[0:1], off
	s_waitcnt vmcnt(0)
	v_cvt_f32_i32_e32 v2, v2
	s_branch .LBB38_525
.LBB38_524:
	s_mov_b32 s0, -1
                                        ; implicit-def: $vgpr2
.LBB38_525:
	s_delay_alu instid0(SALU_CYCLE_1)
	s_and_not1_b32 vcc_lo, exec_lo, s0
	s_cbranch_vccnz .LBB38_527
; %bb.526:
	global_load_u8 v0, v[0:1], off
	s_waitcnt vmcnt(0)
	v_cvt_f32_ubyte0_e32 v2, v0
.LBB38_527:
	s_branch .LBB38_272
.LBB38_528:
	s_mov_b32 s1, 0
	s_mov_b32 s0, s19
.LBB38_529:
                                        ; implicit-def: $vgpr6
.LBB38_530:
	s_and_not1_b32 s23, s19, exec_lo
	s_and_b32 s0, s0, exec_lo
	s_and_not1_b32 s25, s20, exec_lo
	s_and_b32 s22, s22, exec_lo
	s_or_b32 s23, s23, s0
	s_or_b32 s22, s25, s22
	s_or_not1_b32 s26, s1, exec_lo
.LBB38_531:
	s_or_b32 exec_lo, exec_lo, s24
	s_mov_b32 s1, 0
	s_mov_b32 s25, 0
	;; [unrolled: 1-line block ×3, first 2 shown]
                                        ; implicit-def: $vgpr0_vgpr1
                                        ; implicit-def: $vgpr5
	s_and_saveexec_b32 s24, s26
	s_cbranch_execz .LBB38_888
; %bb.532:
	s_mov_b32 s0, -1
	s_mov_b32 s1, s22
	s_mov_b32 s26, s23
	s_mov_b32 s25, exec_lo
	v_cmpx_gt_i32_e64 s18, v6
	s_cbranch_execz .LBB38_802
; %bb.533:
	v_mul_lo_u32 v0, v6, s3
	v_cmp_gt_i16_e32 vcc_lo, 11, v7
	s_delay_alu instid0(VALU_DEP_2) | instskip(SKIP_1) | instid1(VALU_DEP_1)
	v_ashrrev_i32_e32 v1, 31, v0
	v_add_co_u32 v0, s0, s6, v0
	v_add_co_ci_u32_e64 v1, s0, s7, v1, s0
	s_cbranch_vccnz .LBB38_540
; %bb.534:
	v_cmp_lt_i16_e32 vcc_lo, 25, v7
	s_cbranch_vccz .LBB38_541
; %bb.535:
	v_cmp_lt_i16_e32 vcc_lo, 28, v7
	s_cbranch_vccz .LBB38_542
	;; [unrolled: 3-line block ×4, first 2 shown]
; %bb.538:
	v_cmp_eq_u16_e32 vcc_lo, 46, v7
	s_mov_b32 s1, 0
	s_cbranch_vccz .LBB38_549
; %bb.539:
	global_load_b32 v2, v[0:1], off
	s_mov_b32 s0, -1
	s_mov_b32 s26, 0
	s_waitcnt vmcnt(0)
	v_lshlrev_b32_e32 v2, 16, v2
	s_branch .LBB38_551
.LBB38_540:
	s_mov_b32 s1, -1
	s_mov_b32 s0, 0
	s_mov_b32 s26, s22
                                        ; implicit-def: $vgpr2
	s_branch .LBB38_616
.LBB38_541:
	s_mov_b32 s1, -1
	s_mov_b32 s0, 0
	s_mov_b32 s26, s22
                                        ; implicit-def: $vgpr2
	s_branch .LBB38_580
.LBB38_542:
	s_mov_b32 s1, -1
	s_mov_b32 s0, 0
	s_mov_b32 s26, s22
                                        ; implicit-def: $vgpr2
	s_branch .LBB38_561
.LBB38_543:
	s_mov_b32 s1, -1
	s_mov_b32 s0, 0
	s_mov_b32 s26, s22
                                        ; implicit-def: $vgpr2
	s_branch .LBB38_556
.LBB38_544:
	s_or_saveexec_b32 s25, s25
                                        ; implicit-def: $sgpr26
	s_delay_alu instid0(SALU_CYCLE_1)
	s_xor_b32 exec_lo, exec_lo, s25
	s_cbranch_execz .LBB38_328
.LBB38_545:
	v_add_f32_e64 v1, 0x46000000, |v0|
	s_and_not1_b32 s23, s23, exec_lo
	s_mov_b32 s26, 0
	s_delay_alu instid0(VALU_DEP_1) | instskip(NEXT) | instid1(VALU_DEP_1)
	v_and_b32_e32 v1, 0xff, v1
	v_cmp_ne_u32_e32 vcc_lo, 0, v1
	s_and_b32 s27, vcc_lo, exec_lo
	s_delay_alu instid0(SALU_CYCLE_1)
	s_or_b32 s23, s23, s27
	s_or_b32 exec_lo, exec_lo, s25
	v_mov_b32_e32 v5, s26
	s_and_saveexec_b32 s25, s23
	s_cbranch_execnz .LBB38_329
	s_branch .LBB38_330
.LBB38_546:
	s_mov_b32 s1, -1
	s_mov_b32 s0, 0
	s_mov_b32 s26, s22
	s_branch .LBB38_550
.LBB38_547:
	s_or_saveexec_b32 s25, s25
                                        ; implicit-def: $sgpr26
	s_delay_alu instid0(SALU_CYCLE_1)
	s_xor_b32 exec_lo, exec_lo, s25
	s_cbranch_execz .LBB38_341
.LBB38_548:
	v_add_f32_e64 v1, 0x42800000, |v0|
	s_and_not1_b32 s23, s23, exec_lo
	s_mov_b32 s26, 0
	s_delay_alu instid0(VALU_DEP_1) | instskip(NEXT) | instid1(VALU_DEP_1)
	v_and_b32_e32 v1, 0xff, v1
	v_cmp_ne_u32_e32 vcc_lo, 0, v1
	s_and_b32 s27, vcc_lo, exec_lo
	s_delay_alu instid0(SALU_CYCLE_1)
	s_or_b32 s23, s23, s27
	s_or_b32 exec_lo, exec_lo, s25
	v_mov_b32_e32 v5, s26
	s_and_saveexec_b32 s25, s23
	s_cbranch_execnz .LBB38_342
	s_branch .LBB38_343
.LBB38_549:
	s_mov_b32 s26, -1
	s_mov_b32 s0, 0
.LBB38_550:
                                        ; implicit-def: $vgpr2
.LBB38_551:
	s_and_b32 vcc_lo, exec_lo, s1
	s_cbranch_vccz .LBB38_555
; %bb.552:
	v_cmp_eq_u16_e32 vcc_lo, 44, v7
	s_cbranch_vccz .LBB38_554
; %bb.553:
	global_load_u8 v2, v[0:1], off
	s_mov_b32 s26, 0
	s_mov_b32 s0, -1
	s_waitcnt vmcnt(0)
	v_lshlrev_b32_e32 v3, 23, v2
	v_cmp_ne_u32_e32 vcc_lo, 0xff, v2
	s_delay_alu instid0(VALU_DEP_2) | instskip(SKIP_1) | instid1(VALU_DEP_2)
	v_cndmask_b32_e32 v3, 0x7f800001, v3, vcc_lo
	v_cmp_ne_u32_e32 vcc_lo, 0, v2
	v_cndmask_b32_e32 v2, 0x400000, v3, vcc_lo
	s_branch .LBB38_555
.LBB38_554:
	s_mov_b32 s26, -1
                                        ; implicit-def: $vgpr2
.LBB38_555:
	s_mov_b32 s1, 0
.LBB38_556:
	s_delay_alu instid0(SALU_CYCLE_1)
	s_and_b32 vcc_lo, exec_lo, s1
	s_cbranch_vccz .LBB38_560
; %bb.557:
	v_cmp_eq_u16_e32 vcc_lo, 29, v7
	s_cbranch_vccz .LBB38_559
; %bb.558:
	global_load_b64 v[2:3], v[0:1], off
	s_mov_b32 s0, -1
	s_mov_b32 s26, 0
	s_mov_b32 s1, 0
	s_waitcnt vmcnt(0)
	v_clz_i32_u32_e32 v4, v3
	s_delay_alu instid0(VALU_DEP_1) | instskip(NEXT) | instid1(VALU_DEP_1)
	v_min_u32_e32 v4, 32, v4
	v_lshlrev_b64 v[2:3], v4, v[2:3]
	s_delay_alu instid0(VALU_DEP_1) | instskip(NEXT) | instid1(VALU_DEP_1)
	v_min_u32_e32 v2, 1, v2
	v_or_b32_e32 v2, v3, v2
	v_sub_nc_u32_e32 v3, 32, v4
	s_delay_alu instid0(VALU_DEP_2) | instskip(NEXT) | instid1(VALU_DEP_1)
	v_cvt_f32_u32_e32 v2, v2
	v_ldexp_f32 v2, v2, v3
	s_branch .LBB38_561
.LBB38_559:
	s_mov_b32 s26, -1
                                        ; implicit-def: $vgpr2
.LBB38_560:
	s_mov_b32 s1, 0
.LBB38_561:
	s_delay_alu instid0(SALU_CYCLE_1)
	s_and_b32 vcc_lo, exec_lo, s1
	s_cbranch_vccz .LBB38_579
; %bb.562:
	v_cmp_gt_i16_e32 vcc_lo, 27, v7
	s_cbranch_vccnz .LBB38_565
; %bb.563:
	v_cmp_lt_i16_e32 vcc_lo, 27, v7
	s_cbranch_vccz .LBB38_566
; %bb.564:
	global_load_b32 v2, v[0:1], off
	s_mov_b32 s0, 0
	s_waitcnt vmcnt(0)
	v_cvt_f32_u32_e32 v2, v2
	s_branch .LBB38_567
.LBB38_565:
	s_mov_b32 s0, -1
                                        ; implicit-def: $vgpr2
	s_branch .LBB38_570
.LBB38_566:
	s_mov_b32 s0, -1
                                        ; implicit-def: $vgpr2
.LBB38_567:
	s_delay_alu instid0(SALU_CYCLE_1)
	s_and_not1_b32 vcc_lo, exec_lo, s0
	s_cbranch_vccnz .LBB38_569
; %bb.568:
	global_load_u16 v2, v[0:1], off
	s_waitcnt vmcnt(0)
	v_cvt_f32_u32_e32 v2, v2
.LBB38_569:
	s_mov_b32 s0, 0
.LBB38_570:
	s_delay_alu instid0(SALU_CYCLE_1)
	s_and_not1_b32 vcc_lo, exec_lo, s0
	s_cbranch_vccnz .LBB38_578
; %bb.571:
	global_load_u8 v3, v[0:1], off
	s_mov_b32 s0, 0
	s_mov_b32 s27, exec_lo
                                        ; implicit-def: $sgpr1
	s_waitcnt vmcnt(0)
	v_cmpx_lt_i16_e32 0x7f, v3
	s_xor_b32 s27, exec_lo, s27
	s_cbranch_execz .LBB38_592
; %bb.572:
	s_mov_b32 s0, -1
	s_mov_b32 s28, exec_lo
                                        ; implicit-def: $sgpr1
	v_cmpx_eq_u16_e32 0x80, v3
; %bb.573:
	s_mov_b32 s1, 0x7f800001
	s_xor_b32 s0, exec_lo, -1
; %bb.574:
	s_or_b32 exec_lo, exec_lo, s28
	s_delay_alu instid0(SALU_CYCLE_1)
	s_and_b32 s0, s0, exec_lo
	s_or_saveexec_b32 s27, s27
	v_mov_b32_e32 v2, s1
	s_xor_b32 exec_lo, exec_lo, s27
	s_cbranch_execnz .LBB38_593
.LBB38_575:
	s_or_b32 exec_lo, exec_lo, s27
	s_and_saveexec_b32 s1, s0
	s_cbranch_execz .LBB38_577
.LBB38_576:
	v_and_b32_e32 v2, 0xffff, v3
	s_delay_alu instid0(VALU_DEP_1) | instskip(NEXT) | instid1(VALU_DEP_1)
	v_and_b32_e32 v4, 7, v2
	v_clz_i32_u32_e32 v5, v4
	s_delay_alu instid0(VALU_DEP_1) | instskip(NEXT) | instid1(VALU_DEP_1)
	v_min_u32_e32 v5, 32, v5
	v_subrev_nc_u32_e32 v8, 28, v5
	v_sub_nc_u32_e32 v5, 29, v5
	s_delay_alu instid0(VALU_DEP_2) | instskip(SKIP_1) | instid1(VALU_DEP_2)
	v_lshlrev_b32_e32 v8, v8, v2
	v_bfe_u32 v2, v2, 3, 4
	v_and_b32_e32 v8, 7, v8
	s_delay_alu instid0(VALU_DEP_2) | instskip(SKIP_1) | instid1(VALU_DEP_1)
	v_cmp_eq_u32_e32 vcc_lo, 0, v2
	v_dual_cndmask_b32 v2, v2, v5 :: v_dual_lshlrev_b32 v3, 24, v3
	v_dual_cndmask_b32 v4, v4, v8 :: v_dual_and_b32 v3, 0x80000000, v3
	s_delay_alu instid0(VALU_DEP_2) | instskip(NEXT) | instid1(VALU_DEP_2)
	v_lshl_add_u32 v2, v2, 23, 0x3b800000
	v_lshlrev_b32_e32 v4, 20, v4
	s_delay_alu instid0(VALU_DEP_1)
	v_or3_b32 v2, v3, v2, v4
.LBB38_577:
	s_or_b32 exec_lo, exec_lo, s1
.LBB38_578:
	s_mov_b32 s0, -1
.LBB38_579:
	s_mov_b32 s1, 0
.LBB38_580:
	s_delay_alu instid0(SALU_CYCLE_1)
	s_and_b32 vcc_lo, exec_lo, s1
	s_cbranch_vccz .LBB38_615
; %bb.581:
	v_cmp_lt_i16_e32 vcc_lo, 22, v7
	s_cbranch_vccz .LBB38_591
; %bb.582:
	v_cmp_gt_i16_e32 vcc_lo, 24, v7
	s_cbranch_vccnz .LBB38_594
; %bb.583:
	v_cmp_lt_i16_e32 vcc_lo, 24, v7
	s_cbranch_vccz .LBB38_595
; %bb.584:
	global_load_u8 v3, v[0:1], off
	s_mov_b32 s0, 0
	s_mov_b32 s27, exec_lo
                                        ; implicit-def: $sgpr1
	s_waitcnt vmcnt(0)
	v_cmpx_lt_i16_e32 0x7f, v3
	s_xor_b32 s27, exec_lo, s27
	s_cbranch_execz .LBB38_607
; %bb.585:
	s_mov_b32 s0, -1
	s_mov_b32 s28, exec_lo
                                        ; implicit-def: $sgpr1
	v_cmpx_eq_u16_e32 0x80, v3
; %bb.586:
	s_mov_b32 s1, 0x7f800001
	s_xor_b32 s0, exec_lo, -1
; %bb.587:
	s_or_b32 exec_lo, exec_lo, s28
	s_delay_alu instid0(SALU_CYCLE_1)
	s_and_b32 s0, s0, exec_lo
	s_or_saveexec_b32 s27, s27
	v_mov_b32_e32 v2, s1
	s_xor_b32 exec_lo, exec_lo, s27
	s_cbranch_execnz .LBB38_608
.LBB38_588:
	s_or_b32 exec_lo, exec_lo, s27
	s_and_saveexec_b32 s1, s0
	s_cbranch_execz .LBB38_590
.LBB38_589:
	v_and_b32_e32 v2, 0xffff, v3
	s_delay_alu instid0(VALU_DEP_1) | instskip(NEXT) | instid1(VALU_DEP_1)
	v_and_b32_e32 v4, 3, v2
	v_clz_i32_u32_e32 v5, v4
	s_delay_alu instid0(VALU_DEP_1) | instskip(NEXT) | instid1(VALU_DEP_1)
	v_min_u32_e32 v5, 32, v5
	v_subrev_nc_u32_e32 v8, 29, v5
	v_sub_nc_u32_e32 v5, 30, v5
	s_delay_alu instid0(VALU_DEP_2) | instskip(SKIP_1) | instid1(VALU_DEP_2)
	v_lshlrev_b32_e32 v8, v8, v2
	v_bfe_u32 v2, v2, 2, 5
	v_and_b32_e32 v8, 3, v8
	s_delay_alu instid0(VALU_DEP_2) | instskip(SKIP_1) | instid1(VALU_DEP_1)
	v_cmp_eq_u32_e32 vcc_lo, 0, v2
	v_dual_cndmask_b32 v2, v2, v5 :: v_dual_lshlrev_b32 v3, 24, v3
	v_dual_cndmask_b32 v4, v4, v8 :: v_dual_and_b32 v3, 0x80000000, v3
	s_delay_alu instid0(VALU_DEP_2) | instskip(NEXT) | instid1(VALU_DEP_2)
	v_lshl_add_u32 v2, v2, 23, 0x37800000
	v_lshlrev_b32_e32 v4, 21, v4
	s_delay_alu instid0(VALU_DEP_1)
	v_or3_b32 v2, v3, v2, v4
.LBB38_590:
	s_or_b32 exec_lo, exec_lo, s1
	s_mov_b32 s0, 0
	s_branch .LBB38_596
.LBB38_591:
	s_mov_b32 s1, -1
                                        ; implicit-def: $vgpr2
	s_branch .LBB38_602
.LBB38_592:
	s_or_saveexec_b32 s27, s27
	v_mov_b32_e32 v2, s1
	s_xor_b32 exec_lo, exec_lo, s27
	s_cbranch_execz .LBB38_575
.LBB38_593:
	v_cmp_ne_u16_e32 vcc_lo, 0, v3
	v_mov_b32_e32 v2, 0
	s_and_not1_b32 s0, s0, exec_lo
	s_and_b32 s1, vcc_lo, exec_lo
	s_delay_alu instid0(SALU_CYCLE_1)
	s_or_b32 s0, s0, s1
	s_or_b32 exec_lo, exec_lo, s27
	s_and_saveexec_b32 s1, s0
	s_cbranch_execnz .LBB38_576
	s_branch .LBB38_577
.LBB38_594:
	s_mov_b32 s0, -1
                                        ; implicit-def: $vgpr2
	s_branch .LBB38_599
.LBB38_595:
	s_mov_b32 s0, -1
                                        ; implicit-def: $vgpr2
.LBB38_596:
	s_delay_alu instid0(SALU_CYCLE_1)
	s_and_b32 vcc_lo, exec_lo, s0
	s_cbranch_vccz .LBB38_598
; %bb.597:
	global_load_u8 v2, v[0:1], off
	s_waitcnt vmcnt(0)
	v_lshlrev_b32_e32 v2, 24, v2
	s_delay_alu instid0(VALU_DEP_1) | instskip(NEXT) | instid1(VALU_DEP_1)
	v_and_b32_e32 v3, 0x7f000000, v2
	v_clz_i32_u32_e32 v4, v3
	v_add_nc_u32_e32 v8, 0x1000000, v3
	v_cmp_ne_u32_e32 vcc_lo, 0, v3
	s_delay_alu instid0(VALU_DEP_3) | instskip(NEXT) | instid1(VALU_DEP_1)
	v_min_u32_e32 v4, 32, v4
	v_sub_nc_u32_e64 v4, v4, 4 clamp
	s_delay_alu instid0(VALU_DEP_1) | instskip(SKIP_1) | instid1(VALU_DEP_2)
	v_lshlrev_b32_e32 v5, v4, v3
	v_lshlrev_b32_e32 v4, 23, v4
	v_lshrrev_b32_e32 v5, 4, v5
	s_delay_alu instid0(VALU_DEP_1) | instskip(SKIP_1) | instid1(VALU_DEP_2)
	v_sub_nc_u32_e32 v4, v5, v4
	v_ashrrev_i32_e32 v5, 8, v8
	v_add_nc_u32_e32 v4, 0x3c000000, v4
	s_delay_alu instid0(VALU_DEP_1) | instskip(NEXT) | instid1(VALU_DEP_1)
	v_and_or_b32 v4, 0x7f800000, v5, v4
	v_cndmask_b32_e32 v3, 0, v4, vcc_lo
	s_delay_alu instid0(VALU_DEP_1)
	v_and_or_b32 v2, 0x80000000, v2, v3
.LBB38_598:
	s_mov_b32 s0, 0
.LBB38_599:
	s_delay_alu instid0(SALU_CYCLE_1)
	s_and_not1_b32 vcc_lo, exec_lo, s0
	s_cbranch_vccnz .LBB38_601
; %bb.600:
	global_load_u8 v2, v[0:1], off
	s_waitcnt vmcnt(0)
	v_lshlrev_b32_e32 v3, 25, v2
	v_lshlrev_b16 v2, 8, v2
	s_delay_alu instid0(VALU_DEP_2) | instskip(NEXT) | instid1(VALU_DEP_2)
	v_lshrrev_b32_e32 v4, 4, v3
	v_and_or_b32 v5, 0x7f00, v2, 0.5
	v_bfe_i32 v2, v2, 0, 16
	s_delay_alu instid0(VALU_DEP_3) | instskip(NEXT) | instid1(VALU_DEP_1)
	v_or_b32_e32 v4, 0x70000000, v4
	v_dual_add_f32 v5, -0.5, v5 :: v_dual_mul_f32 v4, 0x7800000, v4
	v_cmp_gt_u32_e32 vcc_lo, 0x8000000, v3
	s_delay_alu instid0(VALU_DEP_2) | instskip(NEXT) | instid1(VALU_DEP_1)
	v_cndmask_b32_e32 v3, v4, v5, vcc_lo
	v_and_or_b32 v2, 0x80000000, v2, v3
.LBB38_601:
	s_mov_b32 s1, 0
	s_mov_b32 s0, -1
.LBB38_602:
	s_and_not1_b32 vcc_lo, exec_lo, s1
	s_cbranch_vccnz .LBB38_615
; %bb.603:
	v_cmp_lt_i16_e32 vcc_lo, 14, v7
	s_cbranch_vccz .LBB38_606
; %bb.604:
	v_cmp_eq_u16_e32 vcc_lo, 15, v7
	s_cbranch_vccz .LBB38_609
; %bb.605:
	global_load_u16 v2, v[0:1], off
	s_mov_b32 s0, -1
	s_mov_b32 s26, 0
	s_waitcnt vmcnt(0)
	v_lshlrev_b32_e32 v2, 16, v2
	s_branch .LBB38_610
.LBB38_606:
	s_mov_b32 s1, -1
                                        ; implicit-def: $vgpr2
	s_branch .LBB38_611
.LBB38_607:
	s_or_saveexec_b32 s27, s27
	v_mov_b32_e32 v2, s1
	s_xor_b32 exec_lo, exec_lo, s27
	s_cbranch_execz .LBB38_588
.LBB38_608:
	v_cmp_ne_u16_e32 vcc_lo, 0, v3
	v_mov_b32_e32 v2, 0
	s_and_not1_b32 s0, s0, exec_lo
	s_and_b32 s1, vcc_lo, exec_lo
	s_delay_alu instid0(SALU_CYCLE_1)
	s_or_b32 s0, s0, s1
	s_or_b32 exec_lo, exec_lo, s27
	s_and_saveexec_b32 s1, s0
	s_cbranch_execnz .LBB38_589
	s_branch .LBB38_590
.LBB38_609:
	s_mov_b32 s26, -1
                                        ; implicit-def: $vgpr2
.LBB38_610:
	s_mov_b32 s1, 0
.LBB38_611:
	s_delay_alu instid0(SALU_CYCLE_1)
	s_and_b32 vcc_lo, exec_lo, s1
	s_cbranch_vccz .LBB38_615
; %bb.612:
	v_cmp_eq_u16_e32 vcc_lo, 11, v7
	s_cbranch_vccz .LBB38_614
; %bb.613:
	global_load_u8 v2, v[0:1], off
	s_mov_b32 s26, 0
	s_mov_b32 s0, -1
	s_waitcnt vmcnt(0)
	v_cmp_ne_u16_e32 vcc_lo, 0, v2
	v_cndmask_b32_e64 v2, 0, 1.0, vcc_lo
	s_branch .LBB38_615
.LBB38_614:
	s_mov_b32 s26, -1
                                        ; implicit-def: $vgpr2
.LBB38_615:
	s_mov_b32 s1, 0
.LBB38_616:
	s_delay_alu instid0(SALU_CYCLE_1)
	s_and_b32 vcc_lo, exec_lo, s1
	s_cbranch_vccz .LBB38_665
; %bb.617:
	v_cmp_gt_i16_e32 vcc_lo, 5, v7
	s_cbranch_vccnz .LBB38_622
; %bb.618:
	v_cmp_gt_i16_e32 vcc_lo, 8, v7
	s_cbranch_vccnz .LBB38_623
	;; [unrolled: 3-line block ×3, first 2 shown]
; %bb.620:
	v_cmp_lt_i16_e32 vcc_lo, 9, v7
	s_cbranch_vccz .LBB38_625
; %bb.621:
	global_load_b64 v[2:3], v[0:1], off
	s_mov_b32 s0, 0
	s_waitcnt vmcnt(0)
	v_cvt_f32_f64_e32 v2, v[2:3]
	s_branch .LBB38_626
.LBB38_622:
	s_mov_b32 s0, -1
                                        ; implicit-def: $vgpr2
	s_branch .LBB38_644
.LBB38_623:
	s_mov_b32 s0, -1
                                        ; implicit-def: $vgpr2
	s_branch .LBB38_632
.LBB38_624:
	s_mov_b32 s0, -1
                                        ; implicit-def: $vgpr2
	s_branch .LBB38_629
.LBB38_625:
	s_mov_b32 s0, -1
                                        ; implicit-def: $vgpr2
.LBB38_626:
	s_delay_alu instid0(SALU_CYCLE_1)
	s_and_not1_b32 vcc_lo, exec_lo, s0
	s_cbranch_vccnz .LBB38_628
; %bb.627:
	global_load_b32 v2, v[0:1], off
.LBB38_628:
	s_mov_b32 s0, 0
.LBB38_629:
	s_delay_alu instid0(SALU_CYCLE_1)
	s_and_not1_b32 vcc_lo, exec_lo, s0
	s_cbranch_vccnz .LBB38_631
; %bb.630:
	global_load_b32 v2, v[0:1], off
	s_waitcnt vmcnt(0)
	v_cvt_f32_f16_e32 v2, v2
.LBB38_631:
	s_mov_b32 s0, 0
.LBB38_632:
	s_delay_alu instid0(SALU_CYCLE_1)
	s_and_not1_b32 vcc_lo, exec_lo, s0
	s_cbranch_vccnz .LBB38_643
; %bb.633:
	v_cmp_gt_i16_e32 vcc_lo, 6, v7
	s_cbranch_vccnz .LBB38_636
; %bb.634:
	v_cmp_lt_i16_e32 vcc_lo, 6, v7
	s_cbranch_vccz .LBB38_637
; %bb.635:
	global_load_b64 v[2:3], v[0:1], off
	s_mov_b32 s0, 0
	s_waitcnt vmcnt(0)
	v_cvt_f32_f64_e32 v2, v[2:3]
	s_branch .LBB38_638
.LBB38_636:
	s_mov_b32 s0, -1
                                        ; implicit-def: $vgpr2
	s_branch .LBB38_641
.LBB38_637:
	s_mov_b32 s0, -1
                                        ; implicit-def: $vgpr2
.LBB38_638:
	s_delay_alu instid0(SALU_CYCLE_1)
	s_and_not1_b32 vcc_lo, exec_lo, s0
	s_cbranch_vccnz .LBB38_640
; %bb.639:
	global_load_b32 v2, v[0:1], off
.LBB38_640:
	s_mov_b32 s0, 0
.LBB38_641:
	s_delay_alu instid0(SALU_CYCLE_1)
	s_and_not1_b32 vcc_lo, exec_lo, s0
	s_cbranch_vccnz .LBB38_643
; %bb.642:
	global_load_u16 v2, v[0:1], off
	s_waitcnt vmcnt(0)
	v_cvt_f32_f16_e32 v2, v2
.LBB38_643:
	s_mov_b32 s0, 0
.LBB38_644:
	s_delay_alu instid0(SALU_CYCLE_1)
	s_and_not1_b32 vcc_lo, exec_lo, s0
	s_cbranch_vccnz .LBB38_664
; %bb.645:
	v_cmp_gt_i16_e32 vcc_lo, 2, v7
	s_cbranch_vccnz .LBB38_649
; %bb.646:
	v_cmp_gt_i16_e32 vcc_lo, 3, v7
	s_cbranch_vccnz .LBB38_650
; %bb.647:
	v_cmp_lt_i16_e32 vcc_lo, 3, v7
	s_cbranch_vccz .LBB38_651
; %bb.648:
	global_load_b64 v[2:3], v[0:1], off
	s_mov_b32 s0, 0
	s_waitcnt vmcnt(0)
	v_xor_b32_e32 v4, v2, v3
	v_cls_i32_e32 v5, v3
	s_delay_alu instid0(VALU_DEP_2) | instskip(NEXT) | instid1(VALU_DEP_2)
	v_ashrrev_i32_e32 v4, 31, v4
	v_add_nc_u32_e32 v5, -1, v5
	s_delay_alu instid0(VALU_DEP_2) | instskip(NEXT) | instid1(VALU_DEP_1)
	v_add_nc_u32_e32 v4, 32, v4
	v_min_u32_e32 v4, v5, v4
	s_delay_alu instid0(VALU_DEP_1) | instskip(NEXT) | instid1(VALU_DEP_1)
	v_lshlrev_b64 v[2:3], v4, v[2:3]
	v_min_u32_e32 v2, 1, v2
	s_delay_alu instid0(VALU_DEP_1) | instskip(SKIP_1) | instid1(VALU_DEP_2)
	v_or_b32_e32 v2, v3, v2
	v_sub_nc_u32_e32 v3, 32, v4
	v_cvt_f32_i32_e32 v2, v2
	s_delay_alu instid0(VALU_DEP_1)
	v_ldexp_f32 v2, v2, v3
	s_branch .LBB38_652
.LBB38_649:
	s_mov_b32 s0, -1
                                        ; implicit-def: $vgpr2
	s_branch .LBB38_658
.LBB38_650:
	s_mov_b32 s0, -1
                                        ; implicit-def: $vgpr2
	s_branch .LBB38_655
.LBB38_651:
	s_mov_b32 s0, -1
                                        ; implicit-def: $vgpr2
.LBB38_652:
	s_delay_alu instid0(SALU_CYCLE_1)
	s_and_not1_b32 vcc_lo, exec_lo, s0
	s_cbranch_vccnz .LBB38_654
; %bb.653:
	global_load_b32 v2, v[0:1], off
	s_waitcnt vmcnt(0)
	v_cvt_f32_i32_e32 v2, v2
.LBB38_654:
	s_mov_b32 s0, 0
.LBB38_655:
	s_delay_alu instid0(SALU_CYCLE_1)
	s_and_not1_b32 vcc_lo, exec_lo, s0
	s_cbranch_vccnz .LBB38_657
; %bb.656:
	global_load_i16 v2, v[0:1], off
	s_waitcnt vmcnt(0)
	v_cvt_f32_i32_e32 v2, v2
.LBB38_657:
	s_mov_b32 s0, 0
.LBB38_658:
	s_delay_alu instid0(SALU_CYCLE_1)
	s_and_not1_b32 vcc_lo, exec_lo, s0
	s_cbranch_vccnz .LBB38_664
; %bb.659:
	v_cmp_lt_i16_e32 vcc_lo, 0, v7
	s_mov_b32 s0, 0
	s_cbranch_vccz .LBB38_661
; %bb.660:
	global_load_i8 v2, v[0:1], off
	s_waitcnt vmcnt(0)
	v_cvt_f32_i32_e32 v2, v2
	s_branch .LBB38_662
.LBB38_661:
	s_mov_b32 s0, -1
                                        ; implicit-def: $vgpr2
.LBB38_662:
	s_delay_alu instid0(SALU_CYCLE_1)
	s_and_not1_b32 vcc_lo, exec_lo, s0
	s_cbranch_vccnz .LBB38_664
; %bb.663:
	global_load_u8 v0, v[0:1], off
	s_waitcnt vmcnt(0)
	v_cvt_f32_ubyte0_e32 v2, v0
.LBB38_664:
	s_mov_b32 s0, -1
.LBB38_665:
	s_delay_alu instid0(SALU_CYCLE_1)
	s_and_not1_b32 vcc_lo, exec_lo, s0
	s_cbranch_vccnz .LBB38_673
; %bb.666:
	v_mov_b32_e32 v0, 0
	s_and_not1_b32 vcc_lo, exec_lo, s17
	s_cbranch_vccnz .LBB38_677
; %bb.667:
	v_cmp_lt_i64_e64 s0, s[12:13], 1
	v_mov_b32_e32 v0, 1.0
	s_delay_alu instid0(VALU_DEP_2)
	s_and_b32 vcc_lo, exec_lo, s0
	s_cbranch_vccnz .LBB38_677
; %bb.668:
	s_cmp_lg_u64 s[12:13], 1
	s_cbranch_scc0 .LBB38_674
; %bb.669:
	v_mov_b32_e32 v0, 0x7fc00000
	s_and_not1_b32 vcc_lo, exec_lo, s16
	s_cbranch_vccnz .LBB38_672
; %bb.670:
	s_waitcnt vmcnt(0)
	v_add_f32_e32 v1, v2, v2
	v_mov_b32_e32 v3, 1.0
	s_mov_b64 s[0:1], 2
	s_delay_alu instid0(VALU_DEP_2)
	v_mov_b32_e32 v0, v1
.LBB38_671:                             ; =>This Inner Loop Header: Depth=1
	s_clz_i32_u32 s27, s1
	s_delay_alu instid0(SALU_CYCLE_1) | instskip(NEXT) | instid1(SALU_CYCLE_1)
	s_min_u32 s27, s27, 32
	s_lshl_b64 s[28:29], s[0:1], s27
	s_sub_i32 s27, 32, s27
	s_min_u32 s28, s28, 1
	s_delay_alu instid0(SALU_CYCLE_1) | instskip(SKIP_3) | instid1(VALU_DEP_1)
	s_or_b32 s28, s29, s28
	s_add_u32 s0, s0, 2
	v_cvt_f32_u32_e32 v4, s28
	s_addc_u32 s1, s1, 0
	v_ldexp_f32 v4, v4, s27
	v_cmp_lt_u64_e64 s27, s[0:1], s[10:11]
	s_delay_alu instid0(VALU_DEP_2) | instskip(NEXT) | instid1(VALU_DEP_2)
	v_dual_mul_f32 v4, v3, v4 :: v_dual_mov_b32 v3, v0
	s_and_b32 vcc_lo, exec_lo, s27
	s_delay_alu instid0(VALU_DEP_1)
	v_fma_f32 v0, v1, v0, -v4
	s_cbranch_vccnz .LBB38_671
.LBB38_672:
	s_mov_b32 s0, 0
	s_branch .LBB38_675
.LBB38_673:
	s_mov_b32 s27, 0
	s_mov_b32 s0, s23
	s_branch .LBB38_800
.LBB38_674:
	s_mov_b32 s0, -1
                                        ; implicit-def: $vgpr0
.LBB38_675:
	s_delay_alu instid0(SALU_CYCLE_1)
	s_and_not1_b32 vcc_lo, exec_lo, s0
	s_cbranch_vccnz .LBB38_677
; %bb.676:
	s_waitcnt vmcnt(0)
	s_delay_alu instid0(VALU_DEP_4)
	v_add_f32_e32 v0, v2, v2
.LBB38_677:
	v_mul_lo_u32 v1, v6, s2
	v_and_b32_e64 v4, 0xff, s9
	s_delay_alu instid0(VALU_DEP_1) | instskip(NEXT) | instid1(VALU_DEP_3)
	v_cmp_gt_i16_e32 vcc_lo, 11, v4
	v_ashrrev_i32_e32 v3, 31, v1
	s_waitcnt vmcnt(0)
	v_add_co_u32 v2, s0, s4, v1
	s_delay_alu instid0(VALU_DEP_1)
	v_add_co_ci_u32_e64 v3, s0, s5, v3, s0
	s_cbranch_vccnz .LBB38_684
; %bb.678:
	v_cmp_lt_i16_e32 vcc_lo, 25, v4
	s_cbranch_vccz .LBB38_685
; %bb.679:
	v_cmp_lt_i16_e32 vcc_lo, 28, v4
	s_cbranch_vccz .LBB38_686
	;; [unrolled: 3-line block ×4, first 2 shown]
; %bb.682:
	v_cmp_eq_u16_e32 vcc_lo, 46, v4
	s_mov_b32 s27, 0
	s_mov_b32 s0, -1
	s_mov_b32 s1, 0
	s_cbranch_vccz .LBB38_689
; %bb.683:
	v_bfe_u32 v1, v0, 16, 1
	v_cmp_o_f32_e32 vcc_lo, v0, v0
	s_mov_b32 s1, -1
	s_mov_b32 s0, 0
	s_delay_alu instid0(VALU_DEP_2) | instskip(NEXT) | instid1(VALU_DEP_1)
	v_add3_u32 v1, v0, v1, 0x7fff
	v_lshrrev_b32_e32 v1, 16, v1
	s_delay_alu instid0(VALU_DEP_1)
	v_cndmask_b32_e32 v1, 0x7fc0, v1, vcc_lo
	global_store_b32 v[2:3], v1, off
	s_branch .LBB38_689
.LBB38_684:
	s_mov_b32 s27, -1
	s_mov_b32 s1, 0
	s_mov_b32 s0, s23
	s_branch .LBB38_758
.LBB38_685:
	s_mov_b32 s27, -1
	s_mov_b32 s1, 0
	s_mov_b32 s0, s23
	s_branch .LBB38_716
.LBB38_686:
	s_mov_b32 s27, -1
	s_mov_b32 s1, 0
	s_mov_b32 s0, s23
	s_branch .LBB38_699
.LBB38_687:
	s_mov_b32 s27, -1
	s_mov_b32 s1, 0
	s_mov_b32 s0, s23
	s_branch .LBB38_695
.LBB38_688:
	s_mov_b32 s27, -1
	s_mov_b32 s1, 0
	s_mov_b32 s0, s23
.LBB38_689:
	s_and_b32 vcc_lo, exec_lo, s27
	s_cbranch_vccz .LBB38_694
; %bb.690:
	v_cmp_eq_u16_e32 vcc_lo, 44, v4
	s_mov_b32 s0, -1
	s_cbranch_vccz .LBB38_694
; %bb.691:
	v_bfe_u32 v5, v0, 23, 8
	v_mov_b32_e32 v1, 0xff
	s_mov_b32 s1, exec_lo
	s_delay_alu instid0(VALU_DEP_2)
	v_cmpx_ne_u32_e32 0xff, v5
; %bb.692:
	v_and_b32_e32 v1, 0x400000, v0
	v_and_or_b32 v5, 0x3fffff, v0, v5
	s_delay_alu instid0(VALU_DEP_2) | instskip(NEXT) | instid1(VALU_DEP_2)
	v_cmp_ne_u32_e32 vcc_lo, 0, v1
	v_cmp_ne_u32_e64 s0, 0, v5
	v_lshrrev_b32_e32 v1, 23, v0
	s_delay_alu instid0(VALU_DEP_2) | instskip(NEXT) | instid1(SALU_CYCLE_1)
	s_and_b32 s0, vcc_lo, s0
	v_cndmask_b32_e64 v5, 0, 1, s0
	s_delay_alu instid0(VALU_DEP_1)
	v_add_nc_u32_e32 v1, v1, v5
; %bb.693:
	s_or_b32 exec_lo, exec_lo, s1
	s_mov_b32 s1, -1
	s_mov_b32 s0, 0
	global_store_b8 v[2:3], v1, off
.LBB38_694:
	s_mov_b32 s27, 0
.LBB38_695:
	s_delay_alu instid0(SALU_CYCLE_1)
	s_and_b32 vcc_lo, exec_lo, s27
	s_cbranch_vccz .LBB38_698
; %bb.696:
	v_cmp_eq_u16_e32 vcc_lo, 29, v4
	s_mov_b32 s0, -1
	s_cbranch_vccz .LBB38_698
; %bb.697:
	v_trunc_f32_e32 v1, v0
	s_mov_b32 s1, -1
	s_mov_b32 s0, 0
	s_mov_b32 s27, 0
	s_delay_alu instid0(VALU_DEP_1) | instskip(NEXT) | instid1(VALU_DEP_1)
	v_mul_f32_e32 v5, 0x2f800000, v1
	v_floor_f32_e32 v5, v5
	s_delay_alu instid0(VALU_DEP_1) | instskip(SKIP_1) | instid1(VALU_DEP_2)
	v_fmamk_f32 v1, v5, 0xcf800000, v1
	v_cvt_u32_f32_e32 v9, v5
	v_cvt_u32_f32_e32 v8, v1
	global_store_b64 v[2:3], v[8:9], off
	s_branch .LBB38_699
.LBB38_698:
	s_mov_b32 s27, 0
.LBB38_699:
	s_delay_alu instid0(SALU_CYCLE_1)
	s_and_b32 vcc_lo, exec_lo, s27
	s_cbranch_vccz .LBB38_715
; %bb.700:
	v_cmp_gt_i16_e32 vcc_lo, 27, v4
	s_mov_b32 s1, -1
	s_cbranch_vccnz .LBB38_706
; %bb.701:
	v_cmp_lt_i16_e32 vcc_lo, 27, v4
	s_cbranch_vccz .LBB38_703
; %bb.702:
	v_cvt_u32_f32_e32 v1, v0
	s_mov_b32 s1, 0
	global_store_b32 v[2:3], v1, off
.LBB38_703:
	s_and_not1_b32 vcc_lo, exec_lo, s1
	s_cbranch_vccnz .LBB38_705
; %bb.704:
	v_cvt_u32_f32_e32 v1, v0
	global_store_b16 v[2:3], v1, off
.LBB38_705:
	s_mov_b32 s1, 0
.LBB38_706:
	s_delay_alu instid0(SALU_CYCLE_1)
	s_and_not1_b32 vcc_lo, exec_lo, s1
	s_cbranch_vccnz .LBB38_714
; %bb.707:
	v_and_b32_e32 v1, 0x7fffffff, v0
	v_mov_b32_e32 v5, 0x80
	s_mov_b32 s1, exec_lo
	s_delay_alu instid0(VALU_DEP_2)
	v_cmpx_gt_u32_e32 0x43800000, v1
	s_cbranch_execz .LBB38_713
; %bb.708:
	v_cmp_lt_u32_e32 vcc_lo, 0x3bffffff, v1
	s_mov_b32 s27, 0
                                        ; implicit-def: $vgpr1
	s_and_saveexec_b32 s28, vcc_lo
	s_delay_alu instid0(SALU_CYCLE_1)
	s_xor_b32 s28, exec_lo, s28
	s_cbranch_execz .LBB38_815
; %bb.709:
	v_bfe_u32 v1, v0, 20, 1
	s_mov_b32 s27, exec_lo
	s_delay_alu instid0(VALU_DEP_1) | instskip(NEXT) | instid1(VALU_DEP_1)
	v_add3_u32 v1, v0, v1, 0x487ffff
	v_lshrrev_b32_e32 v1, 20, v1
	s_or_saveexec_b32 s28, s28
                                        ; implicit-def: $sgpr29
	s_delay_alu instid0(SALU_CYCLE_1)
	s_xor_b32 exec_lo, exec_lo, s28
	s_cbranch_execnz .LBB38_816
.LBB38_710:
	s_or_b32 exec_lo, exec_lo, s28
	v_mov_b32_e32 v5, s29
	s_and_saveexec_b32 s28, s27
.LBB38_711:
	v_lshrrev_b32_e32 v5, 24, v0
	s_delay_alu instid0(VALU_DEP_1)
	v_and_or_b32 v5, 0x80, v5, v1
.LBB38_712:
	s_or_b32 exec_lo, exec_lo, s28
.LBB38_713:
	s_delay_alu instid0(SALU_CYCLE_1)
	s_or_b32 exec_lo, exec_lo, s1
	global_store_b8 v[2:3], v5, off
.LBB38_714:
	s_mov_b32 s1, -1
.LBB38_715:
	s_mov_b32 s27, 0
.LBB38_716:
	s_delay_alu instid0(SALU_CYCLE_1)
	s_and_b32 vcc_lo, exec_lo, s27
	s_cbranch_vccz .LBB38_757
; %bb.717:
	v_cmp_lt_i16_e32 vcc_lo, 22, v4
	s_mov_b32 s27, -1
	s_cbranch_vccz .LBB38_749
; %bb.718:
	v_cmp_gt_i16_e32 vcc_lo, 24, v4
	s_mov_b32 s1, -1
	s_cbranch_vccnz .LBB38_738
; %bb.719:
	v_cmp_lt_i16_e32 vcc_lo, 24, v4
	s_cbranch_vccz .LBB38_727
; %bb.720:
	v_and_b32_e32 v1, 0x7fffffff, v0
	v_mov_b32_e32 v5, 0x80
	s_mov_b32 s1, exec_lo
	s_delay_alu instid0(VALU_DEP_2)
	v_cmpx_gt_u32_e32 0x47800000, v1
	s_cbranch_execz .LBB38_726
; %bb.721:
	v_cmp_lt_u32_e32 vcc_lo, 0x37ffffff, v1
	s_mov_b32 s27, 0
                                        ; implicit-def: $vgpr1
	s_and_saveexec_b32 s28, vcc_lo
	s_delay_alu instid0(SALU_CYCLE_1)
	s_xor_b32 s28, exec_lo, s28
	s_cbranch_execz .LBB38_818
; %bb.722:
	v_bfe_u32 v1, v0, 21, 1
	s_mov_b32 s27, exec_lo
	s_delay_alu instid0(VALU_DEP_1) | instskip(NEXT) | instid1(VALU_DEP_1)
	v_add3_u32 v1, v0, v1, 0x88fffff
	v_lshrrev_b32_e32 v1, 21, v1
	s_or_saveexec_b32 s28, s28
                                        ; implicit-def: $sgpr29
	s_delay_alu instid0(SALU_CYCLE_1)
	s_xor_b32 exec_lo, exec_lo, s28
	s_cbranch_execnz .LBB38_819
.LBB38_723:
	s_or_b32 exec_lo, exec_lo, s28
	v_mov_b32_e32 v5, s29
	s_and_saveexec_b32 s28, s27
.LBB38_724:
	v_lshrrev_b32_e32 v5, 24, v0
	s_delay_alu instid0(VALU_DEP_1)
	v_and_or_b32 v5, 0x80, v5, v1
.LBB38_725:
	s_or_b32 exec_lo, exec_lo, s28
.LBB38_726:
	s_delay_alu instid0(SALU_CYCLE_1)
	s_or_b32 exec_lo, exec_lo, s1
	s_mov_b32 s1, 0
	global_store_b8 v[2:3], v5, off
.LBB38_727:
	s_and_b32 vcc_lo, exec_lo, s1
	s_cbranch_vccz .LBB38_737
; %bb.728:
	v_and_b32_e32 v5, 0x7fffffff, v0
	s_mov_b32 s1, exec_lo
                                        ; implicit-def: $vgpr1
	s_delay_alu instid0(VALU_DEP_1)
	v_cmpx_gt_u32_e32 0x43f00000, v5
	s_xor_b32 s1, exec_lo, s1
	s_cbranch_execz .LBB38_734
; %bb.729:
	s_mov_b32 s27, exec_lo
                                        ; implicit-def: $vgpr1
	v_cmpx_lt_u32_e32 0x3c7fffff, v5
	s_xor_b32 s27, exec_lo, s27
; %bb.730:
	v_bfe_u32 v1, v0, 20, 1
	s_delay_alu instid0(VALU_DEP_1) | instskip(NEXT) | instid1(VALU_DEP_1)
	v_add3_u32 v1, v0, v1, 0x407ffff
	v_and_b32_e32 v5, 0xff00000, v1
	v_lshrrev_b32_e32 v1, 20, v1
	s_delay_alu instid0(VALU_DEP_2) | instskip(NEXT) | instid1(VALU_DEP_2)
	v_cmp_ne_u32_e32 vcc_lo, 0x7f00000, v5
	v_cndmask_b32_e32 v1, 0x7e, v1, vcc_lo
; %bb.731:
	s_and_not1_saveexec_b32 s27, s27
; %bb.732:
	v_add_f32_e64 v1, 0x46800000, |v0|
; %bb.733:
	s_or_b32 exec_lo, exec_lo, s27
                                        ; implicit-def: $vgpr5
.LBB38_734:
	s_and_not1_saveexec_b32 s1, s1
; %bb.735:
	v_mov_b32_e32 v1, 0x7f
	v_cmp_lt_u32_e32 vcc_lo, 0x7f800000, v5
	s_delay_alu instid0(VALU_DEP_2)
	v_cndmask_b32_e32 v1, 0x7e, v1, vcc_lo
; %bb.736:
	s_or_b32 exec_lo, exec_lo, s1
	v_lshrrev_b32_e32 v5, 24, v0
	s_delay_alu instid0(VALU_DEP_1)
	v_and_or_b32 v1, 0x80, v5, v1
	global_store_b8 v[2:3], v1, off
.LBB38_737:
	s_mov_b32 s1, 0
.LBB38_738:
	s_delay_alu instid0(SALU_CYCLE_1)
	s_and_not1_b32 vcc_lo, exec_lo, s1
	s_cbranch_vccnz .LBB38_748
; %bb.739:
	v_and_b32_e32 v5, 0x7fffffff, v0
	s_mov_b32 s1, exec_lo
                                        ; implicit-def: $vgpr1
	s_delay_alu instid0(VALU_DEP_1)
	v_cmpx_gt_u32_e32 0x47800000, v5
	s_xor_b32 s1, exec_lo, s1
	s_cbranch_execz .LBB38_745
; %bb.740:
	s_mov_b32 s27, exec_lo
                                        ; implicit-def: $vgpr1
	v_cmpx_lt_u32_e32 0x387fffff, v5
	s_xor_b32 s27, exec_lo, s27
; %bb.741:
	v_bfe_u32 v1, v0, 21, 1
	s_delay_alu instid0(VALU_DEP_1) | instskip(NEXT) | instid1(VALU_DEP_1)
	v_add3_u32 v1, v0, v1, 0x80fffff
	v_lshrrev_b32_e32 v1, 21, v1
; %bb.742:
	s_and_not1_saveexec_b32 s27, s27
; %bb.743:
	v_add_f32_e64 v1, 0x43000000, |v0|
; %bb.744:
	s_or_b32 exec_lo, exec_lo, s27
                                        ; implicit-def: $vgpr5
.LBB38_745:
	s_and_not1_saveexec_b32 s1, s1
; %bb.746:
	v_mov_b32_e32 v1, 0x7f
	v_cmp_lt_u32_e32 vcc_lo, 0x7f800000, v5
	s_delay_alu instid0(VALU_DEP_2)
	v_cndmask_b32_e32 v1, 0x7c, v1, vcc_lo
; %bb.747:
	s_or_b32 exec_lo, exec_lo, s1
	v_lshrrev_b32_e32 v5, 24, v0
	s_delay_alu instid0(VALU_DEP_1)
	v_and_or_b32 v1, 0x80, v5, v1
	global_store_b8 v[2:3], v1, off
.LBB38_748:
	s_mov_b32 s27, 0
	s_mov_b32 s1, -1
.LBB38_749:
	s_and_not1_b32 vcc_lo, exec_lo, s27
	s_cbranch_vccnz .LBB38_757
; %bb.750:
	v_cmp_lt_i16_e32 vcc_lo, 14, v4
	s_mov_b32 s27, -1
	s_cbranch_vccz .LBB38_754
; %bb.751:
	v_cmp_eq_u16_e32 vcc_lo, 15, v4
	s_mov_b32 s0, -1
	s_cbranch_vccz .LBB38_753
; %bb.752:
	v_bfe_u32 v1, v0, 16, 1
	v_cmp_o_f32_e32 vcc_lo, v0, v0
	s_mov_b32 s1, -1
	s_mov_b32 s0, 0
	s_delay_alu instid0(VALU_DEP_2) | instskip(NEXT) | instid1(VALU_DEP_1)
	v_add3_u32 v1, v0, v1, 0x7fff
	v_lshrrev_b32_e32 v1, 16, v1
	s_delay_alu instid0(VALU_DEP_1)
	v_cndmask_b32_e32 v1, 0x7fc0, v1, vcc_lo
	global_store_b16 v[2:3], v1, off
.LBB38_753:
	s_mov_b32 s27, 0
.LBB38_754:
	s_delay_alu instid0(SALU_CYCLE_1)
	s_and_b32 vcc_lo, exec_lo, s27
	s_cbranch_vccz .LBB38_757
; %bb.755:
	v_cmp_eq_u16_e32 vcc_lo, 11, v4
	s_mov_b32 s0, -1
	s_cbranch_vccz .LBB38_757
; %bb.756:
	v_cmp_neq_f32_e32 vcc_lo, 0, v0
	s_mov_b32 s0, 0
	s_mov_b32 s1, -1
	v_cndmask_b32_e64 v1, 0, 1, vcc_lo
	global_store_b8 v[2:3], v1, off
.LBB38_757:
	s_mov_b32 s27, 0
.LBB38_758:
	s_delay_alu instid0(SALU_CYCLE_1)
	s_and_b32 vcc_lo, exec_lo, s27
	s_cbranch_vccz .LBB38_797
; %bb.759:
	v_cmp_gt_i16_e32 vcc_lo, 5, v4
	s_mov_b32 s1, -1
	s_cbranch_vccnz .LBB38_780
; %bb.760:
	v_cmp_gt_i16_e32 vcc_lo, 8, v4
	s_cbranch_vccnz .LBB38_770
; %bb.761:
	v_cmp_gt_i16_e32 vcc_lo, 9, v4
	s_cbranch_vccnz .LBB38_767
; %bb.762:
	v_cmp_lt_i16_e32 vcc_lo, 9, v4
	s_cbranch_vccz .LBB38_764
; %bb.763:
	v_cvt_f64_f32_e32 v[8:9], v0
	v_mov_b32_e32 v10, 0
	s_mov_b32 s1, 0
	s_delay_alu instid0(VALU_DEP_1)
	v_mov_b32_e32 v11, v10
	global_store_b128 v[2:3], v[8:11], off
.LBB38_764:
	s_and_not1_b32 vcc_lo, exec_lo, s1
	s_cbranch_vccnz .LBB38_766
; %bb.765:
	v_mov_b32_e32 v1, 0
	global_store_b64 v[2:3], v[0:1], off
.LBB38_766:
	s_mov_b32 s1, 0
.LBB38_767:
	s_delay_alu instid0(SALU_CYCLE_1)
	s_and_not1_b32 vcc_lo, exec_lo, s1
	s_cbranch_vccnz .LBB38_769
; %bb.768:
	v_cvt_f16_f32_e32 v1, v0
	s_delay_alu instid0(VALU_DEP_1)
	v_and_b32_e32 v1, 0xffff, v1
	global_store_b32 v[2:3], v1, off
.LBB38_769:
	s_mov_b32 s1, 0
.LBB38_770:
	s_delay_alu instid0(SALU_CYCLE_1)
	s_and_not1_b32 vcc_lo, exec_lo, s1
	s_cbranch_vccnz .LBB38_779
; %bb.771:
	v_cmp_gt_i16_e32 vcc_lo, 6, v4
	s_mov_b32 s1, -1
	s_cbranch_vccnz .LBB38_777
; %bb.772:
	v_cmp_lt_i16_e32 vcc_lo, 6, v4
	s_cbranch_vccz .LBB38_774
; %bb.773:
	v_cvt_f64_f32_e32 v[8:9], v0
	s_mov_b32 s1, 0
	global_store_b64 v[2:3], v[8:9], off
.LBB38_774:
	s_and_not1_b32 vcc_lo, exec_lo, s1
	s_cbranch_vccnz .LBB38_776
; %bb.775:
	global_store_b32 v[2:3], v0, off
.LBB38_776:
	s_mov_b32 s1, 0
.LBB38_777:
	s_delay_alu instid0(SALU_CYCLE_1)
	s_and_not1_b32 vcc_lo, exec_lo, s1
	s_cbranch_vccnz .LBB38_779
; %bb.778:
	v_cvt_f16_f32_e32 v1, v0
	global_store_b16 v[2:3], v1, off
.LBB38_779:
	s_mov_b32 s1, 0
.LBB38_780:
	s_delay_alu instid0(SALU_CYCLE_1)
	s_and_not1_b32 vcc_lo, exec_lo, s1
	s_cbranch_vccnz .LBB38_796
; %bb.781:
	v_cmp_gt_i16_e32 vcc_lo, 2, v4
	s_mov_b32 s1, -1
	s_cbranch_vccnz .LBB38_791
; %bb.782:
	v_cmp_gt_i16_e32 vcc_lo, 3, v4
	s_cbranch_vccnz .LBB38_788
; %bb.783:
	v_cmp_lt_i16_e32 vcc_lo, 3, v4
	s_cbranch_vccz .LBB38_785
; %bb.784:
	v_trunc_f32_e32 v1, v0
	s_mov_b32 s1, 0
	s_delay_alu instid0(VALU_DEP_1) | instskip(NEXT) | instid1(VALU_DEP_1)
	v_mul_f32_e64 v5, 0x2f800000, |v1|
	v_floor_f32_e32 v5, v5
	s_delay_alu instid0(VALU_DEP_1) | instskip(SKIP_2) | instid1(VALU_DEP_3)
	v_fma_f32 v8, 0xcf800000, v5, |v1|
	v_ashrrev_i32_e32 v1, 31, v1
	v_cvt_u32_f32_e32 v5, v5
	v_cvt_u32_f32_e32 v8, v8
	s_delay_alu instid0(VALU_DEP_2) | instskip(NEXT) | instid1(VALU_DEP_2)
	v_xor_b32_e32 v5, v5, v1
	v_xor_b32_e32 v8, v8, v1
	s_delay_alu instid0(VALU_DEP_1) | instskip(NEXT) | instid1(VALU_DEP_3)
	v_sub_co_u32 v8, vcc_lo, v8, v1
	v_sub_co_ci_u32_e32 v9, vcc_lo, v5, v1, vcc_lo
	global_store_b64 v[2:3], v[8:9], off
.LBB38_785:
	s_and_not1_b32 vcc_lo, exec_lo, s1
	s_cbranch_vccnz .LBB38_787
; %bb.786:
	v_cvt_i32_f32_e32 v1, v0
	global_store_b32 v[2:3], v1, off
.LBB38_787:
	s_mov_b32 s1, 0
.LBB38_788:
	s_delay_alu instid0(SALU_CYCLE_1)
	s_and_not1_b32 vcc_lo, exec_lo, s1
	s_cbranch_vccnz .LBB38_790
; %bb.789:
	v_cvt_i32_f32_e32 v1, v0
	global_store_b16 v[2:3], v1, off
.LBB38_790:
	s_mov_b32 s1, 0
.LBB38_791:
	s_delay_alu instid0(SALU_CYCLE_1)
	s_and_not1_b32 vcc_lo, exec_lo, s1
	s_cbranch_vccnz .LBB38_796
; %bb.792:
	v_cmp_lt_i16_e32 vcc_lo, 0, v4
	s_mov_b32 s1, -1
	s_cbranch_vccz .LBB38_794
; %bb.793:
	v_cvt_i32_f32_e32 v1, v0
	s_mov_b32 s1, 0
	global_store_b8 v[2:3], v1, off
.LBB38_794:
	s_and_not1_b32 vcc_lo, exec_lo, s1
	s_cbranch_vccnz .LBB38_796
; %bb.795:
	v_trunc_f32_e32 v0, v0
	s_delay_alu instid0(VALU_DEP_1) | instskip(NEXT) | instid1(VALU_DEP_1)
	v_mul_f32_e64 v1, 0x2f800000, |v0|
	v_floor_f32_e32 v1, v1
	s_delay_alu instid0(VALU_DEP_1) | instskip(SKIP_1) | instid1(VALU_DEP_2)
	v_fma_f32 v1, 0xcf800000, v1, |v0|
	v_ashrrev_i32_e32 v0, 31, v0
	v_cvt_u32_f32_e32 v1, v1
	s_delay_alu instid0(VALU_DEP_1) | instskip(NEXT) | instid1(VALU_DEP_1)
	v_xor_b32_e32 v1, v1, v0
	v_sub_nc_u32_e32 v0, v1, v0
	global_store_b8 v[2:3], v0, off
.LBB38_796:
	s_mov_b32 s1, -1
.LBB38_797:
	s_delay_alu instid0(SALU_CYCLE_1)
	s_and_not1_b32 vcc_lo, exec_lo, s1
	s_cbranch_vccnz .LBB38_799
; %bb.798:
	v_add_nc_u32_e32 v6, 0x80, v6
	s_mov_b32 s27, -1
	s_branch .LBB38_801
.LBB38_799:
	s_mov_b32 s27, 0
.LBB38_800:
                                        ; implicit-def: $vgpr6
.LBB38_801:
	s_and_not1_b32 s1, s23, exec_lo
	s_and_b32 s0, s0, exec_lo
	s_and_not1_b32 s28, s22, exec_lo
	s_and_b32 s29, s26, exec_lo
	s_or_b32 s26, s1, s0
	s_or_b32 s1, s28, s29
	s_or_not1_b32 s0, s27, exec_lo
.LBB38_802:
	s_or_b32 exec_lo, exec_lo, s25
	s_mov_b32 s27, 0
	s_mov_b32 s28, 0
	;; [unrolled: 1-line block ×3, first 2 shown]
                                        ; implicit-def: $vgpr0_vgpr1
                                        ; implicit-def: $vgpr5
	s_and_saveexec_b32 s25, s0
	s_cbranch_execz .LBB38_887
; %bb.803:
	v_cmp_gt_i32_e32 vcc_lo, s18, v6
	s_mov_b32 s0, 0
	s_mov_b32 s27, s1
                                        ; implicit-def: $vgpr0_vgpr1
                                        ; implicit-def: $vgpr5
	s_and_saveexec_b32 s18, vcc_lo
	s_cbranch_execz .LBB38_886
; %bb.804:
	v_mul_lo_u32 v0, v6, s3
	v_cmp_gt_i16_e32 vcc_lo, 11, v7
	s_delay_alu instid0(VALU_DEP_2) | instskip(SKIP_1) | instid1(VALU_DEP_1)
	v_ashrrev_i32_e32 v1, 31, v0
	v_add_co_u32 v0, s0, s6, v0
	v_add_co_ci_u32_e64 v1, s0, s7, v1, s0
	s_cbranch_vccnz .LBB38_811
; %bb.805:
	v_cmp_lt_i16_e32 vcc_lo, 25, v7
	s_mov_b32 s27, 0
	s_cbranch_vccz .LBB38_812
; %bb.806:
	v_cmp_lt_i16_e32 vcc_lo, 28, v7
	s_cbranch_vccz .LBB38_813
; %bb.807:
	v_cmp_lt_i16_e32 vcc_lo, 43, v7
	;; [unrolled: 3-line block ×3, first 2 shown]
	s_cbranch_vccz .LBB38_817
; %bb.809:
	v_cmp_eq_u16_e32 vcc_lo, 46, v7
	s_cbranch_vccz .LBB38_820
; %bb.810:
	global_load_b32 v2, v[0:1], off
	s_mov_b32 s0, 0
	s_mov_b32 s28, -1
	s_waitcnt vmcnt(0)
	v_lshlrev_b32_e32 v5, 16, v2
	s_branch .LBB38_822
.LBB38_811:
	s_mov_b32 s30, -1
	s_mov_b32 s27, 0
	s_mov_b32 s0, s1
                                        ; implicit-def: $vgpr5
	s_branch .LBB38_885
.LBB38_812:
	s_mov_b32 s29, -1
	s_mov_b32 s0, s1
                                        ; implicit-def: $vgpr5
	s_branch .LBB38_851
.LBB38_813:
	s_mov_b32 s29, -1
	s_mov_b32 s0, s1
                                        ; implicit-def: $vgpr5
	s_branch .LBB38_832
.LBB38_814:
	s_mov_b32 s29, -1
	s_mov_b32 s0, s1
                                        ; implicit-def: $vgpr5
	s_branch .LBB38_827
.LBB38_815:
	s_or_saveexec_b32 s28, s28
                                        ; implicit-def: $sgpr29
	s_delay_alu instid0(SALU_CYCLE_1)
	s_xor_b32 exec_lo, exec_lo, s28
	s_cbranch_execz .LBB38_710
.LBB38_816:
	v_add_f32_e64 v1, 0x46000000, |v0|
	s_and_not1_b32 s27, s27, exec_lo
	s_mov_b32 s29, 0
	s_delay_alu instid0(VALU_DEP_1) | instskip(NEXT) | instid1(VALU_DEP_1)
	v_and_b32_e32 v1, 0xff, v1
	v_cmp_ne_u32_e32 vcc_lo, 0, v1
	s_and_b32 s30, vcc_lo, exec_lo
	s_delay_alu instid0(SALU_CYCLE_1)
	s_or_b32 s27, s27, s30
	s_or_b32 exec_lo, exec_lo, s28
	v_mov_b32_e32 v5, s29
	s_and_saveexec_b32 s28, s27
	s_cbranch_execnz .LBB38_711
	s_branch .LBB38_712
.LBB38_817:
	s_mov_b32 s29, -1
	s_mov_b32 s0, s1
	s_branch .LBB38_821
.LBB38_818:
	s_or_saveexec_b32 s28, s28
                                        ; implicit-def: $sgpr29
	s_delay_alu instid0(SALU_CYCLE_1)
	s_xor_b32 exec_lo, exec_lo, s28
	s_cbranch_execz .LBB38_723
.LBB38_819:
	v_add_f32_e64 v1, 0x42800000, |v0|
	s_and_not1_b32 s27, s27, exec_lo
	s_mov_b32 s29, 0
	s_delay_alu instid0(VALU_DEP_1) | instskip(NEXT) | instid1(VALU_DEP_1)
	v_and_b32_e32 v1, 0xff, v1
	v_cmp_ne_u32_e32 vcc_lo, 0, v1
	s_and_b32 s30, vcc_lo, exec_lo
	s_delay_alu instid0(SALU_CYCLE_1)
	s_or_b32 s27, s27, s30
	s_or_b32 exec_lo, exec_lo, s28
	v_mov_b32_e32 v5, s29
	s_and_saveexec_b32 s28, s27
	s_cbranch_execnz .LBB38_724
	s_branch .LBB38_725
.LBB38_820:
	s_mov_b32 s0, -1
.LBB38_821:
                                        ; implicit-def: $vgpr5
.LBB38_822:
	s_and_b32 vcc_lo, exec_lo, s29
	s_cbranch_vccz .LBB38_826
; %bb.823:
	v_cmp_eq_u16_e32 vcc_lo, 44, v7
	s_cbranch_vccz .LBB38_825
; %bb.824:
	global_load_u8 v2, v[0:1], off
	s_mov_b32 s0, 0
	s_mov_b32 s28, -1
	s_waitcnt vmcnt(0)
	v_lshlrev_b32_e32 v3, 23, v2
	v_cmp_ne_u32_e32 vcc_lo, 0xff, v2
	s_delay_alu instid0(VALU_DEP_2) | instskip(SKIP_1) | instid1(VALU_DEP_2)
	v_cndmask_b32_e32 v3, 0x7f800001, v3, vcc_lo
	v_cmp_ne_u32_e32 vcc_lo, 0, v2
	v_cndmask_b32_e32 v5, 0x400000, v3, vcc_lo
	s_branch .LBB38_826
.LBB38_825:
	s_mov_b32 s0, -1
                                        ; implicit-def: $vgpr5
.LBB38_826:
	s_mov_b32 s29, 0
.LBB38_827:
	s_delay_alu instid0(SALU_CYCLE_1)
	s_and_b32 vcc_lo, exec_lo, s29
	s_cbranch_vccz .LBB38_831
; %bb.828:
	v_cmp_eq_u16_e32 vcc_lo, 29, v7
	s_cbranch_vccz .LBB38_830
; %bb.829:
	global_load_b64 v[2:3], v[0:1], off
	s_mov_b32 s0, 0
	s_mov_b32 s28, -1
	s_mov_b32 s29, 0
	s_waitcnt vmcnt(0)
	v_clz_i32_u32_e32 v4, v3
	s_delay_alu instid0(VALU_DEP_1) | instskip(NEXT) | instid1(VALU_DEP_1)
	v_min_u32_e32 v4, 32, v4
	v_lshlrev_b64 v[2:3], v4, v[2:3]
	s_delay_alu instid0(VALU_DEP_1) | instskip(NEXT) | instid1(VALU_DEP_1)
	v_min_u32_e32 v2, 1, v2
	v_or_b32_e32 v2, v3, v2
	v_sub_nc_u32_e32 v3, 32, v4
	s_delay_alu instid0(VALU_DEP_2) | instskip(NEXT) | instid1(VALU_DEP_1)
	v_cvt_f32_u32_e32 v2, v2
	v_ldexp_f32 v5, v2, v3
	s_branch .LBB38_832
.LBB38_830:
	s_mov_b32 s0, -1
                                        ; implicit-def: $vgpr5
.LBB38_831:
	s_mov_b32 s29, 0
.LBB38_832:
	s_delay_alu instid0(SALU_CYCLE_1)
	s_and_b32 vcc_lo, exec_lo, s29
	s_cbranch_vccz .LBB38_850
; %bb.833:
	v_cmp_gt_i16_e32 vcc_lo, 27, v7
	s_cbranch_vccnz .LBB38_836
; %bb.834:
	v_cmp_lt_i16_e32 vcc_lo, 27, v7
	s_cbranch_vccz .LBB38_837
; %bb.835:
	global_load_b32 v2, v[0:1], off
	s_mov_b32 s28, 0
	s_waitcnt vmcnt(0)
	v_cvt_f32_u32_e32 v5, v2
	s_branch .LBB38_838
.LBB38_836:
	s_mov_b32 s28, -1
                                        ; implicit-def: $vgpr5
	s_branch .LBB38_841
.LBB38_837:
	s_mov_b32 s28, -1
                                        ; implicit-def: $vgpr5
.LBB38_838:
	s_delay_alu instid0(SALU_CYCLE_1)
	s_and_not1_b32 vcc_lo, exec_lo, s28
	s_cbranch_vccnz .LBB38_840
; %bb.839:
	global_load_u16 v2, v[0:1], off
	s_waitcnt vmcnt(0)
	v_cvt_f32_u32_e32 v5, v2
.LBB38_840:
	s_mov_b32 s28, 0
.LBB38_841:
	s_delay_alu instid0(SALU_CYCLE_1)
	s_and_not1_b32 vcc_lo, exec_lo, s28
	s_cbranch_vccnz .LBB38_849
; %bb.842:
	global_load_u8 v2, v[0:1], off
	s_mov_b32 s28, 0
	s_mov_b32 s30, exec_lo
                                        ; implicit-def: $sgpr29
	s_waitcnt vmcnt(0)
	v_cmpx_lt_i16_e32 0x7f, v2
	s_xor_b32 s30, exec_lo, s30
	s_cbranch_execz .LBB38_863
; %bb.843:
	s_mov_b32 s28, -1
	s_mov_b32 s31, exec_lo
                                        ; implicit-def: $sgpr29
	v_cmpx_eq_u16_e32 0x80, v2
; %bb.844:
	s_mov_b32 s29, 0x7f800001
	s_xor_b32 s28, exec_lo, -1
; %bb.845:
	s_or_b32 exec_lo, exec_lo, s31
	s_delay_alu instid0(SALU_CYCLE_1)
	s_and_b32 s28, s28, exec_lo
	s_or_saveexec_b32 s30, s30
	v_mov_b32_e32 v5, s29
	s_xor_b32 exec_lo, exec_lo, s30
	s_cbranch_execnz .LBB38_864
.LBB38_846:
	s_or_b32 exec_lo, exec_lo, s30
	s_and_saveexec_b32 s29, s28
	s_cbranch_execz .LBB38_848
.LBB38_847:
	v_and_b32_e32 v3, 0xffff, v2
	v_lshlrev_b32_e32 v2, 24, v2
	s_delay_alu instid0(VALU_DEP_2) | instskip(NEXT) | instid1(VALU_DEP_2)
	v_and_b32_e32 v4, 7, v3
	v_and_b32_e32 v2, 0x80000000, v2
	s_delay_alu instid0(VALU_DEP_2) | instskip(NEXT) | instid1(VALU_DEP_1)
	v_clz_i32_u32_e32 v5, v4
	v_min_u32_e32 v5, 32, v5
	s_delay_alu instid0(VALU_DEP_1) | instskip(SKIP_1) | instid1(VALU_DEP_2)
	v_subrev_nc_u32_e32 v8, 28, v5
	v_sub_nc_u32_e32 v5, 29, v5
	v_lshlrev_b32_e32 v8, v8, v3
	v_bfe_u32 v3, v3, 3, 4
	s_delay_alu instid0(VALU_DEP_2) | instskip(NEXT) | instid1(VALU_DEP_2)
	v_and_b32_e32 v8, 7, v8
	v_cmp_eq_u32_e32 vcc_lo, 0, v3
	s_delay_alu instid0(VALU_DEP_2) | instskip(NEXT) | instid1(VALU_DEP_1)
	v_dual_cndmask_b32 v3, v3, v5 :: v_dual_cndmask_b32 v4, v4, v8
	v_lshl_add_u32 v3, v3, 23, 0x3b800000
	s_delay_alu instid0(VALU_DEP_2) | instskip(NEXT) | instid1(VALU_DEP_1)
	v_lshlrev_b32_e32 v4, 20, v4
	v_or3_b32 v5, v2, v3, v4
.LBB38_848:
	s_or_b32 exec_lo, exec_lo, s29
.LBB38_849:
	s_mov_b32 s28, -1
.LBB38_850:
	s_mov_b32 s29, 0
.LBB38_851:
	s_delay_alu instid0(SALU_CYCLE_1)
	s_and_b32 vcc_lo, exec_lo, s29
	s_cbranch_vccz .LBB38_884
; %bb.852:
	v_cmp_lt_i16_e32 vcc_lo, 22, v7
	s_cbranch_vccz .LBB38_862
; %bb.853:
	v_cmp_gt_i16_e32 vcc_lo, 24, v7
	s_cbranch_vccnz .LBB38_865
; %bb.854:
	v_cmp_lt_i16_e32 vcc_lo, 24, v7
	s_cbranch_vccz .LBB38_866
; %bb.855:
	global_load_u8 v2, v[0:1], off
	s_mov_b32 s29, exec_lo
                                        ; implicit-def: $sgpr28
	s_waitcnt vmcnt(0)
	v_cmpx_lt_i16_e32 0x7f, v2
	s_xor_b32 s29, exec_lo, s29
	s_cbranch_execz .LBB38_878
; %bb.856:
	s_mov_b32 s27, -1
	s_mov_b32 s30, exec_lo
                                        ; implicit-def: $sgpr28
	v_cmpx_eq_u16_e32 0x80, v2
; %bb.857:
	s_mov_b32 s28, 0x7f800001
	s_xor_b32 s27, exec_lo, -1
; %bb.858:
	s_or_b32 exec_lo, exec_lo, s30
	s_delay_alu instid0(SALU_CYCLE_1)
	s_and_b32 s27, s27, exec_lo
	s_or_saveexec_b32 s29, s29
	v_mov_b32_e32 v5, s28
	s_xor_b32 exec_lo, exec_lo, s29
	s_cbranch_execnz .LBB38_879
.LBB38_859:
	s_or_b32 exec_lo, exec_lo, s29
	s_and_saveexec_b32 s28, s27
	s_cbranch_execz .LBB38_861
.LBB38_860:
	v_and_b32_e32 v3, 0xffff, v2
	v_lshlrev_b32_e32 v2, 24, v2
	s_delay_alu instid0(VALU_DEP_2) | instskip(NEXT) | instid1(VALU_DEP_2)
	v_and_b32_e32 v4, 3, v3
	v_and_b32_e32 v2, 0x80000000, v2
	s_delay_alu instid0(VALU_DEP_2) | instskip(NEXT) | instid1(VALU_DEP_1)
	v_clz_i32_u32_e32 v5, v4
	v_min_u32_e32 v5, 32, v5
	s_delay_alu instid0(VALU_DEP_1) | instskip(SKIP_1) | instid1(VALU_DEP_2)
	v_subrev_nc_u32_e32 v8, 29, v5
	v_sub_nc_u32_e32 v5, 30, v5
	v_lshlrev_b32_e32 v8, v8, v3
	v_bfe_u32 v3, v3, 2, 5
	s_delay_alu instid0(VALU_DEP_2) | instskip(NEXT) | instid1(VALU_DEP_2)
	v_and_b32_e32 v8, 3, v8
	v_cmp_eq_u32_e32 vcc_lo, 0, v3
	s_delay_alu instid0(VALU_DEP_2) | instskip(NEXT) | instid1(VALU_DEP_1)
	v_dual_cndmask_b32 v3, v3, v5 :: v_dual_cndmask_b32 v4, v4, v8
	v_lshl_add_u32 v3, v3, 23, 0x37800000
	s_delay_alu instid0(VALU_DEP_2) | instskip(NEXT) | instid1(VALU_DEP_1)
	v_lshlrev_b32_e32 v4, 21, v4
	v_or3_b32 v5, v2, v3, v4
.LBB38_861:
	s_or_b32 exec_lo, exec_lo, s28
	s_mov_b32 s27, 0
	s_branch .LBB38_867
.LBB38_862:
	s_mov_b32 s27, -1
                                        ; implicit-def: $vgpr5
	s_branch .LBB38_873
.LBB38_863:
	s_or_saveexec_b32 s30, s30
	v_mov_b32_e32 v5, s29
	s_xor_b32 exec_lo, exec_lo, s30
	s_cbranch_execz .LBB38_846
.LBB38_864:
	v_cmp_ne_u16_e32 vcc_lo, 0, v2
	v_mov_b32_e32 v5, 0
	s_and_not1_b32 s28, s28, exec_lo
	s_and_b32 s29, vcc_lo, exec_lo
	s_delay_alu instid0(SALU_CYCLE_1)
	s_or_b32 s28, s28, s29
	s_or_b32 exec_lo, exec_lo, s30
	s_and_saveexec_b32 s29, s28
	s_cbranch_execnz .LBB38_847
	s_branch .LBB38_848
.LBB38_865:
	s_mov_b32 s27, -1
                                        ; implicit-def: $vgpr5
	s_branch .LBB38_870
.LBB38_866:
	s_mov_b32 s27, -1
                                        ; implicit-def: $vgpr5
.LBB38_867:
	s_delay_alu instid0(SALU_CYCLE_1)
	s_and_b32 vcc_lo, exec_lo, s27
	s_cbranch_vccz .LBB38_869
; %bb.868:
	global_load_u8 v2, v[0:1], off
	s_waitcnt vmcnt(0)
	v_lshlrev_b32_e32 v2, 24, v2
	s_delay_alu instid0(VALU_DEP_1) | instskip(NEXT) | instid1(VALU_DEP_1)
	v_and_b32_e32 v3, 0x7f000000, v2
	v_clz_i32_u32_e32 v4, v3
	v_add_nc_u32_e32 v8, 0x1000000, v3
	v_cmp_ne_u32_e32 vcc_lo, 0, v3
	s_delay_alu instid0(VALU_DEP_3) | instskip(NEXT) | instid1(VALU_DEP_1)
	v_min_u32_e32 v4, 32, v4
	v_sub_nc_u32_e64 v4, v4, 4 clamp
	s_delay_alu instid0(VALU_DEP_1) | instskip(SKIP_1) | instid1(VALU_DEP_2)
	v_lshlrev_b32_e32 v5, v4, v3
	v_lshlrev_b32_e32 v4, 23, v4
	v_lshrrev_b32_e32 v5, 4, v5
	s_delay_alu instid0(VALU_DEP_1) | instskip(SKIP_1) | instid1(VALU_DEP_2)
	v_sub_nc_u32_e32 v4, v5, v4
	v_ashrrev_i32_e32 v5, 8, v8
	v_add_nc_u32_e32 v4, 0x3c000000, v4
	s_delay_alu instid0(VALU_DEP_1) | instskip(NEXT) | instid1(VALU_DEP_1)
	v_and_or_b32 v4, 0x7f800000, v5, v4
	v_cndmask_b32_e32 v3, 0, v4, vcc_lo
	s_delay_alu instid0(VALU_DEP_1)
	v_and_or_b32 v5, 0x80000000, v2, v3
.LBB38_869:
	s_mov_b32 s27, 0
.LBB38_870:
	s_delay_alu instid0(SALU_CYCLE_1)
	s_and_not1_b32 vcc_lo, exec_lo, s27
	s_cbranch_vccnz .LBB38_872
; %bb.871:
	global_load_u8 v2, v[0:1], off
	s_waitcnt vmcnt(0)
	v_lshlrev_b32_e32 v3, 25, v2
	v_lshlrev_b16 v2, 8, v2
	s_delay_alu instid0(VALU_DEP_2) | instskip(NEXT) | instid1(VALU_DEP_2)
	v_lshrrev_b32_e32 v4, 4, v3
	v_and_or_b32 v5, 0x7f00, v2, 0.5
	v_bfe_i32 v2, v2, 0, 16
	s_delay_alu instid0(VALU_DEP_3) | instskip(NEXT) | instid1(VALU_DEP_1)
	v_or_b32_e32 v4, 0x70000000, v4
	v_dual_add_f32 v5, -0.5, v5 :: v_dual_mul_f32 v4, 0x7800000, v4
	v_cmp_gt_u32_e32 vcc_lo, 0x8000000, v3
	s_delay_alu instid0(VALU_DEP_2) | instskip(NEXT) | instid1(VALU_DEP_1)
	v_cndmask_b32_e32 v3, v4, v5, vcc_lo
	v_and_or_b32 v5, 0x80000000, v2, v3
.LBB38_872:
	s_mov_b32 s27, 0
	s_mov_b32 s28, -1
.LBB38_873:
	s_and_not1_b32 vcc_lo, exec_lo, s27
	s_mov_b32 s27, 0
	s_cbranch_vccnz .LBB38_884
; %bb.874:
	v_cmp_lt_i16_e32 vcc_lo, 14, v7
	s_cbranch_vccz .LBB38_877
; %bb.875:
	v_cmp_eq_u16_e32 vcc_lo, 15, v7
	s_cbranch_vccz .LBB38_880
; %bb.876:
	global_load_u16 v2, v[0:1], off
	s_mov_b32 s0, 0
	s_mov_b32 s28, -1
	s_waitcnt vmcnt(0)
	v_lshlrev_b32_e32 v5, 16, v2
	s_branch .LBB38_882
.LBB38_877:
	s_mov_b32 s27, -1
	s_branch .LBB38_881
.LBB38_878:
	s_or_saveexec_b32 s29, s29
	v_mov_b32_e32 v5, s28
	s_xor_b32 exec_lo, exec_lo, s29
	s_cbranch_execz .LBB38_859
.LBB38_879:
	v_cmp_ne_u16_e32 vcc_lo, 0, v2
	v_mov_b32_e32 v5, 0
	s_and_not1_b32 s27, s27, exec_lo
	s_and_b32 s28, vcc_lo, exec_lo
	s_delay_alu instid0(SALU_CYCLE_1)
	s_or_b32 s27, s27, s28
	s_or_b32 exec_lo, exec_lo, s29
	s_and_saveexec_b32 s28, s27
	s_cbranch_execnz .LBB38_860
	s_branch .LBB38_861
.LBB38_880:
	s_mov_b32 s0, -1
.LBB38_881:
                                        ; implicit-def: $vgpr5
.LBB38_882:
	s_and_b32 vcc_lo, exec_lo, s27
	s_mov_b32 s27, 0
	s_cbranch_vccz .LBB38_884
; %bb.883:
	v_cmp_ne_u16_e32 vcc_lo, 11, v7
	s_and_not1_b32 s0, s0, exec_lo
	s_mov_b32 s27, -1
                                        ; implicit-def: $vgpr5
	s_and_b32 s29, vcc_lo, exec_lo
	s_delay_alu instid0(SALU_CYCLE_1)
	s_or_b32 s0, s0, s29
.LBB38_884:
	s_mov_b32 s30, 0
.LBB38_885:
	s_and_b32 s29, s28, exec_lo
	s_and_b32 s28, s30, exec_lo
	s_and_not1_b32 s30, s1, exec_lo
	s_and_b32 s31, s0, exec_lo
	s_and_b32 s0, s27, exec_lo
	s_or_b32 s27, s30, s31
.LBB38_886:
	s_or_b32 exec_lo, exec_lo, s18
	s_delay_alu instid0(SALU_CYCLE_1)
	s_and_not1_b32 s1, s1, exec_lo
	s_and_b32 s18, s27, exec_lo
	s_and_b32 s29, s29, exec_lo
	;; [unrolled: 1-line block ×4, first 2 shown]
	s_or_b32 s1, s1, s18
.LBB38_887:
	s_or_b32 exec_lo, exec_lo, s25
	s_delay_alu instid0(SALU_CYCLE_1)
	s_and_not1_b32 s0, s23, exec_lo
	s_and_b32 s18, s26, exec_lo
	s_and_b32 s25, s28, exec_lo
	s_or_b32 s23, s0, s18
	s_and_not1_b32 s18, s22, exec_lo
	s_and_b32 s22, s1, exec_lo
	s_and_b32 s0, s29, exec_lo
	;; [unrolled: 1-line block ×3, first 2 shown]
	s_or_b32 s22, s18, s22
.LBB38_888:
	s_or_b32 exec_lo, exec_lo, s24
	s_delay_alu instid0(SALU_CYCLE_1)
	s_and_not1_b32 s18, s19, exec_lo
	s_and_b32 s19, s23, exec_lo
	s_and_b32 s0, s0, exec_lo
	s_or_b32 s19, s18, s19
	s_and_not1_b32 s18, s20, exec_lo
	s_and_b32 s20, s22, exec_lo
	s_and_b32 s23, s25, exec_lo
	s_and_b32 s22, s1, exec_lo
	s_or_b32 s20, s18, s20
.LBB38_889:
	s_or_b32 exec_lo, exec_lo, s21
	s_mov_b32 s18, 0
	s_and_saveexec_b32 s1, s20
	s_cbranch_execnz .LBB38_901
; %bb.890:
	s_or_b32 exec_lo, exec_lo, s1
	s_and_saveexec_b32 s1, s22
	s_delay_alu instid0(SALU_CYCLE_1)
	s_xor_b32 s1, exec_lo, s1
	s_cbranch_execz .LBB38_892
.LBB38_891:
	global_load_u8 v2, v[0:1], off
	s_or_b32 s0, s0, exec_lo
	s_waitcnt vmcnt(0)
	v_cmp_ne_u16_e32 vcc_lo, 0, v2
	v_cndmask_b32_e64 v5, 0, 1.0, vcc_lo
.LBB38_892:
	s_or_b32 exec_lo, exec_lo, s1
	s_and_saveexec_b32 s1, s23
	s_cbranch_execz .LBB38_940
; %bb.893:
	v_cmp_gt_i16_e32 vcc_lo, 5, v7
	s_cbranch_vccnz .LBB38_898
; %bb.894:
	v_cmp_gt_i16_e32 vcc_lo, 8, v7
	s_cbranch_vccnz .LBB38_899
	;; [unrolled: 3-line block ×3, first 2 shown]
; %bb.896:
	v_cmp_lt_i16_e32 vcc_lo, 9, v7
	s_cbranch_vccz .LBB38_903
; %bb.897:
	global_load_b64 v[2:3], v[0:1], off
	s_mov_b32 s20, 0
	s_waitcnt vmcnt(0)
	v_cvt_f32_f64_e32 v5, v[2:3]
	s_branch .LBB38_904
.LBB38_898:
                                        ; implicit-def: $vgpr5
	s_branch .LBB38_921
.LBB38_899:
                                        ; implicit-def: $vgpr5
	s_branch .LBB38_910
.LBB38_900:
	s_mov_b32 s20, -1
                                        ; implicit-def: $vgpr5
	s_branch .LBB38_907
.LBB38_901:
	s_cbranch_execnz .LBB38_959
; %bb.902:
	s_mov_b32 s18, exec_lo
	s_and_not1_b32 s22, s22, exec_lo
                                        ; implicit-def: $vgpr5
	s_or_b32 exec_lo, exec_lo, s1
	s_and_saveexec_b32 s1, s22
	s_delay_alu instid0(SALU_CYCLE_1)
	s_xor_b32 s1, exec_lo, s1
	s_cbranch_execnz .LBB38_891
	s_branch .LBB38_892
.LBB38_903:
	s_mov_b32 s20, -1
                                        ; implicit-def: $vgpr5
.LBB38_904:
	s_delay_alu instid0(SALU_CYCLE_1)
	s_and_not1_b32 vcc_lo, exec_lo, s20
	s_cbranch_vccnz .LBB38_906
; %bb.905:
	global_load_b32 v5, v[0:1], off
.LBB38_906:
	s_mov_b32 s20, 0
.LBB38_907:
	s_delay_alu instid0(SALU_CYCLE_1)
	s_and_not1_b32 vcc_lo, exec_lo, s20
	s_cbranch_vccnz .LBB38_909
; %bb.908:
	global_load_b32 v2, v[0:1], off
	s_waitcnt vmcnt(0)
	v_cvt_f32_f16_e32 v5, v2
.LBB38_909:
	s_cbranch_execnz .LBB38_920
.LBB38_910:
	v_cmp_gt_i16_e32 vcc_lo, 6, v7
	s_cbranch_vccnz .LBB38_913
; %bb.911:
	v_cmp_lt_i16_e32 vcc_lo, 6, v7
	s_cbranch_vccz .LBB38_914
; %bb.912:
	global_load_b64 v[2:3], v[0:1], off
	s_mov_b32 s20, 0
	s_waitcnt vmcnt(0)
	v_cvt_f32_f64_e32 v5, v[2:3]
	s_branch .LBB38_915
.LBB38_913:
	s_mov_b32 s20, -1
                                        ; implicit-def: $vgpr5
	s_branch .LBB38_918
.LBB38_914:
	s_mov_b32 s20, -1
                                        ; implicit-def: $vgpr5
.LBB38_915:
	s_delay_alu instid0(SALU_CYCLE_1)
	s_and_not1_b32 vcc_lo, exec_lo, s20
	s_cbranch_vccnz .LBB38_917
; %bb.916:
	global_load_b32 v5, v[0:1], off
.LBB38_917:
	s_mov_b32 s20, 0
.LBB38_918:
	s_delay_alu instid0(SALU_CYCLE_1)
	s_and_not1_b32 vcc_lo, exec_lo, s20
	s_cbranch_vccnz .LBB38_920
; %bb.919:
	global_load_u16 v2, v[0:1], off
	s_waitcnt vmcnt(0)
	v_cvt_f32_f16_e32 v5, v2
.LBB38_920:
	s_cbranch_execnz .LBB38_939
.LBB38_921:
	v_cmp_gt_i16_e32 vcc_lo, 2, v7
	s_cbranch_vccnz .LBB38_925
; %bb.922:
	v_cmp_gt_i16_e32 vcc_lo, 3, v7
	s_cbranch_vccnz .LBB38_926
; %bb.923:
	v_cmp_lt_i16_e32 vcc_lo, 3, v7
	s_cbranch_vccz .LBB38_927
; %bb.924:
	global_load_b64 v[2:3], v[0:1], off
	s_mov_b32 s20, 0
	s_waitcnt vmcnt(0)
	v_xor_b32_e32 v4, v2, v3
	v_cls_i32_e32 v5, v3
	s_delay_alu instid0(VALU_DEP_2) | instskip(NEXT) | instid1(VALU_DEP_2)
	v_ashrrev_i32_e32 v4, 31, v4
	v_add_nc_u32_e32 v5, -1, v5
	s_delay_alu instid0(VALU_DEP_2) | instskip(NEXT) | instid1(VALU_DEP_1)
	v_add_nc_u32_e32 v4, 32, v4
	v_min_u32_e32 v4, v5, v4
	s_delay_alu instid0(VALU_DEP_1) | instskip(NEXT) | instid1(VALU_DEP_1)
	v_lshlrev_b64 v[2:3], v4, v[2:3]
	v_min_u32_e32 v2, 1, v2
	s_delay_alu instid0(VALU_DEP_1) | instskip(SKIP_1) | instid1(VALU_DEP_2)
	v_or_b32_e32 v2, v3, v2
	v_sub_nc_u32_e32 v3, 32, v4
	v_cvt_f32_i32_e32 v2, v2
	s_delay_alu instid0(VALU_DEP_1)
	v_ldexp_f32 v5, v2, v3
	s_branch .LBB38_928
.LBB38_925:
                                        ; implicit-def: $vgpr5
	s_branch .LBB38_934
.LBB38_926:
	s_mov_b32 s20, -1
                                        ; implicit-def: $vgpr5
	s_branch .LBB38_931
.LBB38_927:
	s_mov_b32 s20, -1
                                        ; implicit-def: $vgpr5
.LBB38_928:
	s_delay_alu instid0(SALU_CYCLE_1)
	s_and_not1_b32 vcc_lo, exec_lo, s20
	s_cbranch_vccnz .LBB38_930
; %bb.929:
	global_load_b32 v2, v[0:1], off
	s_waitcnt vmcnt(0)
	v_cvt_f32_i32_e32 v5, v2
.LBB38_930:
	s_mov_b32 s20, 0
.LBB38_931:
	s_delay_alu instid0(SALU_CYCLE_1)
	s_and_not1_b32 vcc_lo, exec_lo, s20
	s_cbranch_vccnz .LBB38_933
; %bb.932:
	global_load_i16 v2, v[0:1], off
	s_waitcnt vmcnt(0)
	v_cvt_f32_i32_e32 v5, v2
.LBB38_933:
	s_cbranch_execnz .LBB38_939
.LBB38_934:
	v_cmp_lt_i16_e32 vcc_lo, 0, v7
	s_mov_b32 s20, 0
	s_cbranch_vccz .LBB38_936
; %bb.935:
	global_load_i8 v2, v[0:1], off
	s_waitcnt vmcnt(0)
	v_cvt_f32_i32_e32 v5, v2
	s_branch .LBB38_937
.LBB38_936:
	s_mov_b32 s20, -1
                                        ; implicit-def: $vgpr5
.LBB38_937:
	s_delay_alu instid0(SALU_CYCLE_1)
	s_and_not1_b32 vcc_lo, exec_lo, s20
	s_cbranch_vccnz .LBB38_939
; %bb.938:
	global_load_u8 v0, v[0:1], off
	s_waitcnt vmcnt(0)
	v_cvt_f32_ubyte0_e32 v5, v0
.LBB38_939:
	s_or_b32 s0, s0, exec_lo
.LBB38_940:
	s_or_b32 exec_lo, exec_lo, s1
	s_mov_b32 s21, 0
	s_mov_b32 s1, 0
                                        ; implicit-def: $vgpr4
                                        ; implicit-def: $vgpr2_vgpr3
                                        ; implicit-def: $vgpr0
	s_and_saveexec_b32 s20, s0
	s_cbranch_execz .LBB38_1030
; %bb.941:
	v_mov_b32_e32 v0, 0
	s_and_not1_b32 vcc_lo, exec_lo, s17
	s_cbranch_vccnz .LBB38_951
; %bb.942:
	v_cmp_lt_i64_e64 s0, s[12:13], 1
	v_mov_b32_e32 v0, 1.0
	s_delay_alu instid0(VALU_DEP_2)
	s_and_b32 vcc_lo, exec_lo, s0
	s_cbranch_vccnz .LBB38_951
; %bb.943:
	s_cmp_lg_u64 s[12:13], 1
	s_cbranch_scc0 .LBB38_948
; %bb.944:
	v_mov_b32_e32 v0, 0x7fc00000
	s_and_not1_b32 vcc_lo, exec_lo, s16
	s_cbranch_vccnz .LBB38_947
; %bb.945:
	s_waitcnt vmcnt(0)
	v_dual_add_f32 v1, v5, v5 :: v_dual_mov_b32 v2, 1.0
	s_mov_b64 s[0:1], 2
	s_delay_alu instid0(VALU_DEP_1)
	v_mov_b32_e32 v0, v1
	.p2align	6
.LBB38_946:                             ; =>This Inner Loop Header: Depth=1
	s_clz_i32_u32 s12, s1
	s_delay_alu instid0(SALU_CYCLE_1) | instskip(NEXT) | instid1(SALU_CYCLE_1)
	s_min_u32 s16, s12, 32
	s_lshl_b64 s[12:13], s[0:1], s16
	s_delay_alu instid0(SALU_CYCLE_1) | instskip(NEXT) | instid1(SALU_CYCLE_1)
	s_min_u32 s12, s12, 1
	s_or_b32 s12, s13, s12
	s_delay_alu instid0(SALU_CYCLE_1) | instskip(SKIP_3) | instid1(VALU_DEP_1)
	v_cvt_f32_u32_e32 v3, s12
	s_sub_i32 s12, 32, s16
	s_add_u32 s0, s0, 2
	s_addc_u32 s1, s1, 0
	v_ldexp_f32 v3, v3, s12
	v_cmp_lt_u64_e64 s12, s[0:1], s[10:11]
	s_delay_alu instid0(VALU_DEP_2) | instskip(NEXT) | instid1(VALU_DEP_2)
	v_dual_mul_f32 v3, v2, v3 :: v_dual_mov_b32 v2, v0
	s_and_b32 vcc_lo, exec_lo, s12
	s_delay_alu instid0(VALU_DEP_1)
	v_fma_f32 v0, v1, v0, -v3
	s_cbranch_vccnz .LBB38_946
.LBB38_947:
	s_mov_b32 s0, 0
	s_branch .LBB38_949
.LBB38_948:
	s_mov_b32 s0, -1
                                        ; implicit-def: $vgpr0
.LBB38_949:
	s_delay_alu instid0(SALU_CYCLE_1)
	s_and_not1_b32 vcc_lo, exec_lo, s0
	s_cbranch_vccnz .LBB38_951
; %bb.950:
	s_waitcnt vmcnt(0)
	s_delay_alu instid0(VALU_DEP_4)
	v_add_f32_e32 v0, v5, v5
.LBB38_951:
	v_mul_lo_u32 v1, v6, s2
	v_and_b32_e64 v4, 0xff, s9
	s_delay_alu instid0(VALU_DEP_1) | instskip(NEXT) | instid1(VALU_DEP_3)
	v_cmp_gt_i16_e32 vcc_lo, 11, v4
	v_ashrrev_i32_e32 v3, 31, v1
	s_waitcnt vmcnt(0)
	v_add_co_u32 v2, s0, s4, v1
	s_delay_alu instid0(VALU_DEP_1)
	v_add_co_ci_u32_e64 v3, s0, s5, v3, s0
	s_cbranch_vccnz .LBB38_958
; %bb.952:
	v_cmp_lt_i16_e32 vcc_lo, 25, v4
	s_mov_b32 s1, -1
	s_mov_b32 s0, s19
	s_cbranch_vccz .LBB38_988
; %bb.953:
	v_cmp_lt_i16_e32 vcc_lo, 28, v4
	s_mov_b32 s0, s19
	s_cbranch_vccz .LBB38_972
; %bb.954:
	v_cmp_lt_i16_e32 vcc_lo, 43, v4
	;; [unrolled: 4-line block ×3, first 2 shown]
	s_mov_b32 s0, s19
	s_cbranch_vccz .LBB38_962
; %bb.956:
	v_cmp_eq_u16_e32 vcc_lo, 46, v4
	s_mov_b32 s0, -1
	s_cbranch_vccz .LBB38_961
; %bb.957:
	v_bfe_u32 v1, v0, 16, 1
	v_cmp_o_f32_e32 vcc_lo, v0, v0
	s_mov_b32 s0, 0
	s_mov_b32 s1, 0
	s_delay_alu instid0(VALU_DEP_2) | instskip(NEXT) | instid1(VALU_DEP_1)
	v_add3_u32 v1, v0, v1, 0x7fff
	v_lshrrev_b32_e32 v1, 16, v1
	s_delay_alu instid0(VALU_DEP_1)
	v_cndmask_b32_e32 v1, 0x7fc0, v1, vcc_lo
	global_store_b32 v[2:3], v1, off
	s_branch .LBB38_962
.LBB38_958:
	s_mov_b32 s10, 0
	s_mov_b32 s1, -1
	s_mov_b32 s0, s19
	s_branch .LBB38_1029
.LBB38_959:
	s_trap 2
	s_sendmsg_rtn_b32 s0, sendmsg(MSG_RTN_GET_DOORBELL)
	s_mov_b32 ttmp2, m0
	s_waitcnt lgkmcnt(0)
	s_and_b32 s0, s0, 0x3ff
	s_delay_alu instid0(SALU_CYCLE_1) | instskip(NEXT) | instid1(SALU_CYCLE_1)
	s_bitset1_b32 s0, 10
	s_mov_b32 m0, s0
	s_sendmsg sendmsg(MSG_INTERRUPT)
	s_mov_b32 m0, ttmp2
.LBB38_960:                             ; =>This Inner Loop Header: Depth=1
	s_sethalt 5
	s_branch .LBB38_960
.LBB38_961:
	s_mov_b32 s1, 0
.LBB38_962:
	s_delay_alu instid0(SALU_CYCLE_1)
	s_and_b32 vcc_lo, exec_lo, s1
	s_cbranch_vccz .LBB38_967
; %bb.963:
	v_cmp_eq_u16_e32 vcc_lo, 44, v4
	s_mov_b32 s0, -1
	s_cbranch_vccz .LBB38_967
; %bb.964:
	v_bfe_u32 v5, v0, 23, 8
	v_mov_b32_e32 v1, 0xff
	s_mov_b32 s1, exec_lo
	s_delay_alu instid0(VALU_DEP_2)
	v_cmpx_ne_u32_e32 0xff, v5
; %bb.965:
	v_and_b32_e32 v1, 0x400000, v0
	v_and_or_b32 v5, 0x3fffff, v0, v5
	s_delay_alu instid0(VALU_DEP_2) | instskip(NEXT) | instid1(VALU_DEP_2)
	v_cmp_ne_u32_e32 vcc_lo, 0, v1
	v_cmp_ne_u32_e64 s0, 0, v5
	v_lshrrev_b32_e32 v1, 23, v0
	s_delay_alu instid0(VALU_DEP_2) | instskip(NEXT) | instid1(SALU_CYCLE_1)
	s_and_b32 s0, vcc_lo, s0
	v_cndmask_b32_e64 v5, 0, 1, s0
	s_delay_alu instid0(VALU_DEP_1)
	v_add_nc_u32_e32 v1, v1, v5
; %bb.966:
	s_or_b32 exec_lo, exec_lo, s1
	s_mov_b32 s0, 0
	global_store_b8 v[2:3], v1, off
.LBB38_967:
	s_mov_b32 s1, 0
.LBB38_968:
	s_delay_alu instid0(SALU_CYCLE_1)
	s_and_b32 vcc_lo, exec_lo, s1
	s_cbranch_vccz .LBB38_971
; %bb.969:
	v_cmp_eq_u16_e32 vcc_lo, 29, v4
	s_mov_b32 s0, -1
	s_cbranch_vccz .LBB38_971
; %bb.970:
	v_trunc_f32_e32 v1, v0
	s_mov_b32 s0, 0
	s_mov_b32 s1, 0
	s_delay_alu instid0(VALU_DEP_1) | instskip(NEXT) | instid1(VALU_DEP_1)
	v_mul_f32_e32 v5, 0x2f800000, v1
	v_floor_f32_e32 v5, v5
	s_delay_alu instid0(VALU_DEP_1) | instskip(SKIP_1) | instid1(VALU_DEP_2)
	v_fmamk_f32 v1, v5, 0xcf800000, v1
	v_cvt_u32_f32_e32 v6, v5
	v_cvt_u32_f32_e32 v5, v1
	global_store_b64 v[2:3], v[5:6], off
	s_branch .LBB38_972
.LBB38_971:
	s_mov_b32 s1, 0
.LBB38_972:
	s_delay_alu instid0(SALU_CYCLE_1)
	s_and_b32 vcc_lo, exec_lo, s1
	s_cbranch_vccz .LBB38_987
; %bb.973:
	v_cmp_gt_i16_e32 vcc_lo, 27, v4
	s_mov_b32 s1, -1
	s_cbranch_vccnz .LBB38_979
; %bb.974:
	v_cmp_lt_i16_e32 vcc_lo, 27, v4
	v_cvt_u32_f32_e32 v1, v0
	s_cbranch_vccz .LBB38_976
; %bb.975:
	s_mov_b32 s1, 0
	global_store_b32 v[2:3], v1, off
.LBB38_976:
	s_and_not1_b32 vcc_lo, exec_lo, s1
	s_cbranch_vccnz .LBB38_978
; %bb.977:
	global_store_b16 v[2:3], v1, off
.LBB38_978:
	s_mov_b32 s1, 0
.LBB38_979:
	s_delay_alu instid0(SALU_CYCLE_1)
	s_and_not1_b32 vcc_lo, exec_lo, s1
	s_cbranch_vccnz .LBB38_987
; %bb.980:
	v_and_b32_e32 v1, 0x7fffffff, v0
	v_mov_b32_e32 v5, 0x80
	s_mov_b32 s1, exec_lo
	s_delay_alu instid0(VALU_DEP_2)
	v_cmpx_gt_u32_e32 0x43800000, v1
	s_cbranch_execz .LBB38_986
; %bb.981:
	v_cmp_lt_u32_e32 vcc_lo, 0x3bffffff, v1
	s_mov_b32 s10, 0
                                        ; implicit-def: $vgpr1
	s_and_saveexec_b32 s11, vcc_lo
	s_delay_alu instid0(SALU_CYCLE_1)
	s_xor_b32 s11, exec_lo, s11
	s_cbranch_execz .LBB38_1231
; %bb.982:
	v_bfe_u32 v1, v0, 20, 1
	s_mov_b32 s10, exec_lo
	s_delay_alu instid0(VALU_DEP_1) | instskip(NEXT) | instid1(VALU_DEP_1)
	v_add3_u32 v1, v0, v1, 0x487ffff
	v_lshrrev_b32_e32 v1, 20, v1
	s_or_saveexec_b32 s11, s11
                                        ; implicit-def: $sgpr12
	s_delay_alu instid0(SALU_CYCLE_1)
	s_xor_b32 exec_lo, exec_lo, s11
	s_cbranch_execnz .LBB38_1232
.LBB38_983:
	s_or_b32 exec_lo, exec_lo, s11
	v_mov_b32_e32 v5, s12
	s_and_saveexec_b32 s11, s10
.LBB38_984:
	v_lshrrev_b32_e32 v5, 24, v0
	s_delay_alu instid0(VALU_DEP_1)
	v_and_or_b32 v5, 0x80, v5, v1
.LBB38_985:
	s_or_b32 exec_lo, exec_lo, s11
.LBB38_986:
	s_delay_alu instid0(SALU_CYCLE_1)
	s_or_b32 exec_lo, exec_lo, s1
	global_store_b8 v[2:3], v5, off
.LBB38_987:
	s_mov_b32 s1, 0
.LBB38_988:
	s_delay_alu instid0(SALU_CYCLE_1)
	s_and_b32 vcc_lo, exec_lo, s1
	s_mov_b32 s1, 0
	s_cbranch_vccz .LBB38_1028
; %bb.989:
	v_cmp_lt_i16_e32 vcc_lo, 22, v4
	s_mov_b32 s10, -1
	s_cbranch_vccz .LBB38_1021
; %bb.990:
	v_cmp_gt_i16_e32 vcc_lo, 24, v4
	s_cbranch_vccnz .LBB38_1010
; %bb.991:
	v_cmp_lt_i16_e32 vcc_lo, 24, v4
	s_cbranch_vccz .LBB38_999
; %bb.992:
	v_and_b32_e32 v1, 0x7fffffff, v0
	v_mov_b32_e32 v5, 0x80
	s_mov_b32 s10, exec_lo
	s_delay_alu instid0(VALU_DEP_2)
	v_cmpx_gt_u32_e32 0x47800000, v1
	s_cbranch_execz .LBB38_998
; %bb.993:
	v_cmp_lt_u32_e32 vcc_lo, 0x37ffffff, v1
	s_mov_b32 s11, 0
                                        ; implicit-def: $vgpr1
	s_and_saveexec_b32 s12, vcc_lo
	s_delay_alu instid0(SALU_CYCLE_1)
	s_xor_b32 s12, exec_lo, s12
	s_cbranch_execz .LBB38_1275
; %bb.994:
	v_bfe_u32 v1, v0, 21, 1
	s_mov_b32 s11, exec_lo
	s_delay_alu instid0(VALU_DEP_1) | instskip(NEXT) | instid1(VALU_DEP_1)
	v_add3_u32 v1, v0, v1, 0x88fffff
	v_lshrrev_b32_e32 v1, 21, v1
	s_or_saveexec_b32 s12, s12
                                        ; implicit-def: $sgpr13
	s_delay_alu instid0(SALU_CYCLE_1)
	s_xor_b32 exec_lo, exec_lo, s12
	s_cbranch_execnz .LBB38_1276
.LBB38_995:
	s_or_b32 exec_lo, exec_lo, s12
	v_mov_b32_e32 v5, s13
	s_and_saveexec_b32 s12, s11
.LBB38_996:
	v_lshrrev_b32_e32 v5, 24, v0
	s_delay_alu instid0(VALU_DEP_1)
	v_and_or_b32 v5, 0x80, v5, v1
.LBB38_997:
	s_or_b32 exec_lo, exec_lo, s12
.LBB38_998:
	s_delay_alu instid0(SALU_CYCLE_1)
	s_or_b32 exec_lo, exec_lo, s10
	s_mov_b32 s10, 0
	global_store_b8 v[2:3], v5, off
.LBB38_999:
	s_and_b32 vcc_lo, exec_lo, s10
	s_cbranch_vccz .LBB38_1009
; %bb.1000:
	v_and_b32_e32 v5, 0x7fffffff, v0
	s_mov_b32 s10, exec_lo
                                        ; implicit-def: $vgpr1
	s_delay_alu instid0(VALU_DEP_1)
	v_cmpx_gt_u32_e32 0x43f00000, v5
	s_xor_b32 s10, exec_lo, s10
	s_cbranch_execz .LBB38_1006
; %bb.1001:
	s_mov_b32 s11, exec_lo
                                        ; implicit-def: $vgpr1
	v_cmpx_lt_u32_e32 0x3c7fffff, v5
	s_xor_b32 s11, exec_lo, s11
; %bb.1002:
	v_bfe_u32 v1, v0, 20, 1
	s_delay_alu instid0(VALU_DEP_1) | instskip(NEXT) | instid1(VALU_DEP_1)
	v_add3_u32 v1, v0, v1, 0x407ffff
	v_and_b32_e32 v5, 0xff00000, v1
	v_lshrrev_b32_e32 v1, 20, v1
	s_delay_alu instid0(VALU_DEP_2) | instskip(NEXT) | instid1(VALU_DEP_2)
	v_cmp_ne_u32_e32 vcc_lo, 0x7f00000, v5
	v_cndmask_b32_e32 v1, 0x7e, v1, vcc_lo
; %bb.1003:
	s_and_not1_saveexec_b32 s11, s11
; %bb.1004:
	v_add_f32_e64 v1, 0x46800000, |v0|
; %bb.1005:
	s_or_b32 exec_lo, exec_lo, s11
                                        ; implicit-def: $vgpr5
.LBB38_1006:
	s_and_not1_saveexec_b32 s10, s10
; %bb.1007:
	v_mov_b32_e32 v1, 0x7f
	v_cmp_lt_u32_e32 vcc_lo, 0x7f800000, v5
	s_delay_alu instid0(VALU_DEP_2)
	v_cndmask_b32_e32 v1, 0x7e, v1, vcc_lo
; %bb.1008:
	s_or_b32 exec_lo, exec_lo, s10
	v_lshrrev_b32_e32 v5, 24, v0
	s_delay_alu instid0(VALU_DEP_1)
	v_and_or_b32 v1, 0x80, v5, v1
	global_store_b8 v[2:3], v1, off
.LBB38_1009:
	s_mov_b32 s10, 0
.LBB38_1010:
	s_delay_alu instid0(SALU_CYCLE_1)
	s_and_not1_b32 vcc_lo, exec_lo, s10
	s_cbranch_vccnz .LBB38_1020
; %bb.1011:
	v_and_b32_e32 v5, 0x7fffffff, v0
	s_mov_b32 s10, exec_lo
                                        ; implicit-def: $vgpr1
	s_delay_alu instid0(VALU_DEP_1)
	v_cmpx_gt_u32_e32 0x47800000, v5
	s_xor_b32 s10, exec_lo, s10
	s_cbranch_execz .LBB38_1017
; %bb.1012:
	s_mov_b32 s11, exec_lo
                                        ; implicit-def: $vgpr1
	v_cmpx_lt_u32_e32 0x387fffff, v5
	s_xor_b32 s11, exec_lo, s11
; %bb.1013:
	v_bfe_u32 v1, v0, 21, 1
	s_delay_alu instid0(VALU_DEP_1) | instskip(NEXT) | instid1(VALU_DEP_1)
	v_add3_u32 v1, v0, v1, 0x80fffff
	v_lshrrev_b32_e32 v1, 21, v1
; %bb.1014:
	s_and_not1_saveexec_b32 s11, s11
; %bb.1015:
	v_add_f32_e64 v1, 0x43000000, |v0|
; %bb.1016:
	s_or_b32 exec_lo, exec_lo, s11
                                        ; implicit-def: $vgpr5
.LBB38_1017:
	s_and_not1_saveexec_b32 s10, s10
; %bb.1018:
	v_mov_b32_e32 v1, 0x7f
	v_cmp_lt_u32_e32 vcc_lo, 0x7f800000, v5
	s_delay_alu instid0(VALU_DEP_2)
	v_cndmask_b32_e32 v1, 0x7c, v1, vcc_lo
; %bb.1019:
	s_or_b32 exec_lo, exec_lo, s10
	v_lshrrev_b32_e32 v5, 24, v0
	s_delay_alu instid0(VALU_DEP_1)
	v_and_or_b32 v1, 0x80, v5, v1
	global_store_b8 v[2:3], v1, off
.LBB38_1020:
	s_mov_b32 s10, 0
.LBB38_1021:
	s_delay_alu instid0(SALU_CYCLE_1)
	s_and_not1_b32 vcc_lo, exec_lo, s10
	s_mov_b32 s10, 0
	s_cbranch_vccnz .LBB38_1029
; %bb.1022:
	v_cmp_lt_i16_e32 vcc_lo, 14, v4
	s_mov_b32 s10, -1
	s_cbranch_vccz .LBB38_1026
; %bb.1023:
	v_cmp_eq_u16_e32 vcc_lo, 15, v4
	s_mov_b32 s0, -1
	s_cbranch_vccz .LBB38_1025
; %bb.1024:
	v_bfe_u32 v1, v0, 16, 1
	v_cmp_o_f32_e32 vcc_lo, v0, v0
	s_mov_b32 s0, 0
	s_delay_alu instid0(VALU_DEP_2) | instskip(NEXT) | instid1(VALU_DEP_1)
	v_add3_u32 v1, v0, v1, 0x7fff
	v_lshrrev_b32_e32 v1, 16, v1
	s_delay_alu instid0(VALU_DEP_1)
	v_cndmask_b32_e32 v1, 0x7fc0, v1, vcc_lo
	global_store_b16 v[2:3], v1, off
.LBB38_1025:
	s_mov_b32 s10, 0
.LBB38_1026:
	s_delay_alu instid0(SALU_CYCLE_1)
	s_and_b32 vcc_lo, exec_lo, s10
	s_mov_b32 s10, 0
	s_cbranch_vccz .LBB38_1029
; %bb.1027:
	v_cmp_ne_u16_e32 vcc_lo, 11, v4
	s_and_not1_b32 s0, s0, exec_lo
	s_mov_b32 s10, -1
	s_and_b32 s11, vcc_lo, exec_lo
	s_delay_alu instid0(SALU_CYCLE_1)
	s_or_b32 s0, s0, s11
	s_branch .LBB38_1029
.LBB38_1028:
	s_mov_b32 s10, 0
.LBB38_1029:
	s_and_not1_b32 s11, s19, exec_lo
	s_and_b32 s0, s0, exec_lo
	s_and_b32 s1, s1, exec_lo
	;; [unrolled: 1-line block ×3, first 2 shown]
	s_or_b32 s19, s11, s0
.LBB38_1030:
	s_or_b32 exec_lo, exec_lo, s20
	s_and_saveexec_b32 s0, s19
	s_cbranch_execnz .LBB38_1092
; %bb.1031:
	s_or_b32 exec_lo, exec_lo, s0
	s_and_saveexec_b32 s0, s21
	s_delay_alu instid0(SALU_CYCLE_1)
	s_xor_b32 s0, exec_lo, s0
	s_cbranch_execz .LBB38_1033
.LBB38_1032:
	v_cmp_neq_f32_e32 vcc_lo, 0, v0
	v_cndmask_b32_e64 v1, 0, 1, vcc_lo
	s_waitcnt vmcnt(0)
	global_store_b8 v[2:3], v1, off
.LBB38_1033:
	s_or_b32 exec_lo, exec_lo, s0
	s_and_saveexec_b32 s0, s1
	s_delay_alu instid0(SALU_CYCLE_1)
	s_xor_b32 s0, exec_lo, s0
	s_cbranch_execz .LBB38_1071
; %bb.1034:
	v_cmp_gt_i16_e32 vcc_lo, 5, v4
	s_mov_b32 s1, -1
	s_cbranch_vccnz .LBB38_1055
; %bb.1035:
	v_cmp_gt_i16_e32 vcc_lo, 8, v4
	s_cbranch_vccnz .LBB38_1045
; %bb.1036:
	v_cmp_gt_i16_e32 vcc_lo, 9, v4
	s_cbranch_vccnz .LBB38_1042
; %bb.1037:
	v_cmp_lt_i16_e32 vcc_lo, 9, v4
	s_cbranch_vccz .LBB38_1039
; %bb.1038:
	s_waitcnt vmcnt(0)
	v_cvt_f64_f32_e32 v[5:6], v0
	v_mov_b32_e32 v7, 0
	s_mov_b32 s1, 0
	s_delay_alu instid0(VALU_DEP_1)
	v_mov_b32_e32 v8, v7
	global_store_b128 v[2:3], v[5:8], off
.LBB38_1039:
	s_and_not1_b32 vcc_lo, exec_lo, s1
	s_cbranch_vccnz .LBB38_1041
; %bb.1040:
	v_mov_b32_e32 v1, 0
	s_waitcnt vmcnt(0)
	global_store_b64 v[2:3], v[0:1], off
.LBB38_1041:
	s_mov_b32 s1, 0
.LBB38_1042:
	s_delay_alu instid0(SALU_CYCLE_1)
	s_and_not1_b32 vcc_lo, exec_lo, s1
	s_cbranch_vccnz .LBB38_1044
; %bb.1043:
	v_cvt_f16_f32_e32 v1, v0
	s_delay_alu instid0(VALU_DEP_1)
	v_and_b32_e32 v1, 0xffff, v1
	s_waitcnt vmcnt(0)
	global_store_b32 v[2:3], v1, off
.LBB38_1044:
	s_mov_b32 s1, 0
.LBB38_1045:
	s_delay_alu instid0(SALU_CYCLE_1)
	s_and_not1_b32 vcc_lo, exec_lo, s1
	s_cbranch_vccnz .LBB38_1054
; %bb.1046:
	v_cmp_gt_i16_e32 vcc_lo, 6, v4
	s_mov_b32 s1, -1
	s_cbranch_vccnz .LBB38_1052
; %bb.1047:
	v_cmp_lt_i16_e32 vcc_lo, 6, v4
	s_cbranch_vccz .LBB38_1049
; %bb.1048:
	s_waitcnt vmcnt(0)
	v_cvt_f64_f32_e32 v[5:6], v0
	s_mov_b32 s1, 0
	global_store_b64 v[2:3], v[5:6], off
.LBB38_1049:
	s_and_not1_b32 vcc_lo, exec_lo, s1
	s_cbranch_vccnz .LBB38_1051
; %bb.1050:
	s_waitcnt vmcnt(0)
	global_store_b32 v[2:3], v0, off
.LBB38_1051:
	s_mov_b32 s1, 0
.LBB38_1052:
	s_delay_alu instid0(SALU_CYCLE_1)
	s_and_not1_b32 vcc_lo, exec_lo, s1
	s_cbranch_vccnz .LBB38_1054
; %bb.1053:
	v_cvt_f16_f32_e32 v1, v0
	s_waitcnt vmcnt(0)
	global_store_b16 v[2:3], v1, off
.LBB38_1054:
	s_mov_b32 s1, 0
.LBB38_1055:
	s_delay_alu instid0(SALU_CYCLE_1)
	s_and_not1_b32 vcc_lo, exec_lo, s1
	s_cbranch_vccnz .LBB38_1071
; %bb.1056:
	v_cmp_gt_i16_e32 vcc_lo, 2, v4
	s_mov_b32 s1, -1
	s_cbranch_vccnz .LBB38_1066
; %bb.1057:
	v_cmp_gt_i16_e32 vcc_lo, 3, v4
	s_cbranch_vccnz .LBB38_1063
; %bb.1058:
	v_cmp_lt_i16_e32 vcc_lo, 3, v4
	s_cbranch_vccz .LBB38_1060
; %bb.1059:
	v_trunc_f32_e32 v1, v0
	s_mov_b32 s1, 0
	s_waitcnt vmcnt(0)
	s_delay_alu instid0(VALU_DEP_1) | instskip(NEXT) | instid1(VALU_DEP_1)
	v_mul_f32_e64 v5, 0x2f800000, |v1|
	v_floor_f32_e32 v5, v5
	s_delay_alu instid0(VALU_DEP_1) | instskip(SKIP_2) | instid1(VALU_DEP_3)
	v_fma_f32 v6, 0xcf800000, v5, |v1|
	v_ashrrev_i32_e32 v1, 31, v1
	v_cvt_u32_f32_e32 v5, v5
	v_cvt_u32_f32_e32 v6, v6
	s_delay_alu instid0(VALU_DEP_2) | instskip(NEXT) | instid1(VALU_DEP_2)
	v_xor_b32_e32 v7, v5, v1
	v_xor_b32_e32 v6, v6, v1
	s_delay_alu instid0(VALU_DEP_1) | instskip(NEXT) | instid1(VALU_DEP_3)
	v_sub_co_u32 v5, vcc_lo, v6, v1
	v_sub_co_ci_u32_e32 v6, vcc_lo, v7, v1, vcc_lo
	global_store_b64 v[2:3], v[5:6], off
.LBB38_1060:
	s_and_not1_b32 vcc_lo, exec_lo, s1
	s_cbranch_vccnz .LBB38_1062
; %bb.1061:
	v_cvt_i32_f32_e32 v1, v0
	s_waitcnt vmcnt(0)
	global_store_b32 v[2:3], v1, off
.LBB38_1062:
	s_mov_b32 s1, 0
.LBB38_1063:
	s_delay_alu instid0(SALU_CYCLE_1)
	s_and_not1_b32 vcc_lo, exec_lo, s1
	s_cbranch_vccnz .LBB38_1065
; %bb.1064:
	v_cvt_i32_f32_e32 v1, v0
	s_waitcnt vmcnt(0)
	global_store_b16 v[2:3], v1, off
.LBB38_1065:
	s_mov_b32 s1, 0
.LBB38_1066:
	s_delay_alu instid0(SALU_CYCLE_1)
	s_and_not1_b32 vcc_lo, exec_lo, s1
	s_cbranch_vccnz .LBB38_1071
; %bb.1067:
	v_cmp_lt_i16_e32 vcc_lo, 0, v4
	s_mov_b32 s1, -1
	s_cbranch_vccz .LBB38_1069
; %bb.1068:
	v_cvt_i32_f32_e32 v1, v0
	s_mov_b32 s1, 0
	s_waitcnt vmcnt(0)
	global_store_b8 v[2:3], v1, off
.LBB38_1069:
	s_and_not1_b32 vcc_lo, exec_lo, s1
	s_cbranch_vccnz .LBB38_1071
; %bb.1070:
	v_trunc_f32_e32 v0, v0
	s_delay_alu instid0(VALU_DEP_1) | instskip(NEXT) | instid1(VALU_DEP_1)
	v_mul_f32_e64 v1, 0x2f800000, |v0|
	v_floor_f32_e32 v1, v1
	s_delay_alu instid0(VALU_DEP_1) | instskip(SKIP_1) | instid1(VALU_DEP_2)
	v_fma_f32 v1, 0xcf800000, v1, |v0|
	v_ashrrev_i32_e32 v0, 31, v0
	v_cvt_u32_f32_e32 v1, v1
	s_delay_alu instid0(VALU_DEP_1) | instskip(NEXT) | instid1(VALU_DEP_1)
	v_xor_b32_e32 v1, v1, v0
	v_sub_nc_u32_e32 v0, v1, v0
	s_waitcnt vmcnt(0)
	global_store_b8 v[2:3], v0, off
.LBB38_1071:
	s_or_b32 exec_lo, exec_lo, s0
	s_delay_alu instid0(SALU_CYCLE_1)
	s_and_b32 s16, s18, exec_lo
                                        ; implicit-def: $vgpr6
                                        ; implicit-def: $vgpr7
.LBB38_1072:
	s_or_saveexec_b32 s15, s15
	s_mov_b32 s0, 0
                                        ; implicit-def: $vgpr8
                                        ; implicit-def: $vgpr0_vgpr1
                                        ; implicit-def: $vgpr4
	s_xor_b32 exec_lo, exec_lo, s15
	s_cbranch_execz .LBB38_1641
; %bb.1073:
	s_waitcnt vmcnt(0)
	v_mul_lo_u32 v2, s3, v6
	v_cmp_gt_i16_e32 vcc_lo, 11, v7
	s_delay_alu instid0(VALU_DEP_2) | instskip(SKIP_1) | instid1(VALU_DEP_1)
	v_ashrrev_i32_e32 v1, 31, v2
	v_add_co_u32 v0, s0, s6, v2
	v_add_co_ci_u32_e64 v1, s0, s7, v1, s0
	s_cbranch_vccnz .LBB38_1080
; %bb.1074:
	v_cmp_lt_i16_e32 vcc_lo, 25, v7
	s_mov_b32 s1, 0
	s_cbranch_vccz .LBB38_1086
; %bb.1075:
	v_cmp_lt_i16_e32 vcc_lo, 28, v7
	s_cbranch_vccz .LBB38_1088
; %bb.1076:
	v_cmp_lt_i16_e32 vcc_lo, 43, v7
	;; [unrolled: 3-line block ×3, first 2 shown]
	s_cbranch_vccz .LBB38_1094
; %bb.1078:
	v_cmp_eq_u16_e32 vcc_lo, 46, v7
	s_mov_b32 s11, 0
	s_cbranch_vccz .LBB38_1134
; %bb.1079:
	global_load_b32 v3, v[0:1], off
	s_mov_b32 s0, 0
	s_mov_b32 s10, -1
	s_waitcnt vmcnt(0)
	v_lshlrev_b32_e32 v3, 16, v3
	s_branch .LBB38_1136
.LBB38_1080:
	s_mov_b32 s10, 0
	s_mov_b32 s14, s16
                                        ; implicit-def: $vgpr3
	s_cbranch_execz .LBB38_1199
; %bb.1081:
	v_cmp_gt_i16_e32 vcc_lo, 5, v7
	s_cbranch_vccnz .LBB38_1087
; %bb.1082:
	v_cmp_gt_i16_e32 vcc_lo, 8, v7
	s_cbranch_vccnz .LBB38_1089
	;; [unrolled: 3-line block ×3, first 2 shown]
; %bb.1084:
	v_cmp_lt_i16_e32 vcc_lo, 9, v7
	s_cbranch_vccz .LBB38_1095
; %bb.1085:
	global_load_b64 v[3:4], v[0:1], off
	s_mov_b32 s0, 0
	s_waitcnt vmcnt(0)
	v_cvt_f32_f64_e32 v3, v[3:4]
	s_branch .LBB38_1096
.LBB38_1086:
	s_mov_b32 s10, 0
	s_mov_b32 s0, 0
                                        ; implicit-def: $vgpr3
	s_cbranch_execnz .LBB38_1164
	s_branch .LBB38_1195
.LBB38_1087:
                                        ; implicit-def: $vgpr3
	s_branch .LBB38_1113
.LBB38_1088:
	s_mov_b32 s11, -1
	s_mov_b32 s10, 0
	s_mov_b32 s0, 0
                                        ; implicit-def: $vgpr3
	s_branch .LBB38_1145
.LBB38_1089:
                                        ; implicit-def: $vgpr3
	s_branch .LBB38_1102
.LBB38_1090:
	s_mov_b32 s10, 0
	s_mov_b32 s0, 0
                                        ; implicit-def: $vgpr3
	s_cbranch_execnz .LBB38_1141
	s_branch .LBB38_1144
.LBB38_1091:
	s_mov_b32 s0, -1
                                        ; implicit-def: $vgpr3
	s_branch .LBB38_1099
.LBB38_1092:
	s_cbranch_execnz .LBB38_1132
; %bb.1093:
	s_or_b32 s18, s18, exec_lo
	s_and_not1_b32 s21, s21, exec_lo
	s_or_b32 exec_lo, exec_lo, s0
	s_and_saveexec_b32 s0, s21
	s_delay_alu instid0(SALU_CYCLE_1)
	s_xor_b32 s0, exec_lo, s0
	s_cbranch_execnz .LBB38_1032
	s_branch .LBB38_1033
.LBB38_1094:
	s_mov_b32 s11, -1
	s_mov_b32 s10, 0
	s_mov_b32 s0, 0
	s_branch .LBB38_1135
.LBB38_1095:
	s_mov_b32 s0, -1
                                        ; implicit-def: $vgpr3
.LBB38_1096:
	s_delay_alu instid0(SALU_CYCLE_1)
	s_and_not1_b32 vcc_lo, exec_lo, s0
	s_cbranch_vccnz .LBB38_1098
; %bb.1097:
	global_load_b32 v3, v[0:1], off
.LBB38_1098:
	s_mov_b32 s0, 0
.LBB38_1099:
	s_delay_alu instid0(SALU_CYCLE_1)
	s_and_not1_b32 vcc_lo, exec_lo, s0
	s_cbranch_vccnz .LBB38_1101
; %bb.1100:
	global_load_b32 v3, v[0:1], off
	s_waitcnt vmcnt(0)
	v_cvt_f32_f16_e32 v3, v3
.LBB38_1101:
	s_cbranch_execnz .LBB38_1112
.LBB38_1102:
	v_cmp_gt_i16_e32 vcc_lo, 6, v7
	s_cbranch_vccnz .LBB38_1105
; %bb.1103:
	v_cmp_lt_i16_e32 vcc_lo, 6, v7
	s_cbranch_vccz .LBB38_1106
; %bb.1104:
	global_load_b64 v[3:4], v[0:1], off
	s_mov_b32 s0, 0
	s_waitcnt vmcnt(0)
	v_cvt_f32_f64_e32 v3, v[3:4]
	s_branch .LBB38_1107
.LBB38_1105:
	s_mov_b32 s0, -1
                                        ; implicit-def: $vgpr3
	s_branch .LBB38_1110
.LBB38_1106:
	s_mov_b32 s0, -1
                                        ; implicit-def: $vgpr3
.LBB38_1107:
	s_delay_alu instid0(SALU_CYCLE_1)
	s_and_not1_b32 vcc_lo, exec_lo, s0
	s_cbranch_vccnz .LBB38_1109
; %bb.1108:
	global_load_b32 v3, v[0:1], off
.LBB38_1109:
	s_mov_b32 s0, 0
.LBB38_1110:
	s_delay_alu instid0(SALU_CYCLE_1)
	s_and_not1_b32 vcc_lo, exec_lo, s0
	s_cbranch_vccnz .LBB38_1112
; %bb.1111:
	global_load_u16 v3, v[0:1], off
	s_waitcnt vmcnt(0)
	v_cvt_f32_f16_e32 v3, v3
.LBB38_1112:
	s_cbranch_execnz .LBB38_1131
.LBB38_1113:
	v_cmp_gt_i16_e32 vcc_lo, 2, v7
	s_cbranch_vccnz .LBB38_1117
; %bb.1114:
	v_cmp_gt_i16_e32 vcc_lo, 3, v7
	s_cbranch_vccnz .LBB38_1118
; %bb.1115:
	v_cmp_lt_i16_e32 vcc_lo, 3, v7
	s_cbranch_vccz .LBB38_1119
; %bb.1116:
	global_load_b64 v[3:4], v[0:1], off
	s_mov_b32 s0, 0
	s_waitcnt vmcnt(0)
	v_xor_b32_e32 v5, v3, v4
	v_cls_i32_e32 v8, v4
	s_delay_alu instid0(VALU_DEP_2) | instskip(NEXT) | instid1(VALU_DEP_2)
	v_ashrrev_i32_e32 v5, 31, v5
	v_add_nc_u32_e32 v8, -1, v8
	s_delay_alu instid0(VALU_DEP_2) | instskip(NEXT) | instid1(VALU_DEP_1)
	v_add_nc_u32_e32 v5, 32, v5
	v_min_u32_e32 v5, v8, v5
	s_delay_alu instid0(VALU_DEP_1) | instskip(NEXT) | instid1(VALU_DEP_1)
	v_lshlrev_b64 v[3:4], v5, v[3:4]
	v_min_u32_e32 v3, 1, v3
	s_delay_alu instid0(VALU_DEP_1) | instskip(SKIP_1) | instid1(VALU_DEP_2)
	v_or_b32_e32 v3, v4, v3
	v_sub_nc_u32_e32 v4, 32, v5
	v_cvt_f32_i32_e32 v3, v3
	s_delay_alu instid0(VALU_DEP_1)
	v_ldexp_f32 v3, v3, v4
	s_branch .LBB38_1120
.LBB38_1117:
                                        ; implicit-def: $vgpr3
	s_branch .LBB38_1126
.LBB38_1118:
	s_mov_b32 s0, -1
                                        ; implicit-def: $vgpr3
	s_branch .LBB38_1123
.LBB38_1119:
	s_mov_b32 s0, -1
                                        ; implicit-def: $vgpr3
.LBB38_1120:
	s_delay_alu instid0(SALU_CYCLE_1)
	s_and_not1_b32 vcc_lo, exec_lo, s0
	s_cbranch_vccnz .LBB38_1122
; %bb.1121:
	global_load_b32 v3, v[0:1], off
	s_waitcnt vmcnt(0)
	v_cvt_f32_i32_e32 v3, v3
.LBB38_1122:
	s_mov_b32 s0, 0
.LBB38_1123:
	s_delay_alu instid0(SALU_CYCLE_1)
	s_and_not1_b32 vcc_lo, exec_lo, s0
	s_cbranch_vccnz .LBB38_1125
; %bb.1124:
	global_load_i16 v3, v[0:1], off
	s_waitcnt vmcnt(0)
	v_cvt_f32_i32_e32 v3, v3
.LBB38_1125:
	s_cbranch_execnz .LBB38_1131
.LBB38_1126:
	v_cmp_lt_i16_e32 vcc_lo, 0, v7
	s_mov_b32 s0, 0
	s_cbranch_vccz .LBB38_1128
; %bb.1127:
	global_load_i8 v3, v[0:1], off
	s_waitcnt vmcnt(0)
	v_cvt_f32_i32_e32 v3, v3
	s_branch .LBB38_1129
.LBB38_1128:
	s_mov_b32 s0, -1
                                        ; implicit-def: $vgpr3
.LBB38_1129:
	s_delay_alu instid0(SALU_CYCLE_1)
	s_and_not1_b32 vcc_lo, exec_lo, s0
	s_cbranch_vccnz .LBB38_1131
; %bb.1130:
	global_load_u8 v0, v[0:1], off
	s_waitcnt vmcnt(0)
	v_cvt_f32_ubyte0_e32 v3, v0
.LBB38_1131:
	s_branch .LBB38_1200
.LBB38_1132:
	s_trap 2
	s_sendmsg_rtn_b32 s0, sendmsg(MSG_RTN_GET_DOORBELL)
	s_mov_b32 ttmp2, m0
	s_waitcnt lgkmcnt(0)
	s_and_b32 s0, s0, 0x3ff
	s_delay_alu instid0(SALU_CYCLE_1) | instskip(NEXT) | instid1(SALU_CYCLE_1)
	s_bitset1_b32 s0, 10
	s_mov_b32 m0, s0
	s_sendmsg sendmsg(MSG_INTERRUPT)
	s_mov_b32 m0, ttmp2
.LBB38_1133:                            ; =>This Inner Loop Header: Depth=1
	s_sethalt 5
	s_branch .LBB38_1133
.LBB38_1134:
	s_mov_b32 s0, -1
	s_mov_b32 s10, 0
.LBB38_1135:
                                        ; implicit-def: $vgpr3
.LBB38_1136:
	s_and_b32 vcc_lo, exec_lo, s11
	s_cbranch_vccz .LBB38_1139
; %bb.1137:
	v_cmp_eq_u16_e32 vcc_lo, 44, v7
	s_cbranch_vccz .LBB38_1140
; %bb.1138:
	global_load_u8 v3, v[0:1], off
	s_mov_b32 s0, 0
	s_mov_b32 s10, -1
	s_waitcnt vmcnt(0)
	v_lshlrev_b32_e32 v4, 23, v3
	v_cmp_ne_u32_e32 vcc_lo, 0xff, v3
	s_delay_alu instid0(VALU_DEP_2) | instskip(SKIP_1) | instid1(VALU_DEP_2)
	v_cndmask_b32_e32 v4, 0x7f800001, v4, vcc_lo
	v_cmp_ne_u32_e32 vcc_lo, 0, v3
	v_cndmask_b32_e32 v3, 0x400000, v4, vcc_lo
.LBB38_1139:
	s_branch .LBB38_1144
.LBB38_1140:
	s_mov_b32 s0, -1
                                        ; implicit-def: $vgpr3
	s_branch .LBB38_1144
.LBB38_1141:
	v_cmp_eq_u16_e32 vcc_lo, 29, v7
	s_cbranch_vccz .LBB38_1143
; %bb.1142:
	global_load_b64 v[3:4], v[0:1], off
	s_mov_b32 s0, 0
	s_mov_b32 s10, -1
	s_mov_b32 s11, 0
	s_waitcnt vmcnt(0)
	v_clz_i32_u32_e32 v5, v4
	s_delay_alu instid0(VALU_DEP_1) | instskip(NEXT) | instid1(VALU_DEP_1)
	v_min_u32_e32 v5, 32, v5
	v_lshlrev_b64 v[3:4], v5, v[3:4]
	s_delay_alu instid0(VALU_DEP_1) | instskip(NEXT) | instid1(VALU_DEP_1)
	v_min_u32_e32 v3, 1, v3
	v_or_b32_e32 v3, v4, v3
	v_sub_nc_u32_e32 v4, 32, v5
	s_delay_alu instid0(VALU_DEP_2) | instskip(NEXT) | instid1(VALU_DEP_1)
	v_cvt_f32_u32_e32 v3, v3
	v_ldexp_f32 v3, v3, v4
	s_branch .LBB38_1145
.LBB38_1143:
	s_mov_b32 s0, -1
                                        ; implicit-def: $vgpr3
.LBB38_1144:
	s_mov_b32 s11, 0
.LBB38_1145:
	s_delay_alu instid0(SALU_CYCLE_1)
	s_and_b32 vcc_lo, exec_lo, s11
	s_cbranch_vccz .LBB38_1163
; %bb.1146:
	v_cmp_gt_i16_e32 vcc_lo, 27, v7
	s_cbranch_vccnz .LBB38_1149
; %bb.1147:
	v_cmp_lt_i16_e32 vcc_lo, 27, v7
	s_cbranch_vccz .LBB38_1150
; %bb.1148:
	global_load_b32 v3, v[0:1], off
	s_mov_b32 s10, 0
	s_waitcnt vmcnt(0)
	v_cvt_f32_u32_e32 v3, v3
	s_branch .LBB38_1151
.LBB38_1149:
	s_mov_b32 s10, -1
                                        ; implicit-def: $vgpr3
	s_branch .LBB38_1154
.LBB38_1150:
	s_mov_b32 s10, -1
                                        ; implicit-def: $vgpr3
.LBB38_1151:
	s_delay_alu instid0(SALU_CYCLE_1)
	s_and_not1_b32 vcc_lo, exec_lo, s10
	s_cbranch_vccnz .LBB38_1153
; %bb.1152:
	global_load_u16 v3, v[0:1], off
	s_waitcnt vmcnt(0)
	v_cvt_f32_u32_e32 v3, v3
.LBB38_1153:
	s_mov_b32 s10, 0
.LBB38_1154:
	s_delay_alu instid0(SALU_CYCLE_1)
	s_and_not1_b32 vcc_lo, exec_lo, s10
	s_cbranch_vccnz .LBB38_1162
; %bb.1155:
	global_load_u8 v4, v[0:1], off
	s_mov_b32 s10, 0
	s_mov_b32 s12, exec_lo
                                        ; implicit-def: $sgpr11
	s_waitcnt vmcnt(0)
	v_cmpx_lt_i16_e32 0x7f, v4
	s_xor_b32 s12, exec_lo, s12
	s_cbranch_execz .LBB38_1175
; %bb.1156:
	s_mov_b32 s10, -1
	s_mov_b32 s13, exec_lo
                                        ; implicit-def: $sgpr11
	v_cmpx_eq_u16_e32 0x80, v4
; %bb.1157:
	s_mov_b32 s11, 0x7f800001
	s_xor_b32 s10, exec_lo, -1
; %bb.1158:
	s_or_b32 exec_lo, exec_lo, s13
	s_delay_alu instid0(SALU_CYCLE_1)
	s_and_b32 s10, s10, exec_lo
	s_or_saveexec_b32 s12, s12
	v_mov_b32_e32 v3, s11
	s_xor_b32 exec_lo, exec_lo, s12
	s_cbranch_execnz .LBB38_1176
.LBB38_1159:
	s_or_b32 exec_lo, exec_lo, s12
	s_and_saveexec_b32 s11, s10
	s_cbranch_execz .LBB38_1161
.LBB38_1160:
	v_and_b32_e32 v3, 0xffff, v4
	s_delay_alu instid0(VALU_DEP_1) | instskip(NEXT) | instid1(VALU_DEP_1)
	v_and_b32_e32 v5, 7, v3
	v_clz_i32_u32_e32 v8, v5
	s_delay_alu instid0(VALU_DEP_1) | instskip(NEXT) | instid1(VALU_DEP_1)
	v_min_u32_e32 v8, 32, v8
	v_subrev_nc_u32_e32 v9, 28, v8
	v_sub_nc_u32_e32 v8, 29, v8
	s_delay_alu instid0(VALU_DEP_2) | instskip(SKIP_1) | instid1(VALU_DEP_2)
	v_lshlrev_b32_e32 v9, v9, v3
	v_bfe_u32 v3, v3, 3, 4
	v_and_b32_e32 v9, 7, v9
	s_delay_alu instid0(VALU_DEP_2) | instskip(NEXT) | instid1(VALU_DEP_2)
	v_cmp_eq_u32_e32 vcc_lo, 0, v3
	v_dual_cndmask_b32 v5, v5, v9 :: v_dual_lshlrev_b32 v4, 24, v4
	v_cndmask_b32_e32 v3, v3, v8, vcc_lo
	s_delay_alu instid0(VALU_DEP_2) | instskip(NEXT) | instid1(VALU_DEP_3)
	v_and_b32_e32 v4, 0x80000000, v4
	v_lshlrev_b32_e32 v5, 20, v5
	s_delay_alu instid0(VALU_DEP_3) | instskip(NEXT) | instid1(VALU_DEP_1)
	v_lshl_add_u32 v3, v3, 23, 0x3b800000
	v_or3_b32 v3, v4, v3, v5
.LBB38_1161:
	s_or_b32 exec_lo, exec_lo, s11
.LBB38_1162:
	s_mov_b32 s10, -1
.LBB38_1163:
	s_branch .LBB38_1195
.LBB38_1164:
	v_cmp_lt_i16_e32 vcc_lo, 22, v7
	s_cbranch_vccz .LBB38_1174
; %bb.1165:
	v_cmp_gt_i16_e32 vcc_lo, 24, v7
	s_cbranch_vccnz .LBB38_1177
; %bb.1166:
	v_cmp_lt_i16_e32 vcc_lo, 24, v7
	s_cbranch_vccz .LBB38_1178
; %bb.1167:
	global_load_u8 v4, v[0:1], off
	s_mov_b32 s11, exec_lo
                                        ; implicit-def: $sgpr10
	s_waitcnt vmcnt(0)
	v_cmpx_lt_i16_e32 0x7f, v4
	s_xor_b32 s11, exec_lo, s11
	s_cbranch_execz .LBB38_1189
; %bb.1168:
	s_mov_b32 s1, -1
	s_mov_b32 s12, exec_lo
                                        ; implicit-def: $sgpr10
	v_cmpx_eq_u16_e32 0x80, v4
; %bb.1169:
	s_mov_b32 s10, 0x7f800001
	s_xor_b32 s1, exec_lo, -1
; %bb.1170:
	s_or_b32 exec_lo, exec_lo, s12
	s_delay_alu instid0(SALU_CYCLE_1)
	s_and_b32 s1, s1, exec_lo
	s_or_saveexec_b32 s11, s11
	v_mov_b32_e32 v3, s10
	s_xor_b32 exec_lo, exec_lo, s11
	s_cbranch_execnz .LBB38_1190
.LBB38_1171:
	s_or_b32 exec_lo, exec_lo, s11
	s_and_saveexec_b32 s10, s1
	s_cbranch_execz .LBB38_1173
.LBB38_1172:
	v_and_b32_e32 v3, 0xffff, v4
	s_delay_alu instid0(VALU_DEP_1) | instskip(NEXT) | instid1(VALU_DEP_1)
	v_and_b32_e32 v5, 3, v3
	v_clz_i32_u32_e32 v8, v5
	s_delay_alu instid0(VALU_DEP_1) | instskip(NEXT) | instid1(VALU_DEP_1)
	v_min_u32_e32 v8, 32, v8
	v_subrev_nc_u32_e32 v9, 29, v8
	v_sub_nc_u32_e32 v8, 30, v8
	s_delay_alu instid0(VALU_DEP_2) | instskip(SKIP_1) | instid1(VALU_DEP_2)
	v_lshlrev_b32_e32 v9, v9, v3
	v_bfe_u32 v3, v3, 2, 5
	v_and_b32_e32 v9, 3, v9
	s_delay_alu instid0(VALU_DEP_2) | instskip(NEXT) | instid1(VALU_DEP_2)
	v_cmp_eq_u32_e32 vcc_lo, 0, v3
	v_dual_cndmask_b32 v5, v5, v9 :: v_dual_lshlrev_b32 v4, 24, v4
	v_cndmask_b32_e32 v3, v3, v8, vcc_lo
	s_delay_alu instid0(VALU_DEP_2) | instskip(NEXT) | instid1(VALU_DEP_3)
	v_and_b32_e32 v4, 0x80000000, v4
	v_lshlrev_b32_e32 v5, 21, v5
	s_delay_alu instid0(VALU_DEP_3) | instskip(NEXT) | instid1(VALU_DEP_1)
	v_lshl_add_u32 v3, v3, 23, 0x37800000
	v_or3_b32 v3, v4, v3, v5
.LBB38_1173:
	s_or_b32 exec_lo, exec_lo, s10
	s_mov_b32 s1, 0
	s_branch .LBB38_1179
.LBB38_1174:
                                        ; implicit-def: $vgpr3
	s_mov_b32 s1, 0
	s_branch .LBB38_1185
.LBB38_1175:
	s_or_saveexec_b32 s12, s12
	v_mov_b32_e32 v3, s11
	s_xor_b32 exec_lo, exec_lo, s12
	s_cbranch_execz .LBB38_1159
.LBB38_1176:
	v_cmp_ne_u16_e32 vcc_lo, 0, v4
	v_mov_b32_e32 v3, 0
	s_and_not1_b32 s10, s10, exec_lo
	s_and_b32 s11, vcc_lo, exec_lo
	s_delay_alu instid0(SALU_CYCLE_1)
	s_or_b32 s10, s10, s11
	s_or_b32 exec_lo, exec_lo, s12
	s_and_saveexec_b32 s11, s10
	s_cbranch_execnz .LBB38_1160
	s_branch .LBB38_1161
.LBB38_1177:
	s_mov_b32 s1, -1
                                        ; implicit-def: $vgpr3
	s_branch .LBB38_1182
.LBB38_1178:
	s_mov_b32 s1, -1
                                        ; implicit-def: $vgpr3
.LBB38_1179:
	s_delay_alu instid0(SALU_CYCLE_1)
	s_and_b32 vcc_lo, exec_lo, s1
	s_cbranch_vccz .LBB38_1181
; %bb.1180:
	global_load_u8 v3, v[0:1], off
	s_waitcnt vmcnt(0)
	v_lshlrev_b32_e32 v3, 24, v3
	s_delay_alu instid0(VALU_DEP_1) | instskip(NEXT) | instid1(VALU_DEP_1)
	v_and_b32_e32 v4, 0x7f000000, v3
	v_clz_i32_u32_e32 v5, v4
	v_add_nc_u32_e32 v9, 0x1000000, v4
	v_cmp_ne_u32_e32 vcc_lo, 0, v4
	s_delay_alu instid0(VALU_DEP_3) | instskip(NEXT) | instid1(VALU_DEP_1)
	v_min_u32_e32 v5, 32, v5
	v_sub_nc_u32_e64 v5, v5, 4 clamp
	s_delay_alu instid0(VALU_DEP_1) | instskip(SKIP_1) | instid1(VALU_DEP_2)
	v_lshlrev_b32_e32 v8, v5, v4
	v_lshlrev_b32_e32 v5, 23, v5
	v_lshrrev_b32_e32 v8, 4, v8
	s_delay_alu instid0(VALU_DEP_1) | instskip(SKIP_1) | instid1(VALU_DEP_2)
	v_sub_nc_u32_e32 v5, v8, v5
	v_ashrrev_i32_e32 v8, 8, v9
	v_add_nc_u32_e32 v5, 0x3c000000, v5
	s_delay_alu instid0(VALU_DEP_1) | instskip(NEXT) | instid1(VALU_DEP_1)
	v_and_or_b32 v5, 0x7f800000, v8, v5
	v_cndmask_b32_e32 v4, 0, v5, vcc_lo
	s_delay_alu instid0(VALU_DEP_1)
	v_and_or_b32 v3, 0x80000000, v3, v4
.LBB38_1181:
	s_mov_b32 s1, 0
.LBB38_1182:
	s_delay_alu instid0(SALU_CYCLE_1)
	s_and_not1_b32 vcc_lo, exec_lo, s1
	s_cbranch_vccnz .LBB38_1184
; %bb.1183:
	global_load_u8 v3, v[0:1], off
	s_waitcnt vmcnt(0)
	v_lshlrev_b32_e32 v4, 25, v3
	v_lshlrev_b16 v3, 8, v3
	s_delay_alu instid0(VALU_DEP_2) | instskip(NEXT) | instid1(VALU_DEP_2)
	v_lshrrev_b32_e32 v5, 4, v4
	v_and_or_b32 v8, 0x7f00, v3, 0.5
	v_bfe_i32 v3, v3, 0, 16
	s_delay_alu instid0(VALU_DEP_3) | instskip(NEXT) | instid1(VALU_DEP_1)
	v_or_b32_e32 v5, 0x70000000, v5
	v_dual_add_f32 v8, -0.5, v8 :: v_dual_mul_f32 v5, 0x7800000, v5
	v_cmp_gt_u32_e32 vcc_lo, 0x8000000, v4
	s_delay_alu instid0(VALU_DEP_2) | instskip(NEXT) | instid1(VALU_DEP_1)
	v_cndmask_b32_e32 v4, v5, v8, vcc_lo
	v_and_or_b32 v3, 0x80000000, v3, v4
.LBB38_1184:
	s_mov_b32 s10, -1
	s_mov_b32 s1, 0
	s_cbranch_execnz .LBB38_1195
.LBB38_1185:
	v_cmp_lt_i16_e32 vcc_lo, 14, v7
	s_cbranch_vccz .LBB38_1188
; %bb.1186:
	v_cmp_eq_u16_e32 vcc_lo, 15, v7
	s_cbranch_vccz .LBB38_1191
; %bb.1187:
	global_load_u16 v3, v[0:1], off
	s_mov_b32 s0, 0
	s_mov_b32 s10, -1
	s_waitcnt vmcnt(0)
	v_lshlrev_b32_e32 v3, 16, v3
	s_branch .LBB38_1193
.LBB38_1188:
	s_mov_b32 s1, -1
	s_branch .LBB38_1192
.LBB38_1189:
	s_or_saveexec_b32 s11, s11
	v_mov_b32_e32 v3, s10
	s_xor_b32 exec_lo, exec_lo, s11
	s_cbranch_execz .LBB38_1171
.LBB38_1190:
	v_cmp_ne_u16_e32 vcc_lo, 0, v4
	v_mov_b32_e32 v3, 0
	s_and_not1_b32 s1, s1, exec_lo
	s_and_b32 s10, vcc_lo, exec_lo
	s_delay_alu instid0(SALU_CYCLE_1)
	s_or_b32 s1, s1, s10
	s_or_b32 exec_lo, exec_lo, s11
	s_and_saveexec_b32 s10, s1
	s_cbranch_execnz .LBB38_1172
	s_branch .LBB38_1173
.LBB38_1191:
	s_mov_b32 s0, -1
.LBB38_1192:
                                        ; implicit-def: $vgpr3
.LBB38_1193:
	s_and_b32 vcc_lo, exec_lo, s1
	s_mov_b32 s1, 0
	s_cbranch_vccz .LBB38_1195
; %bb.1194:
	v_cmp_ne_u16_e64 s0, 11, v7
	s_mov_b32 s1, -1
                                        ; implicit-def: $vgpr3
.LBB38_1195:
	s_delay_alu instid0(VALU_DEP_1)
	s_and_b32 vcc_lo, exec_lo, s0
	s_mov_b32 s14, s16
	s_cbranch_vccnz .LBB38_1229
; %bb.1196:
	s_and_not1_b32 vcc_lo, exec_lo, s1
	s_cbranch_vccnz .LBB38_1198
.LBB38_1197:
	global_load_u8 v3, v[0:1], off
	s_mov_b32 s10, -1
	s_waitcnt vmcnt(0)
	v_cmp_ne_u16_e32 vcc_lo, 0, v3
	v_cndmask_b32_e64 v3, 0, 1.0, vcc_lo
.LBB38_1198:
.LBB38_1199:
	s_and_not1_b32 vcc_lo, exec_lo, s10
	s_cbranch_vccnz .LBB38_1639
.LBB38_1200:
	v_trunc_f32_e32 v0, s8
	v_cmp_class_f32_e64 s8, s8, 0x1f8
	s_delay_alu instid0(VALU_DEP_2) | instskip(SKIP_1) | instid1(VALU_DEP_2)
	v_mul_f32_e64 v1, 0x2f800000, |v0|
	v_readfirstlane_b32 s10, v0
	v_floor_f32_e32 v1, v1
	s_delay_alu instid0(VALU_DEP_2) | instskip(NEXT) | instid1(SALU_CYCLE_1)
	s_ashr_i32 s10, s10, 31
	s_mov_b32 s11, s10
	s_delay_alu instid0(VALU_DEP_1) | instskip(SKIP_2) | instid1(VALU_DEP_3)
	v_fma_f32 v4, 0xcf800000, v1, |v0|
	v_cvt_u32_f32_e32 v1, v1
	v_mov_b32_e32 v0, 0
	v_cvt_u32_f32_e32 v4, v4
	s_delay_alu instid0(VALU_DEP_3) | instskip(NEXT) | instid1(VALU_DEP_2)
	v_readfirstlane_b32 s1, v1
	v_readfirstlane_b32 s0, v4
	s_delay_alu instid0(VALU_DEP_1) | instskip(NEXT) | instid1(SALU_CYCLE_1)
	s_xor_b64 s[0:1], s[0:1], s[10:11]
	s_sub_u32 s0, s0, s10
	s_subb_u32 s1, s1, s10
	s_and_b32 s8, s8, exec_lo
	s_cselect_b32 s11, s1, -1
	s_cselect_b32 s10, s0, -1
	s_delay_alu instid0(SALU_CYCLE_1) | instskip(SKIP_1) | instid1(VALU_DEP_2)
	v_cmp_lt_i64_e64 s0, s[10:11], 0
	v_cmp_gt_i64_e64 s8, s[10:11], -1
	s_and_b32 vcc_lo, exec_lo, s0
	s_cbranch_vccnz .LBB38_1210
; %bb.1201:
	v_cmp_lt_i64_e64 s0, s[10:11], 1
	v_mov_b32_e32 v0, 1.0
	s_delay_alu instid0(VALU_DEP_2)
	s_and_b32 vcc_lo, exec_lo, s0
	s_cbranch_vccnz .LBB38_1210
; %bb.1202:
	s_cmp_lg_u64 s[10:11], 1
	s_cbranch_scc0 .LBB38_1207
; %bb.1203:
	v_cmp_lt_u64_e64 s0, 0x80, s[10:11]
	v_mov_b32_e32 v0, 0x7fc00000
	s_delay_alu instid0(VALU_DEP_2)
	s_and_b32 vcc_lo, exec_lo, s0
	s_cbranch_vccnz .LBB38_1206
; %bb.1204:
	s_waitcnt vmcnt(0)
	v_dual_add_f32 v1, v3, v3 :: v_dual_mov_b32 v4, 1.0
	s_lshl_b64 s[0:1], s[10:11], 1
	s_mov_b64 s[12:13], 2
	s_delay_alu instid0(VALU_DEP_1)
	v_mov_b32_e32 v0, v1
	.p2align	6
.LBB38_1205:                            ; =>This Inner Loop Header: Depth=1
	s_clz_i32_u32 s17, s13
	s_delay_alu instid0(SALU_CYCLE_1) | instskip(NEXT) | instid1(SALU_CYCLE_1)
	s_min_u32 s17, s17, 32
	s_lshl_b64 s[18:19], s[12:13], s17
	s_sub_i32 s17, 32, s17
	s_min_u32 s18, s18, 1
	s_delay_alu instid0(SALU_CYCLE_1) | instskip(SKIP_3) | instid1(VALU_DEP_1)
	s_or_b32 s18, s19, s18
	s_add_u32 s12, s12, 2
	v_cvt_f32_u32_e32 v5, s18
	s_addc_u32 s13, s13, 0
	v_ldexp_f32 v5, v5, s17
	v_cmp_lt_u64_e64 s17, s[12:13], s[0:1]
	s_delay_alu instid0(VALU_DEP_2) | instskip(SKIP_1) | instid1(VALU_DEP_3)
	v_mul_f32_e32 v5, v4, v5
	v_mov_b32_e32 v4, v0
	s_and_b32 vcc_lo, exec_lo, s17
	s_delay_alu instid0(VALU_DEP_2)
	v_fma_f32 v0, v1, v0, -v5
	s_cbranch_vccnz .LBB38_1205
.LBB38_1206:
	s_mov_b32 s0, 0
	s_branch .LBB38_1208
.LBB38_1207:
	s_mov_b32 s0, -1
                                        ; implicit-def: $vgpr0
.LBB38_1208:
	s_delay_alu instid0(SALU_CYCLE_1)
	s_and_not1_b32 vcc_lo, exec_lo, s0
	s_cbranch_vccnz .LBB38_1210
; %bb.1209:
	s_waitcnt vmcnt(0)
	v_add_f32_e32 v0, v3, v3
.LBB38_1210:
	s_lshl_b32 s3, s3, 7
	v_cmp_gt_i16_e32 vcc_lo, 11, v7
	s_waitcnt vmcnt(0)
	v_add_nc_u32_e32 v3, s3, v2
	s_delay_alu instid0(VALU_DEP_1) | instskip(SKIP_1) | instid1(VALU_DEP_1)
	v_ashrrev_i32_e32 v2, 31, v3
	v_add_co_u32 v1, s0, s6, v3
	v_add_co_ci_u32_e64 v2, s0, s7, v2, s0
	s_cbranch_vccnz .LBB38_1217
; %bb.1211:
	v_cmp_lt_i16_e32 vcc_lo, 25, v7
	s_mov_b32 s1, 0
	s_cbranch_vccz .LBB38_1223
; %bb.1212:
	v_cmp_lt_i16_e32 vcc_lo, 28, v7
	s_cbranch_vccz .LBB38_1225
; %bb.1213:
	v_cmp_lt_i16_e32 vcc_lo, 43, v7
	;; [unrolled: 3-line block ×3, first 2 shown]
	s_cbranch_vccz .LBB38_1233
; %bb.1215:
	v_cmp_eq_u16_e32 vcc_lo, 46, v7
	s_mov_b32 s13, 0
	s_cbranch_vccz .LBB38_1277
; %bb.1216:
	global_load_b32 v4, v[1:2], off
	s_mov_b32 s0, 0
	s_mov_b32 s12, -1
	s_waitcnt vmcnt(0)
	v_lshlrev_b32_e32 v4, 16, v4
	s_branch .LBB38_1279
.LBB38_1217:
	s_mov_b32 s12, 0
                                        ; implicit-def: $vgpr4
	s_cbranch_execz .LBB38_1344
; %bb.1218:
	v_cmp_gt_i16_e32 vcc_lo, 5, v7
	s_cbranch_vccnz .LBB38_1224
; %bb.1219:
	v_cmp_gt_i16_e32 vcc_lo, 8, v7
	s_cbranch_vccnz .LBB38_1226
; %bb.1220:
	v_cmp_gt_i16_e32 vcc_lo, 9, v7
	s_cbranch_vccnz .LBB38_1228
; %bb.1221:
	v_cmp_lt_i16_e32 vcc_lo, 9, v7
	s_cbranch_vccz .LBB38_1234
; %bb.1222:
	global_load_b64 v[4:5], v[1:2], off
	s_mov_b32 s0, 0
	s_waitcnt vmcnt(0)
	v_cvt_f32_f64_e32 v4, v[4:5]
	s_branch .LBB38_1235
.LBB38_1223:
	s_mov_b32 s12, 0
	s_mov_b32 s0, 0
                                        ; implicit-def: $vgpr4
	s_cbranch_execnz .LBB38_1308
	s_branch .LBB38_1340
.LBB38_1224:
                                        ; implicit-def: $vgpr4
	s_branch .LBB38_1253
.LBB38_1225:
	s_mov_b32 s13, -1
	s_mov_b32 s12, 0
	s_mov_b32 s0, 0
                                        ; implicit-def: $vgpr4
	s_branch .LBB38_1289
.LBB38_1226:
	s_mov_b32 s0, -1
                                        ; implicit-def: $vgpr4
	s_branch .LBB38_1241
.LBB38_1227:
	s_mov_b32 s13, -1
	s_mov_b32 s12, 0
	s_mov_b32 s0, 0
                                        ; implicit-def: $vgpr4
	s_branch .LBB38_1284
.LBB38_1228:
	s_mov_b32 s0, -1
                                        ; implicit-def: $vgpr4
	s_branch .LBB38_1238
.LBB38_1229:
	s_cbranch_execnz .LBB38_1273
; %bb.1230:
	s_or_b32 s14, s16, exec_lo
                                        ; implicit-def: $vgpr3
	s_cbranch_execz .LBB38_1197
	s_branch .LBB38_1198
.LBB38_1231:
	s_or_saveexec_b32 s11, s11
                                        ; implicit-def: $sgpr12
	s_delay_alu instid0(SALU_CYCLE_1)
	s_xor_b32 exec_lo, exec_lo, s11
	s_cbranch_execz .LBB38_983
.LBB38_1232:
	v_add_f32_e64 v1, 0x46000000, |v0|
	s_and_not1_b32 s10, s10, exec_lo
	s_mov_b32 s12, 0
	s_delay_alu instid0(VALU_DEP_1) | instskip(NEXT) | instid1(VALU_DEP_1)
	v_and_b32_e32 v1, 0xff, v1
	v_cmp_ne_u32_e32 vcc_lo, 0, v1
	s_and_b32 s13, vcc_lo, exec_lo
	s_delay_alu instid0(SALU_CYCLE_1)
	s_or_b32 s10, s10, s13
	s_or_b32 exec_lo, exec_lo, s11
	v_mov_b32_e32 v5, s12
	s_and_saveexec_b32 s11, s10
	s_cbranch_execnz .LBB38_984
	s_branch .LBB38_985
.LBB38_1233:
	s_mov_b32 s13, -1
	s_mov_b32 s12, 0
	s_mov_b32 s0, 0
	s_branch .LBB38_1278
.LBB38_1234:
	s_mov_b32 s0, -1
                                        ; implicit-def: $vgpr4
.LBB38_1235:
	s_delay_alu instid0(SALU_CYCLE_1)
	s_and_not1_b32 vcc_lo, exec_lo, s0
	s_cbranch_vccnz .LBB38_1237
; %bb.1236:
	global_load_b32 v4, v[1:2], off
.LBB38_1237:
	s_mov_b32 s0, 0
.LBB38_1238:
	s_delay_alu instid0(SALU_CYCLE_1)
	s_and_not1_b32 vcc_lo, exec_lo, s0
	s_cbranch_vccnz .LBB38_1240
; %bb.1239:
	global_load_b32 v4, v[1:2], off
	s_waitcnt vmcnt(0)
	v_cvt_f32_f16_e32 v4, v4
.LBB38_1240:
	s_mov_b32 s0, 0
.LBB38_1241:
	s_delay_alu instid0(SALU_CYCLE_1)
	s_and_not1_b32 vcc_lo, exec_lo, s0
	s_cbranch_vccnz .LBB38_1252
; %bb.1242:
	v_cmp_gt_i16_e32 vcc_lo, 6, v7
	s_cbranch_vccnz .LBB38_1245
; %bb.1243:
	v_cmp_lt_i16_e32 vcc_lo, 6, v7
	s_cbranch_vccz .LBB38_1246
; %bb.1244:
	global_load_b64 v[4:5], v[1:2], off
	s_mov_b32 s0, 0
	s_waitcnt vmcnt(0)
	v_cvt_f32_f64_e32 v4, v[4:5]
	s_branch .LBB38_1247
.LBB38_1245:
	s_mov_b32 s0, -1
                                        ; implicit-def: $vgpr4
	s_branch .LBB38_1250
.LBB38_1246:
	s_mov_b32 s0, -1
                                        ; implicit-def: $vgpr4
.LBB38_1247:
	s_delay_alu instid0(SALU_CYCLE_1)
	s_and_not1_b32 vcc_lo, exec_lo, s0
	s_cbranch_vccnz .LBB38_1249
; %bb.1248:
	global_load_b32 v4, v[1:2], off
.LBB38_1249:
	s_mov_b32 s0, 0
.LBB38_1250:
	s_delay_alu instid0(SALU_CYCLE_1)
	s_and_not1_b32 vcc_lo, exec_lo, s0
	s_cbranch_vccnz .LBB38_1252
; %bb.1251:
	global_load_u16 v4, v[1:2], off
	s_waitcnt vmcnt(0)
	v_cvt_f32_f16_e32 v4, v4
.LBB38_1252:
	s_cbranch_execnz .LBB38_1272
.LBB38_1253:
	v_cmp_gt_i16_e32 vcc_lo, 2, v7
	s_cbranch_vccnz .LBB38_1257
; %bb.1254:
	v_cmp_gt_i16_e32 vcc_lo, 3, v7
	s_cbranch_vccnz .LBB38_1258
; %bb.1255:
	v_cmp_lt_i16_e32 vcc_lo, 3, v7
	s_cbranch_vccz .LBB38_1259
; %bb.1256:
	global_load_b64 v[4:5], v[1:2], off
	s_mov_b32 s0, 0
	s_waitcnt vmcnt(0)
	v_xor_b32_e32 v8, v4, v5
	v_cls_i32_e32 v9, v5
	s_delay_alu instid0(VALU_DEP_2) | instskip(NEXT) | instid1(VALU_DEP_2)
	v_ashrrev_i32_e32 v8, 31, v8
	v_add_nc_u32_e32 v9, -1, v9
	s_delay_alu instid0(VALU_DEP_2) | instskip(NEXT) | instid1(VALU_DEP_1)
	v_add_nc_u32_e32 v8, 32, v8
	v_min_u32_e32 v8, v9, v8
	s_delay_alu instid0(VALU_DEP_1) | instskip(NEXT) | instid1(VALU_DEP_1)
	v_lshlrev_b64 v[4:5], v8, v[4:5]
	v_min_u32_e32 v4, 1, v4
	s_delay_alu instid0(VALU_DEP_1) | instskip(SKIP_1) | instid1(VALU_DEP_2)
	v_or_b32_e32 v4, v5, v4
	v_sub_nc_u32_e32 v5, 32, v8
	v_cvt_f32_i32_e32 v4, v4
	s_delay_alu instid0(VALU_DEP_1)
	v_ldexp_f32 v4, v4, v5
	s_branch .LBB38_1260
.LBB38_1257:
	s_mov_b32 s0, -1
                                        ; implicit-def: $vgpr4
	s_branch .LBB38_1266
.LBB38_1258:
	s_mov_b32 s0, -1
                                        ; implicit-def: $vgpr4
	s_branch .LBB38_1263
.LBB38_1259:
	s_mov_b32 s0, -1
                                        ; implicit-def: $vgpr4
.LBB38_1260:
	s_delay_alu instid0(SALU_CYCLE_1)
	s_and_not1_b32 vcc_lo, exec_lo, s0
	s_cbranch_vccnz .LBB38_1262
; %bb.1261:
	global_load_b32 v4, v[1:2], off
	s_waitcnt vmcnt(0)
	v_cvt_f32_i32_e32 v4, v4
.LBB38_1262:
	s_mov_b32 s0, 0
.LBB38_1263:
	s_delay_alu instid0(SALU_CYCLE_1)
	s_and_not1_b32 vcc_lo, exec_lo, s0
	s_cbranch_vccnz .LBB38_1265
; %bb.1264:
	global_load_i16 v4, v[1:2], off
	s_waitcnt vmcnt(0)
	v_cvt_f32_i32_e32 v4, v4
.LBB38_1265:
	s_mov_b32 s0, 0
.LBB38_1266:
	s_delay_alu instid0(SALU_CYCLE_1)
	s_and_not1_b32 vcc_lo, exec_lo, s0
	s_cbranch_vccnz .LBB38_1272
; %bb.1267:
	v_cmp_lt_i16_e32 vcc_lo, 0, v7
	s_mov_b32 s0, 0
	s_cbranch_vccz .LBB38_1269
; %bb.1268:
	global_load_i8 v4, v[1:2], off
	s_waitcnt vmcnt(0)
	v_cvt_f32_i32_e32 v4, v4
	s_branch .LBB38_1270
.LBB38_1269:
	s_mov_b32 s0, -1
                                        ; implicit-def: $vgpr4
.LBB38_1270:
	s_delay_alu instid0(SALU_CYCLE_1)
	s_and_not1_b32 vcc_lo, exec_lo, s0
	s_cbranch_vccnz .LBB38_1272
; %bb.1271:
	global_load_u8 v1, v[1:2], off
	s_waitcnt vmcnt(0)
	v_cvt_f32_ubyte0_e32 v4, v1
.LBB38_1272:
	s_branch .LBB38_1345
.LBB38_1273:
	s_trap 2
	s_sendmsg_rtn_b32 s0, sendmsg(MSG_RTN_GET_DOORBELL)
	s_mov_b32 ttmp2, m0
	s_waitcnt lgkmcnt(0)
	s_and_b32 s0, s0, 0x3ff
	s_delay_alu instid0(SALU_CYCLE_1) | instskip(NEXT) | instid1(SALU_CYCLE_1)
	s_bitset1_b32 s0, 10
	s_mov_b32 m0, s0
	s_sendmsg sendmsg(MSG_INTERRUPT)
	s_mov_b32 m0, ttmp2
.LBB38_1274:                            ; =>This Inner Loop Header: Depth=1
	s_sethalt 5
	s_branch .LBB38_1274
.LBB38_1275:
	s_or_saveexec_b32 s12, s12
                                        ; implicit-def: $sgpr13
	s_delay_alu instid0(SALU_CYCLE_1)
	s_xor_b32 exec_lo, exec_lo, s12
	s_cbranch_execz .LBB38_995
.LBB38_1276:
	v_add_f32_e64 v1, 0x42800000, |v0|
	s_and_not1_b32 s11, s11, exec_lo
	s_mov_b32 s13, 0
	s_delay_alu instid0(VALU_DEP_1) | instskip(NEXT) | instid1(VALU_DEP_1)
	v_and_b32_e32 v1, 0xff, v1
	v_cmp_ne_u32_e32 vcc_lo, 0, v1
	s_and_b32 s16, vcc_lo, exec_lo
	s_delay_alu instid0(SALU_CYCLE_1)
	s_or_b32 s11, s11, s16
	s_or_b32 exec_lo, exec_lo, s12
	v_mov_b32_e32 v5, s13
	s_and_saveexec_b32 s12, s11
	s_cbranch_execnz .LBB38_996
	s_branch .LBB38_997
.LBB38_1277:
	s_mov_b32 s0, -1
	s_mov_b32 s12, 0
.LBB38_1278:
                                        ; implicit-def: $vgpr4
.LBB38_1279:
	s_and_b32 vcc_lo, exec_lo, s13
	s_cbranch_vccz .LBB38_1283
; %bb.1280:
	v_cmp_eq_u16_e32 vcc_lo, 44, v7
	s_cbranch_vccz .LBB38_1282
; %bb.1281:
	global_load_u8 v4, v[1:2], off
	s_mov_b32 s0, 0
	s_mov_b32 s12, -1
	s_waitcnt vmcnt(0)
	v_lshlrev_b32_e32 v5, 23, v4
	v_cmp_ne_u32_e32 vcc_lo, 0xff, v4
	s_delay_alu instid0(VALU_DEP_2) | instskip(SKIP_1) | instid1(VALU_DEP_2)
	v_cndmask_b32_e32 v5, 0x7f800001, v5, vcc_lo
	v_cmp_ne_u32_e32 vcc_lo, 0, v4
	v_cndmask_b32_e32 v4, 0x400000, v5, vcc_lo
	s_branch .LBB38_1283
.LBB38_1282:
	s_mov_b32 s0, -1
                                        ; implicit-def: $vgpr4
.LBB38_1283:
	s_mov_b32 s13, 0
.LBB38_1284:
	s_delay_alu instid0(SALU_CYCLE_1)
	s_and_b32 vcc_lo, exec_lo, s13
	s_cbranch_vccz .LBB38_1288
; %bb.1285:
	v_cmp_eq_u16_e32 vcc_lo, 29, v7
	s_cbranch_vccz .LBB38_1287
; %bb.1286:
	global_load_b64 v[4:5], v[1:2], off
	s_mov_b32 s0, 0
	s_mov_b32 s12, -1
	s_mov_b32 s13, 0
	s_waitcnt vmcnt(0)
	v_clz_i32_u32_e32 v8, v5
	s_delay_alu instid0(VALU_DEP_1) | instskip(NEXT) | instid1(VALU_DEP_1)
	v_min_u32_e32 v8, 32, v8
	v_lshlrev_b64 v[4:5], v8, v[4:5]
	s_delay_alu instid0(VALU_DEP_1) | instskip(NEXT) | instid1(VALU_DEP_1)
	v_min_u32_e32 v4, 1, v4
	v_or_b32_e32 v4, v5, v4
	v_sub_nc_u32_e32 v5, 32, v8
	s_delay_alu instid0(VALU_DEP_2) | instskip(NEXT) | instid1(VALU_DEP_1)
	v_cvt_f32_u32_e32 v4, v4
	v_ldexp_f32 v4, v4, v5
	s_branch .LBB38_1289
.LBB38_1287:
	s_mov_b32 s0, -1
                                        ; implicit-def: $vgpr4
.LBB38_1288:
	s_mov_b32 s13, 0
.LBB38_1289:
	s_delay_alu instid0(SALU_CYCLE_1)
	s_and_b32 vcc_lo, exec_lo, s13
	s_cbranch_vccz .LBB38_1307
; %bb.1290:
	v_cmp_gt_i16_e32 vcc_lo, 27, v7
	s_cbranch_vccnz .LBB38_1293
; %bb.1291:
	v_cmp_lt_i16_e32 vcc_lo, 27, v7
	s_cbranch_vccz .LBB38_1294
; %bb.1292:
	global_load_b32 v4, v[1:2], off
	s_mov_b32 s12, 0
	s_waitcnt vmcnt(0)
	v_cvt_f32_u32_e32 v4, v4
	s_branch .LBB38_1295
.LBB38_1293:
	s_mov_b32 s12, -1
                                        ; implicit-def: $vgpr4
	s_branch .LBB38_1298
.LBB38_1294:
	s_mov_b32 s12, -1
                                        ; implicit-def: $vgpr4
.LBB38_1295:
	s_delay_alu instid0(SALU_CYCLE_1)
	s_and_not1_b32 vcc_lo, exec_lo, s12
	s_cbranch_vccnz .LBB38_1297
; %bb.1296:
	global_load_u16 v4, v[1:2], off
	s_waitcnt vmcnt(0)
	v_cvt_f32_u32_e32 v4, v4
.LBB38_1297:
	s_mov_b32 s12, 0
.LBB38_1298:
	s_delay_alu instid0(SALU_CYCLE_1)
	s_and_not1_b32 vcc_lo, exec_lo, s12
	s_cbranch_vccnz .LBB38_1306
; %bb.1299:
	global_load_u8 v5, v[1:2], off
	s_mov_b32 s12, 0
	s_mov_b32 s17, exec_lo
                                        ; implicit-def: $sgpr13
	s_waitcnt vmcnt(0)
	v_cmpx_lt_i16_e32 0x7f, v5
	s_xor_b32 s17, exec_lo, s17
	s_cbranch_execz .LBB38_1319
; %bb.1300:
	s_mov_b32 s12, -1
	s_mov_b32 s18, exec_lo
                                        ; implicit-def: $sgpr13
	v_cmpx_eq_u16_e32 0x80, v5
; %bb.1301:
	s_mov_b32 s13, 0x7f800001
	s_xor_b32 s12, exec_lo, -1
; %bb.1302:
	s_or_b32 exec_lo, exec_lo, s18
	s_delay_alu instid0(SALU_CYCLE_1)
	s_and_b32 s12, s12, exec_lo
	s_or_saveexec_b32 s17, s17
	v_mov_b32_e32 v4, s13
	s_xor_b32 exec_lo, exec_lo, s17
	s_cbranch_execnz .LBB38_1320
.LBB38_1303:
	s_or_b32 exec_lo, exec_lo, s17
	s_and_saveexec_b32 s13, s12
	s_cbranch_execz .LBB38_1305
.LBB38_1304:
	v_and_b32_e32 v4, 0xffff, v5
	s_delay_alu instid0(VALU_DEP_1) | instskip(NEXT) | instid1(VALU_DEP_1)
	v_and_b32_e32 v8, 7, v4
	v_clz_i32_u32_e32 v9, v8
	s_delay_alu instid0(VALU_DEP_1) | instskip(NEXT) | instid1(VALU_DEP_1)
	v_min_u32_e32 v9, 32, v9
	v_subrev_nc_u32_e32 v10, 28, v9
	v_sub_nc_u32_e32 v9, 29, v9
	s_delay_alu instid0(VALU_DEP_2) | instskip(SKIP_1) | instid1(VALU_DEP_2)
	v_lshlrev_b32_e32 v10, v10, v4
	v_bfe_u32 v4, v4, 3, 4
	v_and_b32_e32 v10, 7, v10
	s_delay_alu instid0(VALU_DEP_2) | instskip(NEXT) | instid1(VALU_DEP_2)
	v_cmp_eq_u32_e32 vcc_lo, 0, v4
	v_dual_cndmask_b32 v8, v8, v10 :: v_dual_lshlrev_b32 v5, 24, v5
	v_cndmask_b32_e32 v4, v4, v9, vcc_lo
	s_delay_alu instid0(VALU_DEP_2) | instskip(NEXT) | instid1(VALU_DEP_3)
	v_and_b32_e32 v5, 0x80000000, v5
	v_lshlrev_b32_e32 v8, 20, v8
	s_delay_alu instid0(VALU_DEP_3) | instskip(NEXT) | instid1(VALU_DEP_1)
	v_lshl_add_u32 v4, v4, 23, 0x3b800000
	v_or3_b32 v4, v5, v4, v8
.LBB38_1305:
	s_or_b32 exec_lo, exec_lo, s13
.LBB38_1306:
	s_mov_b32 s12, -1
.LBB38_1307:
	s_branch .LBB38_1340
.LBB38_1308:
	v_cmp_lt_i16_e32 vcc_lo, 22, v7
	s_cbranch_vccz .LBB38_1318
; %bb.1309:
	v_cmp_gt_i16_e32 vcc_lo, 24, v7
	s_cbranch_vccnz .LBB38_1321
; %bb.1310:
	v_cmp_lt_i16_e32 vcc_lo, 24, v7
	s_cbranch_vccz .LBB38_1322
; %bb.1311:
	global_load_u8 v5, v[1:2], off
	s_mov_b32 s13, exec_lo
                                        ; implicit-def: $sgpr12
	s_waitcnt vmcnt(0)
	v_cmpx_lt_i16_e32 0x7f, v5
	s_xor_b32 s13, exec_lo, s13
	s_cbranch_execz .LBB38_1334
; %bb.1312:
	s_mov_b32 s1, -1
	s_mov_b32 s17, exec_lo
                                        ; implicit-def: $sgpr12
	v_cmpx_eq_u16_e32 0x80, v5
; %bb.1313:
	s_mov_b32 s12, 0x7f800001
	s_xor_b32 s1, exec_lo, -1
; %bb.1314:
	s_or_b32 exec_lo, exec_lo, s17
	s_delay_alu instid0(SALU_CYCLE_1)
	s_and_b32 s1, s1, exec_lo
	s_or_saveexec_b32 s13, s13
	v_mov_b32_e32 v4, s12
	s_xor_b32 exec_lo, exec_lo, s13
	s_cbranch_execnz .LBB38_1335
.LBB38_1315:
	s_or_b32 exec_lo, exec_lo, s13
	s_and_saveexec_b32 s12, s1
	s_cbranch_execz .LBB38_1317
.LBB38_1316:
	v_and_b32_e32 v4, 0xffff, v5
	s_delay_alu instid0(VALU_DEP_1) | instskip(NEXT) | instid1(VALU_DEP_1)
	v_and_b32_e32 v8, 3, v4
	v_clz_i32_u32_e32 v9, v8
	s_delay_alu instid0(VALU_DEP_1) | instskip(NEXT) | instid1(VALU_DEP_1)
	v_min_u32_e32 v9, 32, v9
	v_subrev_nc_u32_e32 v10, 29, v9
	v_sub_nc_u32_e32 v9, 30, v9
	s_delay_alu instid0(VALU_DEP_2) | instskip(SKIP_1) | instid1(VALU_DEP_2)
	v_lshlrev_b32_e32 v10, v10, v4
	v_bfe_u32 v4, v4, 2, 5
	v_and_b32_e32 v10, 3, v10
	s_delay_alu instid0(VALU_DEP_2) | instskip(NEXT) | instid1(VALU_DEP_2)
	v_cmp_eq_u32_e32 vcc_lo, 0, v4
	v_dual_cndmask_b32 v8, v8, v10 :: v_dual_lshlrev_b32 v5, 24, v5
	v_cndmask_b32_e32 v4, v4, v9, vcc_lo
	s_delay_alu instid0(VALU_DEP_2) | instskip(NEXT) | instid1(VALU_DEP_3)
	v_and_b32_e32 v5, 0x80000000, v5
	v_lshlrev_b32_e32 v8, 21, v8
	s_delay_alu instid0(VALU_DEP_3) | instskip(NEXT) | instid1(VALU_DEP_1)
	v_lshl_add_u32 v4, v4, 23, 0x37800000
	v_or3_b32 v4, v5, v4, v8
.LBB38_1317:
	s_or_b32 exec_lo, exec_lo, s12
	s_mov_b32 s1, 0
	s_branch .LBB38_1323
.LBB38_1318:
	s_mov_b32 s1, -1
                                        ; implicit-def: $vgpr4
	s_branch .LBB38_1329
.LBB38_1319:
	s_or_saveexec_b32 s17, s17
	v_mov_b32_e32 v4, s13
	s_xor_b32 exec_lo, exec_lo, s17
	s_cbranch_execz .LBB38_1303
.LBB38_1320:
	v_cmp_ne_u16_e32 vcc_lo, 0, v5
	v_mov_b32_e32 v4, 0
	s_and_not1_b32 s12, s12, exec_lo
	s_and_b32 s13, vcc_lo, exec_lo
	s_delay_alu instid0(SALU_CYCLE_1)
	s_or_b32 s12, s12, s13
	s_or_b32 exec_lo, exec_lo, s17
	s_and_saveexec_b32 s13, s12
	s_cbranch_execnz .LBB38_1304
	s_branch .LBB38_1305
.LBB38_1321:
	s_mov_b32 s1, -1
                                        ; implicit-def: $vgpr4
	s_branch .LBB38_1326
.LBB38_1322:
	s_mov_b32 s1, -1
                                        ; implicit-def: $vgpr4
.LBB38_1323:
	s_delay_alu instid0(SALU_CYCLE_1)
	s_and_b32 vcc_lo, exec_lo, s1
	s_cbranch_vccz .LBB38_1325
; %bb.1324:
	global_load_u8 v4, v[1:2], off
	s_waitcnt vmcnt(0)
	v_lshlrev_b32_e32 v4, 24, v4
	s_delay_alu instid0(VALU_DEP_1) | instskip(NEXT) | instid1(VALU_DEP_1)
	v_and_b32_e32 v5, 0x7f000000, v4
	v_clz_i32_u32_e32 v8, v5
	v_cmp_ne_u32_e32 vcc_lo, 0, v5
	v_add_nc_u32_e32 v10, 0x1000000, v5
	s_delay_alu instid0(VALU_DEP_3) | instskip(NEXT) | instid1(VALU_DEP_1)
	v_min_u32_e32 v8, 32, v8
	v_sub_nc_u32_e64 v8, v8, 4 clamp
	s_delay_alu instid0(VALU_DEP_1) | instskip(SKIP_1) | instid1(VALU_DEP_2)
	v_lshlrev_b32_e32 v9, v8, v5
	v_lshlrev_b32_e32 v8, 23, v8
	v_lshrrev_b32_e32 v9, 4, v9
	s_delay_alu instid0(VALU_DEP_1) | instskip(SKIP_1) | instid1(VALU_DEP_2)
	v_sub_nc_u32_e32 v8, v9, v8
	v_ashrrev_i32_e32 v9, 8, v10
	v_add_nc_u32_e32 v8, 0x3c000000, v8
	s_delay_alu instid0(VALU_DEP_1) | instskip(NEXT) | instid1(VALU_DEP_1)
	v_and_or_b32 v8, 0x7f800000, v9, v8
	v_cndmask_b32_e32 v5, 0, v8, vcc_lo
	s_delay_alu instid0(VALU_DEP_1)
	v_and_or_b32 v4, 0x80000000, v4, v5
.LBB38_1325:
	s_mov_b32 s1, 0
.LBB38_1326:
	s_delay_alu instid0(SALU_CYCLE_1)
	s_and_not1_b32 vcc_lo, exec_lo, s1
	s_cbranch_vccnz .LBB38_1328
; %bb.1327:
	global_load_u8 v4, v[1:2], off
	s_waitcnt vmcnt(0)
	v_lshlrev_b32_e32 v5, 25, v4
	v_lshlrev_b16 v4, 8, v4
	s_delay_alu instid0(VALU_DEP_2) | instskip(NEXT) | instid1(VALU_DEP_2)
	v_lshrrev_b32_e32 v8, 4, v5
	v_and_or_b32 v9, 0x7f00, v4, 0.5
	v_cmp_gt_u32_e32 vcc_lo, 0x8000000, v5
	v_bfe_i32 v4, v4, 0, 16
	s_delay_alu instid0(VALU_DEP_4) | instskip(NEXT) | instid1(VALU_DEP_1)
	v_or_b32_e32 v8, 0x70000000, v8
	v_dual_add_f32 v9, -0.5, v9 :: v_dual_mul_f32 v8, 0x7800000, v8
	s_delay_alu instid0(VALU_DEP_1) | instskip(NEXT) | instid1(VALU_DEP_1)
	v_cndmask_b32_e32 v5, v8, v9, vcc_lo
	v_and_or_b32 v4, 0x80000000, v4, v5
.LBB38_1328:
	s_mov_b32 s1, 0
	s_mov_b32 s12, -1
.LBB38_1329:
	s_and_not1_b32 vcc_lo, exec_lo, s1
	s_mov_b32 s1, 0
	s_cbranch_vccnz .LBB38_1340
; %bb.1330:
	v_cmp_lt_i16_e32 vcc_lo, 14, v7
	s_cbranch_vccz .LBB38_1333
; %bb.1331:
	v_cmp_eq_u16_e32 vcc_lo, 15, v7
	s_cbranch_vccz .LBB38_1336
; %bb.1332:
	global_load_u16 v4, v[1:2], off
	s_mov_b32 s0, 0
	s_mov_b32 s12, -1
	s_waitcnt vmcnt(0)
	v_lshlrev_b32_e32 v4, 16, v4
	s_branch .LBB38_1338
.LBB38_1333:
	s_mov_b32 s1, -1
	s_branch .LBB38_1337
.LBB38_1334:
	s_or_saveexec_b32 s13, s13
	v_mov_b32_e32 v4, s12
	s_xor_b32 exec_lo, exec_lo, s13
	s_cbranch_execz .LBB38_1315
.LBB38_1335:
	v_cmp_ne_u16_e32 vcc_lo, 0, v5
	v_mov_b32_e32 v4, 0
	s_and_not1_b32 s1, s1, exec_lo
	s_and_b32 s12, vcc_lo, exec_lo
	s_delay_alu instid0(SALU_CYCLE_1)
	s_or_b32 s1, s1, s12
	s_or_b32 exec_lo, exec_lo, s13
	s_and_saveexec_b32 s12, s1
	s_cbranch_execnz .LBB38_1316
	s_branch .LBB38_1317
.LBB38_1336:
	s_mov_b32 s0, -1
.LBB38_1337:
                                        ; implicit-def: $vgpr4
.LBB38_1338:
	s_and_b32 vcc_lo, exec_lo, s1
	s_mov_b32 s1, 0
	s_cbranch_vccz .LBB38_1340
; %bb.1339:
	v_cmp_ne_u16_e64 s0, 11, v7
	s_mov_b32 s1, -1
                                        ; implicit-def: $vgpr4
.LBB38_1340:
	s_delay_alu instid0(VALU_DEP_1)
	s_and_b32 vcc_lo, exec_lo, s0
	s_cbranch_vccnz .LBB38_1374
; %bb.1341:
	s_and_not1_b32 vcc_lo, exec_lo, s1
	s_cbranch_vccnz .LBB38_1343
.LBB38_1342:
	global_load_u8 v4, v[1:2], off
	s_mov_b32 s12, -1
	s_waitcnt vmcnt(0)
	v_cmp_ne_u16_e32 vcc_lo, 0, v4
	v_cndmask_b32_e64 v4, 0, 1.0, vcc_lo
.LBB38_1343:
.LBB38_1344:
	s_and_not1_b32 vcc_lo, exec_lo, s12
	s_cbranch_vccnz .LBB38_1639
.LBB38_1345:
	v_cndmask_b32_e64 v1, 0, 1, s8
	v_mov_b32_e32 v2, 0
	s_and_not1_b32 vcc_lo, exec_lo, s8
	s_cbranch_vccnz .LBB38_1355
; %bb.1346:
	v_cmp_lt_i64_e64 s0, s[10:11], 1
	v_mov_b32_e32 v2, 1.0
	s_delay_alu instid0(VALU_DEP_2)
	s_and_b32 vcc_lo, exec_lo, s0
	s_cbranch_vccnz .LBB38_1355
; %bb.1347:
	s_cmp_lg_u64 s[10:11], 1
	s_cbranch_scc0 .LBB38_1352
; %bb.1348:
	v_cmp_lt_u64_e64 s0, 0x80, s[10:11]
	v_mov_b32_e32 v2, 0x7fc00000
	s_delay_alu instid0(VALU_DEP_2)
	s_and_b32 vcc_lo, exec_lo, s0
	s_cbranch_vccnz .LBB38_1351
; %bb.1349:
	s_waitcnt vmcnt(0)
	v_dual_add_f32 v5, v4, v4 :: v_dual_mov_b32 v8, 1.0
	s_lshl_b64 s[0:1], s[10:11], 1
	s_mov_b64 s[12:13], 2
	s_delay_alu instid0(VALU_DEP_1)
	v_mov_b32_e32 v2, v5
	.p2align	6
.LBB38_1350:                            ; =>This Inner Loop Header: Depth=1
	s_clz_i32_u32 s8, s13
	s_delay_alu instid0(SALU_CYCLE_1) | instskip(NEXT) | instid1(SALU_CYCLE_1)
	s_min_u32 s8, s8, 32
	s_lshl_b64 s[18:19], s[12:13], s8
	s_sub_i32 s8, 32, s8
	s_min_u32 s17, s18, 1
	s_delay_alu instid0(SALU_CYCLE_1) | instskip(SKIP_3) | instid1(VALU_DEP_1)
	s_or_b32 s17, s19, s17
	s_add_u32 s12, s12, 2
	v_cvt_f32_u32_e32 v9, s17
	s_addc_u32 s13, s13, 0
	v_ldexp_f32 v9, v9, s8
	v_cmp_lt_u64_e64 s8, s[12:13], s[0:1]
	s_delay_alu instid0(VALU_DEP_2) | instskip(NEXT) | instid1(VALU_DEP_2)
	v_dual_mul_f32 v9, v8, v9 :: v_dual_mov_b32 v8, v2
	s_and_b32 vcc_lo, exec_lo, s8
	s_delay_alu instid0(VALU_DEP_1)
	v_fma_f32 v2, v5, v2, -v9
	s_cbranch_vccnz .LBB38_1350
.LBB38_1351:
	s_mov_b32 s0, 0
	s_branch .LBB38_1353
.LBB38_1352:
	s_mov_b32 s0, -1
                                        ; implicit-def: $vgpr2
.LBB38_1353:
	s_delay_alu instid0(SALU_CYCLE_1)
	s_and_not1_b32 vcc_lo, exec_lo, s0
	s_cbranch_vccnz .LBB38_1355
; %bb.1354:
	s_waitcnt vmcnt(0)
	v_add_f32_e32 v2, v4, v4
.LBB38_1355:
	v_add_nc_u32_e32 v8, s3, v3
	v_cmp_gt_i16_e32 vcc_lo, 11, v7
	s_waitcnt vmcnt(0)
	s_delay_alu instid0(VALU_DEP_2) | instskip(SKIP_1) | instid1(VALU_DEP_1)
	v_ashrrev_i32_e32 v4, 31, v8
	v_add_co_u32 v3, s0, s6, v8
	v_add_co_ci_u32_e64 v4, s0, s7, v4, s0
	s_cbranch_vccnz .LBB38_1362
; %bb.1356:
	v_cmp_lt_i16_e32 vcc_lo, 25, v7
	s_mov_b32 s1, 0
	s_cbranch_vccz .LBB38_1368
; %bb.1357:
	v_cmp_lt_i16_e32 vcc_lo, 28, v7
	s_cbranch_vccz .LBB38_1370
; %bb.1358:
	v_cmp_lt_i16_e32 vcc_lo, 43, v7
	;; [unrolled: 3-line block ×3, first 2 shown]
	s_cbranch_vccz .LBB38_1376
; %bb.1360:
	v_cmp_eq_u16_e32 vcc_lo, 46, v7
	s_mov_b32 s12, 0
	s_cbranch_vccz .LBB38_1419
; %bb.1361:
	global_load_b32 v5, v[3:4], off
	s_mov_b32 s0, 0
	s_mov_b32 s8, -1
	s_waitcnt vmcnt(0)
	v_lshlrev_b32_e32 v9, 16, v5
	s_branch .LBB38_1421
.LBB38_1362:
	s_mov_b32 s8, 0
                                        ; implicit-def: $vgpr9
	s_cbranch_execz .LBB38_1487
; %bb.1363:
	v_cmp_gt_i16_e32 vcc_lo, 5, v7
	s_cbranch_vccnz .LBB38_1369
; %bb.1364:
	v_cmp_gt_i16_e32 vcc_lo, 8, v7
	s_cbranch_vccnz .LBB38_1371
	;; [unrolled: 3-line block ×3, first 2 shown]
; %bb.1366:
	v_cmp_lt_i16_e32 vcc_lo, 9, v7
	s_cbranch_vccz .LBB38_1377
; %bb.1367:
	global_load_b64 v[9:10], v[3:4], off
	s_mov_b32 s0, 0
	s_waitcnt vmcnt(0)
	v_cvt_f32_f64_e32 v9, v[9:10]
	s_branch .LBB38_1378
.LBB38_1368:
	s_mov_b32 s12, -1
	s_mov_b32 s8, 0
	s_mov_b32 s0, 0
                                        ; implicit-def: $vgpr9
	s_branch .LBB38_1450
.LBB38_1369:
	s_mov_b32 s0, -1
                                        ; implicit-def: $vgpr9
	s_branch .LBB38_1396
.LBB38_1370:
	s_mov_b32 s12, -1
	s_mov_b32 s8, 0
	s_mov_b32 s0, 0
                                        ; implicit-def: $vgpr9
	s_branch .LBB38_1431
.LBB38_1371:
	s_mov_b32 s0, -1
                                        ; implicit-def: $vgpr9
	s_branch .LBB38_1384
.LBB38_1372:
	s_mov_b32 s12, -1
	s_mov_b32 s8, 0
	s_mov_b32 s0, 0
                                        ; implicit-def: $vgpr9
	s_branch .LBB38_1426
.LBB38_1373:
	s_mov_b32 s0, -1
                                        ; implicit-def: $vgpr9
	s_branch .LBB38_1381
.LBB38_1374:
	s_cbranch_execnz .LBB38_1417
; %bb.1375:
	s_or_b32 s14, s14, exec_lo
                                        ; implicit-def: $vgpr4
	s_cbranch_execz .LBB38_1342
	s_branch .LBB38_1343
.LBB38_1376:
	s_mov_b32 s12, -1
	s_mov_b32 s8, 0
	s_mov_b32 s0, 0
	s_branch .LBB38_1420
.LBB38_1377:
	s_mov_b32 s0, -1
                                        ; implicit-def: $vgpr9
.LBB38_1378:
	s_delay_alu instid0(SALU_CYCLE_1)
	s_and_not1_b32 vcc_lo, exec_lo, s0
	s_cbranch_vccnz .LBB38_1380
; %bb.1379:
	global_load_b32 v9, v[3:4], off
.LBB38_1380:
	s_mov_b32 s0, 0
.LBB38_1381:
	s_delay_alu instid0(SALU_CYCLE_1)
	s_and_not1_b32 vcc_lo, exec_lo, s0
	s_cbranch_vccnz .LBB38_1383
; %bb.1382:
	global_load_b32 v5, v[3:4], off
	s_waitcnt vmcnt(0)
	v_cvt_f32_f16_e32 v9, v5
.LBB38_1383:
	s_mov_b32 s0, 0
.LBB38_1384:
	s_delay_alu instid0(SALU_CYCLE_1)
	s_and_not1_b32 vcc_lo, exec_lo, s0
	s_cbranch_vccnz .LBB38_1395
; %bb.1385:
	v_cmp_gt_i16_e32 vcc_lo, 6, v7
	s_cbranch_vccnz .LBB38_1388
; %bb.1386:
	v_cmp_lt_i16_e32 vcc_lo, 6, v7
	s_cbranch_vccz .LBB38_1389
; %bb.1387:
	global_load_b64 v[9:10], v[3:4], off
	s_mov_b32 s0, 0
	s_waitcnt vmcnt(0)
	v_cvt_f32_f64_e32 v9, v[9:10]
	s_branch .LBB38_1390
.LBB38_1388:
	s_mov_b32 s0, -1
                                        ; implicit-def: $vgpr9
	s_branch .LBB38_1393
.LBB38_1389:
	s_mov_b32 s0, -1
                                        ; implicit-def: $vgpr9
.LBB38_1390:
	s_delay_alu instid0(SALU_CYCLE_1)
	s_and_not1_b32 vcc_lo, exec_lo, s0
	s_cbranch_vccnz .LBB38_1392
; %bb.1391:
	global_load_b32 v9, v[3:4], off
.LBB38_1392:
	s_mov_b32 s0, 0
.LBB38_1393:
	s_delay_alu instid0(SALU_CYCLE_1)
	s_and_not1_b32 vcc_lo, exec_lo, s0
	s_cbranch_vccnz .LBB38_1395
; %bb.1394:
	global_load_u16 v5, v[3:4], off
	s_waitcnt vmcnt(0)
	v_cvt_f32_f16_e32 v9, v5
.LBB38_1395:
	s_mov_b32 s0, 0
.LBB38_1396:
	s_delay_alu instid0(SALU_CYCLE_1)
	s_and_not1_b32 vcc_lo, exec_lo, s0
	s_cbranch_vccnz .LBB38_1416
; %bb.1397:
	v_cmp_gt_i16_e32 vcc_lo, 2, v7
	s_cbranch_vccnz .LBB38_1401
; %bb.1398:
	v_cmp_gt_i16_e32 vcc_lo, 3, v7
	s_cbranch_vccnz .LBB38_1402
; %bb.1399:
	v_cmp_lt_i16_e32 vcc_lo, 3, v7
	s_cbranch_vccz .LBB38_1403
; %bb.1400:
	global_load_b64 v[9:10], v[3:4], off
	s_mov_b32 s0, 0
	s_waitcnt vmcnt(0)
	v_xor_b32_e32 v5, v9, v10
	v_cls_i32_e32 v11, v10
	s_delay_alu instid0(VALU_DEP_2) | instskip(NEXT) | instid1(VALU_DEP_2)
	v_ashrrev_i32_e32 v5, 31, v5
	v_add_nc_u32_e32 v11, -1, v11
	s_delay_alu instid0(VALU_DEP_2) | instskip(NEXT) | instid1(VALU_DEP_1)
	v_add_nc_u32_e32 v5, 32, v5
	v_min_u32_e32 v5, v11, v5
	s_delay_alu instid0(VALU_DEP_1) | instskip(SKIP_1) | instid1(VALU_DEP_2)
	v_lshlrev_b64 v[9:10], v5, v[9:10]
	v_sub_nc_u32_e32 v5, 32, v5
	v_min_u32_e32 v9, 1, v9
	s_delay_alu instid0(VALU_DEP_1) | instskip(NEXT) | instid1(VALU_DEP_1)
	v_or_b32_e32 v9, v10, v9
	v_cvt_f32_i32_e32 v9, v9
	s_delay_alu instid0(VALU_DEP_1)
	v_ldexp_f32 v9, v9, v5
	s_branch .LBB38_1404
.LBB38_1401:
	s_mov_b32 s0, -1
                                        ; implicit-def: $vgpr9
	s_branch .LBB38_1410
.LBB38_1402:
	s_mov_b32 s0, -1
                                        ; implicit-def: $vgpr9
	s_branch .LBB38_1407
.LBB38_1403:
	s_mov_b32 s0, -1
                                        ; implicit-def: $vgpr9
.LBB38_1404:
	s_delay_alu instid0(SALU_CYCLE_1)
	s_and_not1_b32 vcc_lo, exec_lo, s0
	s_cbranch_vccnz .LBB38_1406
; %bb.1405:
	global_load_b32 v5, v[3:4], off
	s_waitcnt vmcnt(0)
	v_cvt_f32_i32_e32 v9, v5
.LBB38_1406:
	s_mov_b32 s0, 0
.LBB38_1407:
	s_delay_alu instid0(SALU_CYCLE_1)
	s_and_not1_b32 vcc_lo, exec_lo, s0
	s_cbranch_vccnz .LBB38_1409
; %bb.1408:
	global_load_i16 v5, v[3:4], off
	s_waitcnt vmcnt(0)
	v_cvt_f32_i32_e32 v9, v5
.LBB38_1409:
	s_mov_b32 s0, 0
.LBB38_1410:
	s_delay_alu instid0(SALU_CYCLE_1)
	s_and_not1_b32 vcc_lo, exec_lo, s0
	s_cbranch_vccnz .LBB38_1416
; %bb.1411:
	v_cmp_lt_i16_e32 vcc_lo, 0, v7
	s_mov_b32 s0, 0
	s_cbranch_vccz .LBB38_1413
; %bb.1412:
	global_load_i8 v5, v[3:4], off
	s_waitcnt vmcnt(0)
	v_cvt_f32_i32_e32 v9, v5
	s_branch .LBB38_1414
.LBB38_1413:
	s_mov_b32 s0, -1
                                        ; implicit-def: $vgpr9
.LBB38_1414:
	s_delay_alu instid0(SALU_CYCLE_1)
	s_and_not1_b32 vcc_lo, exec_lo, s0
	s_cbranch_vccnz .LBB38_1416
; %bb.1415:
	global_load_u8 v3, v[3:4], off
	s_waitcnt vmcnt(0)
	v_cvt_f32_ubyte0_e32 v9, v3
.LBB38_1416:
	s_branch .LBB38_1488
.LBB38_1417:
	s_trap 2
	s_sendmsg_rtn_b32 s0, sendmsg(MSG_RTN_GET_DOORBELL)
	s_mov_b32 ttmp2, m0
	s_waitcnt lgkmcnt(0)
	s_and_b32 s0, s0, 0x3ff
	s_delay_alu instid0(SALU_CYCLE_1) | instskip(NEXT) | instid1(SALU_CYCLE_1)
	s_bitset1_b32 s0, 10
	s_mov_b32 m0, s0
	s_sendmsg sendmsg(MSG_INTERRUPT)
	s_mov_b32 m0, ttmp2
.LBB38_1418:                            ; =>This Inner Loop Header: Depth=1
	s_sethalt 5
	s_branch .LBB38_1418
.LBB38_1419:
	s_mov_b32 s0, -1
	s_mov_b32 s8, 0
.LBB38_1420:
                                        ; implicit-def: $vgpr9
.LBB38_1421:
	s_and_b32 vcc_lo, exec_lo, s12
	s_cbranch_vccz .LBB38_1425
; %bb.1422:
	v_cmp_eq_u16_e32 vcc_lo, 44, v7
	s_cbranch_vccz .LBB38_1424
; %bb.1423:
	global_load_u8 v5, v[3:4], off
	s_mov_b32 s0, 0
	s_mov_b32 s8, -1
	s_waitcnt vmcnt(0)
	v_lshlrev_b32_e32 v9, 23, v5
	v_cmp_ne_u32_e32 vcc_lo, 0xff, v5
	s_delay_alu instid0(VALU_DEP_2) | instskip(SKIP_1) | instid1(VALU_DEP_2)
	v_cndmask_b32_e32 v9, 0x7f800001, v9, vcc_lo
	v_cmp_ne_u32_e32 vcc_lo, 0, v5
	v_cndmask_b32_e32 v9, 0x400000, v9, vcc_lo
	s_branch .LBB38_1425
.LBB38_1424:
	s_mov_b32 s0, -1
                                        ; implicit-def: $vgpr9
.LBB38_1425:
	s_mov_b32 s12, 0
.LBB38_1426:
	s_delay_alu instid0(SALU_CYCLE_1)
	s_and_b32 vcc_lo, exec_lo, s12
	s_cbranch_vccz .LBB38_1430
; %bb.1427:
	v_cmp_eq_u16_e32 vcc_lo, 29, v7
	s_cbranch_vccz .LBB38_1429
; %bb.1428:
	global_load_b64 v[9:10], v[3:4], off
	s_mov_b32 s0, 0
	s_mov_b32 s8, -1
	s_mov_b32 s12, 0
	s_waitcnt vmcnt(0)
	v_clz_i32_u32_e32 v5, v10
	s_delay_alu instid0(VALU_DEP_1) | instskip(NEXT) | instid1(VALU_DEP_1)
	v_min_u32_e32 v5, 32, v5
	v_lshlrev_b64 v[9:10], v5, v[9:10]
	v_sub_nc_u32_e32 v5, 32, v5
	s_delay_alu instid0(VALU_DEP_2) | instskip(NEXT) | instid1(VALU_DEP_1)
	v_min_u32_e32 v9, 1, v9
	v_or_b32_e32 v9, v10, v9
	s_delay_alu instid0(VALU_DEP_1) | instskip(NEXT) | instid1(VALU_DEP_1)
	v_cvt_f32_u32_e32 v9, v9
	v_ldexp_f32 v9, v9, v5
	s_branch .LBB38_1431
.LBB38_1429:
	s_mov_b32 s0, -1
                                        ; implicit-def: $vgpr9
.LBB38_1430:
	s_mov_b32 s12, 0
.LBB38_1431:
	s_delay_alu instid0(SALU_CYCLE_1)
	s_and_b32 vcc_lo, exec_lo, s12
	s_cbranch_vccz .LBB38_1449
; %bb.1432:
	v_cmp_gt_i16_e32 vcc_lo, 27, v7
	s_cbranch_vccnz .LBB38_1435
; %bb.1433:
	v_cmp_lt_i16_e32 vcc_lo, 27, v7
	s_cbranch_vccz .LBB38_1436
; %bb.1434:
	global_load_b32 v5, v[3:4], off
	s_mov_b32 s8, 0
	s_waitcnt vmcnt(0)
	v_cvt_f32_u32_e32 v9, v5
	s_branch .LBB38_1437
.LBB38_1435:
	s_mov_b32 s8, -1
                                        ; implicit-def: $vgpr9
	s_branch .LBB38_1440
.LBB38_1436:
	s_mov_b32 s8, -1
                                        ; implicit-def: $vgpr9
.LBB38_1437:
	s_delay_alu instid0(SALU_CYCLE_1)
	s_and_not1_b32 vcc_lo, exec_lo, s8
	s_cbranch_vccnz .LBB38_1439
; %bb.1438:
	global_load_u16 v5, v[3:4], off
	s_waitcnt vmcnt(0)
	v_cvt_f32_u32_e32 v9, v5
.LBB38_1439:
	s_mov_b32 s8, 0
.LBB38_1440:
	s_delay_alu instid0(SALU_CYCLE_1)
	s_and_not1_b32 vcc_lo, exec_lo, s8
	s_cbranch_vccnz .LBB38_1448
; %bb.1441:
	global_load_u8 v5, v[3:4], off
	s_mov_b32 s8, 0
	s_mov_b32 s13, exec_lo
                                        ; implicit-def: $sgpr12
	s_waitcnt vmcnt(0)
	v_cmpx_lt_i16_e32 0x7f, v5
	s_xor_b32 s13, exec_lo, s13
	s_cbranch_execz .LBB38_1462
; %bb.1442:
	s_mov_b32 s8, -1
	s_mov_b32 s17, exec_lo
                                        ; implicit-def: $sgpr12
	v_cmpx_eq_u16_e32 0x80, v5
; %bb.1443:
	s_mov_b32 s12, 0x7f800001
	s_xor_b32 s8, exec_lo, -1
; %bb.1444:
	s_or_b32 exec_lo, exec_lo, s17
	s_delay_alu instid0(SALU_CYCLE_1)
	s_and_b32 s8, s8, exec_lo
	s_or_saveexec_b32 s13, s13
	v_mov_b32_e32 v9, s12
	s_xor_b32 exec_lo, exec_lo, s13
	s_cbranch_execnz .LBB38_1463
.LBB38_1445:
	s_or_b32 exec_lo, exec_lo, s13
	s_and_saveexec_b32 s12, s8
	s_cbranch_execz .LBB38_1447
.LBB38_1446:
	v_and_b32_e32 v9, 0xffff, v5
	v_lshlrev_b32_e32 v5, 24, v5
	s_delay_alu instid0(VALU_DEP_2) | instskip(NEXT) | instid1(VALU_DEP_2)
	v_and_b32_e32 v10, 7, v9
	v_and_b32_e32 v5, 0x80000000, v5
	s_delay_alu instid0(VALU_DEP_2) | instskip(NEXT) | instid1(VALU_DEP_1)
	v_clz_i32_u32_e32 v11, v10
	v_min_u32_e32 v11, 32, v11
	s_delay_alu instid0(VALU_DEP_1) | instskip(SKIP_1) | instid1(VALU_DEP_2)
	v_subrev_nc_u32_e32 v12, 28, v11
	v_sub_nc_u32_e32 v11, 29, v11
	v_lshlrev_b32_e32 v12, v12, v9
	v_bfe_u32 v9, v9, 3, 4
	s_delay_alu instid0(VALU_DEP_2) | instskip(NEXT) | instid1(VALU_DEP_2)
	v_and_b32_e32 v12, 7, v12
	v_cmp_eq_u32_e32 vcc_lo, 0, v9
	s_delay_alu instid0(VALU_DEP_2) | instskip(NEXT) | instid1(VALU_DEP_1)
	v_dual_cndmask_b32 v9, v9, v11 :: v_dual_cndmask_b32 v10, v10, v12
	v_lshl_add_u32 v9, v9, 23, 0x3b800000
	s_delay_alu instid0(VALU_DEP_2) | instskip(NEXT) | instid1(VALU_DEP_1)
	v_lshlrev_b32_e32 v10, 20, v10
	v_or3_b32 v9, v5, v9, v10
.LBB38_1447:
	s_or_b32 exec_lo, exec_lo, s12
.LBB38_1448:
	s_mov_b32 s8, -1
.LBB38_1449:
	s_mov_b32 s12, 0
.LBB38_1450:
	s_delay_alu instid0(SALU_CYCLE_1)
	s_and_b32 vcc_lo, exec_lo, s12
	s_cbranch_vccz .LBB38_1483
; %bb.1451:
	v_cmp_lt_i16_e32 vcc_lo, 22, v7
	s_cbranch_vccz .LBB38_1461
; %bb.1452:
	v_cmp_gt_i16_e32 vcc_lo, 24, v7
	s_cbranch_vccnz .LBB38_1464
; %bb.1453:
	v_cmp_lt_i16_e32 vcc_lo, 24, v7
	s_cbranch_vccz .LBB38_1465
; %bb.1454:
	global_load_u8 v5, v[3:4], off
	s_mov_b32 s12, exec_lo
                                        ; implicit-def: $sgpr8
	s_waitcnt vmcnt(0)
	v_cmpx_lt_i16_e32 0x7f, v5
	s_xor_b32 s12, exec_lo, s12
	s_cbranch_execz .LBB38_1477
; %bb.1455:
	s_mov_b32 s1, -1
	s_mov_b32 s13, exec_lo
                                        ; implicit-def: $sgpr8
	v_cmpx_eq_u16_e32 0x80, v5
; %bb.1456:
	s_mov_b32 s8, 0x7f800001
	s_xor_b32 s1, exec_lo, -1
; %bb.1457:
	s_or_b32 exec_lo, exec_lo, s13
	s_delay_alu instid0(SALU_CYCLE_1)
	s_and_b32 s1, s1, exec_lo
	s_or_saveexec_b32 s12, s12
	v_mov_b32_e32 v9, s8
	s_xor_b32 exec_lo, exec_lo, s12
	s_cbranch_execnz .LBB38_1478
.LBB38_1458:
	s_or_b32 exec_lo, exec_lo, s12
	s_and_saveexec_b32 s8, s1
	s_cbranch_execz .LBB38_1460
.LBB38_1459:
	v_and_b32_e32 v9, 0xffff, v5
	v_lshlrev_b32_e32 v5, 24, v5
	s_delay_alu instid0(VALU_DEP_2) | instskip(NEXT) | instid1(VALU_DEP_2)
	v_and_b32_e32 v10, 3, v9
	v_and_b32_e32 v5, 0x80000000, v5
	s_delay_alu instid0(VALU_DEP_2) | instskip(NEXT) | instid1(VALU_DEP_1)
	v_clz_i32_u32_e32 v11, v10
	v_min_u32_e32 v11, 32, v11
	s_delay_alu instid0(VALU_DEP_1) | instskip(SKIP_1) | instid1(VALU_DEP_2)
	v_subrev_nc_u32_e32 v12, 29, v11
	v_sub_nc_u32_e32 v11, 30, v11
	v_lshlrev_b32_e32 v12, v12, v9
	v_bfe_u32 v9, v9, 2, 5
	s_delay_alu instid0(VALU_DEP_2) | instskip(NEXT) | instid1(VALU_DEP_2)
	v_and_b32_e32 v12, 3, v12
	v_cmp_eq_u32_e32 vcc_lo, 0, v9
	s_delay_alu instid0(VALU_DEP_2) | instskip(NEXT) | instid1(VALU_DEP_1)
	v_dual_cndmask_b32 v9, v9, v11 :: v_dual_cndmask_b32 v10, v10, v12
	v_lshl_add_u32 v9, v9, 23, 0x37800000
	s_delay_alu instid0(VALU_DEP_2) | instskip(NEXT) | instid1(VALU_DEP_1)
	v_lshlrev_b32_e32 v10, 21, v10
	v_or3_b32 v9, v5, v9, v10
.LBB38_1460:
	s_or_b32 exec_lo, exec_lo, s8
	s_mov_b32 s1, 0
	s_branch .LBB38_1466
.LBB38_1461:
	s_mov_b32 s1, -1
                                        ; implicit-def: $vgpr9
	s_branch .LBB38_1472
.LBB38_1462:
	s_or_saveexec_b32 s13, s13
	v_mov_b32_e32 v9, s12
	s_xor_b32 exec_lo, exec_lo, s13
	s_cbranch_execz .LBB38_1445
.LBB38_1463:
	v_cmp_ne_u16_e32 vcc_lo, 0, v5
	v_mov_b32_e32 v9, 0
	s_and_not1_b32 s8, s8, exec_lo
	s_and_b32 s12, vcc_lo, exec_lo
	s_delay_alu instid0(SALU_CYCLE_1)
	s_or_b32 s8, s8, s12
	s_or_b32 exec_lo, exec_lo, s13
	s_and_saveexec_b32 s12, s8
	s_cbranch_execnz .LBB38_1446
	s_branch .LBB38_1447
.LBB38_1464:
	s_mov_b32 s1, -1
                                        ; implicit-def: $vgpr9
	s_branch .LBB38_1469
.LBB38_1465:
	s_mov_b32 s1, -1
                                        ; implicit-def: $vgpr9
.LBB38_1466:
	s_delay_alu instid0(SALU_CYCLE_1)
	s_and_b32 vcc_lo, exec_lo, s1
	s_cbranch_vccz .LBB38_1468
; %bb.1467:
	global_load_u8 v5, v[3:4], off
	s_waitcnt vmcnt(0)
	v_lshlrev_b32_e32 v5, 24, v5
	s_delay_alu instid0(VALU_DEP_1) | instskip(NEXT) | instid1(VALU_DEP_1)
	v_and_b32_e32 v9, 0x7f000000, v5
	v_clz_i32_u32_e32 v10, v9
	v_cmp_ne_u32_e32 vcc_lo, 0, v9
	v_add_nc_u32_e32 v12, 0x1000000, v9
	s_delay_alu instid0(VALU_DEP_3) | instskip(NEXT) | instid1(VALU_DEP_1)
	v_min_u32_e32 v10, 32, v10
	v_sub_nc_u32_e64 v10, v10, 4 clamp
	s_delay_alu instid0(VALU_DEP_1) | instskip(SKIP_1) | instid1(VALU_DEP_2)
	v_lshlrev_b32_e32 v11, v10, v9
	v_lshlrev_b32_e32 v10, 23, v10
	v_lshrrev_b32_e32 v11, 4, v11
	s_delay_alu instid0(VALU_DEP_1) | instskip(SKIP_1) | instid1(VALU_DEP_2)
	v_sub_nc_u32_e32 v10, v11, v10
	v_ashrrev_i32_e32 v11, 8, v12
	v_add_nc_u32_e32 v10, 0x3c000000, v10
	s_delay_alu instid0(VALU_DEP_1) | instskip(NEXT) | instid1(VALU_DEP_1)
	v_and_or_b32 v10, 0x7f800000, v11, v10
	v_cndmask_b32_e32 v9, 0, v10, vcc_lo
	s_delay_alu instid0(VALU_DEP_1)
	v_and_or_b32 v9, 0x80000000, v5, v9
.LBB38_1468:
	s_mov_b32 s1, 0
.LBB38_1469:
	s_delay_alu instid0(SALU_CYCLE_1)
	s_and_not1_b32 vcc_lo, exec_lo, s1
	s_cbranch_vccnz .LBB38_1471
; %bb.1470:
	global_load_u8 v5, v[3:4], off
	s_waitcnt vmcnt(0)
	v_lshlrev_b32_e32 v9, 25, v5
	v_lshlrev_b16 v5, 8, v5
	s_delay_alu instid0(VALU_DEP_2) | instskip(NEXT) | instid1(VALU_DEP_2)
	v_lshrrev_b32_e32 v10, 4, v9
	v_and_or_b32 v11, 0x7f00, v5, 0.5
	v_bfe_i32 v5, v5, 0, 16
	s_delay_alu instid0(VALU_DEP_3) | instskip(NEXT) | instid1(VALU_DEP_1)
	v_or_b32_e32 v10, 0x70000000, v10
	v_dual_add_f32 v11, -0.5, v11 :: v_dual_mul_f32 v10, 0x7800000, v10
	v_cmp_gt_u32_e32 vcc_lo, 0x8000000, v9
	s_delay_alu instid0(VALU_DEP_2) | instskip(NEXT) | instid1(VALU_DEP_1)
	v_cndmask_b32_e32 v9, v10, v11, vcc_lo
	v_and_or_b32 v9, 0x80000000, v5, v9
.LBB38_1471:
	s_mov_b32 s1, 0
	s_mov_b32 s8, -1
.LBB38_1472:
	s_and_not1_b32 vcc_lo, exec_lo, s1
	s_mov_b32 s1, 0
	s_cbranch_vccnz .LBB38_1483
; %bb.1473:
	v_cmp_lt_i16_e32 vcc_lo, 14, v7
	s_cbranch_vccz .LBB38_1476
; %bb.1474:
	v_cmp_eq_u16_e32 vcc_lo, 15, v7
	s_cbranch_vccz .LBB38_1479
; %bb.1475:
	global_load_u16 v5, v[3:4], off
	s_mov_b32 s0, 0
	s_mov_b32 s8, -1
	s_waitcnt vmcnt(0)
	v_lshlrev_b32_e32 v9, 16, v5
	s_branch .LBB38_1481
.LBB38_1476:
	s_mov_b32 s1, -1
	s_branch .LBB38_1480
.LBB38_1477:
	s_or_saveexec_b32 s12, s12
	v_mov_b32_e32 v9, s8
	s_xor_b32 exec_lo, exec_lo, s12
	s_cbranch_execz .LBB38_1458
.LBB38_1478:
	v_cmp_ne_u16_e32 vcc_lo, 0, v5
	v_mov_b32_e32 v9, 0
	s_and_not1_b32 s1, s1, exec_lo
	s_and_b32 s8, vcc_lo, exec_lo
	s_delay_alu instid0(SALU_CYCLE_1)
	s_or_b32 s1, s1, s8
	s_or_b32 exec_lo, exec_lo, s12
	s_and_saveexec_b32 s8, s1
	s_cbranch_execnz .LBB38_1459
	s_branch .LBB38_1460
.LBB38_1479:
	s_mov_b32 s0, -1
.LBB38_1480:
                                        ; implicit-def: $vgpr9
.LBB38_1481:
	s_and_b32 vcc_lo, exec_lo, s1
	s_mov_b32 s1, 0
	s_cbranch_vccz .LBB38_1483
; %bb.1482:
	v_cmp_ne_u16_e64 s0, 11, v7
	s_mov_b32 s1, -1
                                        ; implicit-def: $vgpr9
.LBB38_1483:
	s_delay_alu instid0(VALU_DEP_1)
	s_and_b32 vcc_lo, exec_lo, s0
	s_cbranch_vccnz .LBB38_1509
; %bb.1484:
	s_and_not1_b32 vcc_lo, exec_lo, s1
	s_cbranch_vccnz .LBB38_1486
.LBB38_1485:
	global_load_u8 v5, v[3:4], off
	s_mov_b32 s8, -1
	s_waitcnt vmcnt(0)
	v_cmp_ne_u16_e32 vcc_lo, 0, v5
	v_cndmask_b32_e64 v9, 0, 1.0, vcc_lo
.LBB38_1486:
.LBB38_1487:
	s_and_not1_b32 vcc_lo, exec_lo, s8
	s_cbranch_vccnz .LBB38_1639
.LBB38_1488:
	v_cmp_ne_u32_e32 vcc_lo, 1, v1
	v_mov_b32_e32 v5, 0
	s_cbranch_vccnz .LBB38_1498
; %bb.1489:
	v_cmp_lt_i64_e64 s0, s[10:11], 1
	v_mov_b32_e32 v5, 1.0
	s_delay_alu instid0(VALU_DEP_2)
	s_and_b32 vcc_lo, exec_lo, s0
	s_cbranch_vccnz .LBB38_1498
; %bb.1490:
	s_cmp_lg_u64 s[10:11], 1
	s_cbranch_scc0 .LBB38_1495
; %bb.1491:
	v_cmp_lt_u64_e64 s0, 0x80, s[10:11]
	v_mov_b32_e32 v5, 0x7fc00000
	s_delay_alu instid0(VALU_DEP_2)
	s_and_b32 vcc_lo, exec_lo, s0
	s_cbranch_vccnz .LBB38_1494
; %bb.1492:
	s_waitcnt vmcnt(0)
	v_dual_add_f32 v3, v9, v9 :: v_dual_mov_b32 v4, 1.0
	s_lshl_b64 s[0:1], s[10:11], 1
	s_mov_b64 s[12:13], 2
	s_delay_alu instid0(VALU_DEP_1)
	v_mov_b32_e32 v5, v3
.LBB38_1493:                            ; =>This Inner Loop Header: Depth=1
	s_clz_i32_u32 s8, s13
	s_delay_alu instid0(SALU_CYCLE_1) | instskip(NEXT) | instid1(SALU_CYCLE_1)
	s_min_u32 s8, s8, 32
	s_lshl_b64 s[18:19], s[12:13], s8
	s_sub_i32 s8, 32, s8
	s_min_u32 s17, s18, 1
	s_delay_alu instid0(SALU_CYCLE_1) | instskip(SKIP_3) | instid1(VALU_DEP_1)
	s_or_b32 s17, s19, s17
	s_add_u32 s12, s12, 2
	v_cvt_f32_u32_e32 v10, s17
	s_addc_u32 s13, s13, 0
	v_ldexp_f32 v10, v10, s8
	v_cmp_lt_u64_e64 s8, s[12:13], s[0:1]
	s_delay_alu instid0(VALU_DEP_2) | instskip(SKIP_1) | instid1(VALU_DEP_3)
	v_mul_f32_e32 v10, v4, v10
	v_mov_b32_e32 v4, v5
	s_and_b32 vcc_lo, exec_lo, s8
	s_delay_alu instid0(VALU_DEP_2)
	v_fma_f32 v5, v3, v5, -v10
	s_cbranch_vccnz .LBB38_1493
.LBB38_1494:
	s_mov_b32 s0, 0
	s_branch .LBB38_1496
.LBB38_1495:
	s_mov_b32 s0, -1
                                        ; implicit-def: $vgpr5
.LBB38_1496:
	s_delay_alu instid0(SALU_CYCLE_1)
	s_and_not1_b32 vcc_lo, exec_lo, s0
	s_cbranch_vccnz .LBB38_1498
; %bb.1497:
	s_waitcnt vmcnt(0)
	v_add_f32_e32 v5, v9, v9
.LBB38_1498:
	v_add_nc_u32_e32 v3, s3, v8
	v_cmp_gt_i16_e32 vcc_lo, 11, v7
	s_delay_alu instid0(VALU_DEP_2) | instskip(SKIP_1) | instid1(VALU_DEP_1)
	v_ashrrev_i32_e32 v4, 31, v3
	v_add_co_u32 v3, s0, s6, v3
	v_add_co_ci_u32_e64 v4, s0, s7, v4, s0
	s_cbranch_vccnz .LBB38_1505
; %bb.1499:
	v_cmp_lt_i16_e32 vcc_lo, 25, v7
	s_mov_b32 s1, 0
	s_cbranch_vccz .LBB38_1506
; %bb.1500:
	v_cmp_lt_i16_e32 vcc_lo, 28, v7
	s_cbranch_vccz .LBB38_1507
; %bb.1501:
	v_cmp_lt_i16_e32 vcc_lo, 43, v7
	;; [unrolled: 3-line block ×3, first 2 shown]
	s_cbranch_vccz .LBB38_1511
; %bb.1503:
	v_cmp_eq_u16_e32 vcc_lo, 46, v7
	s_mov_b32 s6, 0
	s_cbranch_vccz .LBB38_1514
; %bb.1504:
	global_load_b32 v8, v[3:4], off
	s_mov_b32 s0, 0
	s_mov_b32 s3, -1
	s_waitcnt vmcnt(0)
	v_lshlrev_b32_e32 v8, 16, v8
	s_branch .LBB38_1516
.LBB38_1505:
	s_mov_b32 s0, -1
	s_mov_b32 s3, 0
                                        ; implicit-def: $vgpr8
	s_branch .LBB38_1582
.LBB38_1506:
	s_mov_b32 s6, -1
	s_mov_b32 s3, 0
	s_mov_b32 s0, 0
                                        ; implicit-def: $vgpr8
	s_branch .LBB38_1545
.LBB38_1507:
	s_mov_b32 s6, -1
	s_mov_b32 s3, 0
	s_mov_b32 s0, 0
                                        ; implicit-def: $vgpr8
	s_branch .LBB38_1526
.LBB38_1508:
	s_mov_b32 s6, -1
	s_mov_b32 s3, 0
	s_mov_b32 s0, 0
                                        ; implicit-def: $vgpr8
	s_branch .LBB38_1521
.LBB38_1509:
	s_cbranch_execnz .LBB38_1512
; %bb.1510:
	s_or_b32 s14, s14, exec_lo
                                        ; implicit-def: $vgpr9
	s_cbranch_execz .LBB38_1485
	s_branch .LBB38_1486
.LBB38_1511:
	s_mov_b32 s6, -1
	s_mov_b32 s3, 0
	s_mov_b32 s0, 0
	s_branch .LBB38_1515
.LBB38_1512:
	s_trap 2
	s_sendmsg_rtn_b32 s0, sendmsg(MSG_RTN_GET_DOORBELL)
	s_mov_b32 ttmp2, m0
	s_waitcnt lgkmcnt(0)
	s_and_b32 s0, s0, 0x3ff
	s_delay_alu instid0(SALU_CYCLE_1) | instskip(NEXT) | instid1(SALU_CYCLE_1)
	s_bitset1_b32 s0, 10
	s_mov_b32 m0, s0
	s_sendmsg sendmsg(MSG_INTERRUPT)
	s_mov_b32 m0, ttmp2
.LBB38_1513:                            ; =>This Inner Loop Header: Depth=1
	s_sethalt 5
	s_branch .LBB38_1513
.LBB38_1514:
	s_mov_b32 s0, -1
	s_mov_b32 s3, 0
.LBB38_1515:
                                        ; implicit-def: $vgpr8
.LBB38_1516:
	s_and_b32 vcc_lo, exec_lo, s6
	s_cbranch_vccz .LBB38_1520
; %bb.1517:
	v_cmp_eq_u16_e32 vcc_lo, 44, v7
	s_cbranch_vccz .LBB38_1519
; %bb.1518:
	global_load_u8 v8, v[3:4], off
	s_mov_b32 s0, 0
	s_mov_b32 s3, -1
	s_waitcnt vmcnt(0)
	v_lshlrev_b32_e32 v9, 23, v8
	v_cmp_ne_u32_e32 vcc_lo, 0xff, v8
	s_delay_alu instid0(VALU_DEP_2) | instskip(SKIP_1) | instid1(VALU_DEP_2)
	v_cndmask_b32_e32 v9, 0x7f800001, v9, vcc_lo
	v_cmp_ne_u32_e32 vcc_lo, 0, v8
	v_cndmask_b32_e32 v8, 0x400000, v9, vcc_lo
	s_branch .LBB38_1520
.LBB38_1519:
	s_mov_b32 s0, -1
                                        ; implicit-def: $vgpr8
.LBB38_1520:
	s_mov_b32 s6, 0
.LBB38_1521:
	s_delay_alu instid0(SALU_CYCLE_1)
	s_and_b32 vcc_lo, exec_lo, s6
	s_cbranch_vccz .LBB38_1525
; %bb.1522:
	v_cmp_eq_u16_e32 vcc_lo, 29, v7
	s_cbranch_vccz .LBB38_1524
; %bb.1523:
	global_load_b64 v[8:9], v[3:4], off
	s_mov_b32 s0, 0
	s_mov_b32 s3, -1
	s_mov_b32 s6, 0
	s_waitcnt vmcnt(0)
	v_clz_i32_u32_e32 v10, v9
	s_delay_alu instid0(VALU_DEP_1) | instskip(NEXT) | instid1(VALU_DEP_1)
	v_min_u32_e32 v10, 32, v10
	v_lshlrev_b64 v[8:9], v10, v[8:9]
	s_delay_alu instid0(VALU_DEP_1) | instskip(NEXT) | instid1(VALU_DEP_1)
	v_min_u32_e32 v8, 1, v8
	v_or_b32_e32 v8, v9, v8
	v_sub_nc_u32_e32 v9, 32, v10
	s_delay_alu instid0(VALU_DEP_2) | instskip(NEXT) | instid1(VALU_DEP_1)
	v_cvt_f32_u32_e32 v8, v8
	v_ldexp_f32 v8, v8, v9
	s_branch .LBB38_1526
.LBB38_1524:
	s_mov_b32 s0, -1
                                        ; implicit-def: $vgpr8
.LBB38_1525:
	s_mov_b32 s6, 0
.LBB38_1526:
	s_delay_alu instid0(SALU_CYCLE_1)
	s_and_b32 vcc_lo, exec_lo, s6
	s_cbranch_vccz .LBB38_1544
; %bb.1527:
	v_cmp_gt_i16_e32 vcc_lo, 27, v7
	s_cbranch_vccnz .LBB38_1530
; %bb.1528:
	v_cmp_lt_i16_e32 vcc_lo, 27, v7
	s_cbranch_vccz .LBB38_1531
; %bb.1529:
	global_load_b32 v8, v[3:4], off
	s_mov_b32 s3, 0
	s_waitcnt vmcnt(0)
	v_cvt_f32_u32_e32 v8, v8
	s_branch .LBB38_1532
.LBB38_1530:
	s_mov_b32 s3, -1
                                        ; implicit-def: $vgpr8
	s_branch .LBB38_1535
.LBB38_1531:
	s_mov_b32 s3, -1
                                        ; implicit-def: $vgpr8
.LBB38_1532:
	s_delay_alu instid0(SALU_CYCLE_1)
	s_and_not1_b32 vcc_lo, exec_lo, s3
	s_cbranch_vccnz .LBB38_1534
; %bb.1533:
	global_load_u16 v8, v[3:4], off
	s_waitcnt vmcnt(0)
	v_cvt_f32_u32_e32 v8, v8
.LBB38_1534:
	s_mov_b32 s3, 0
.LBB38_1535:
	s_delay_alu instid0(SALU_CYCLE_1)
	s_and_not1_b32 vcc_lo, exec_lo, s3
	s_cbranch_vccnz .LBB38_1543
; %bb.1536:
	global_load_u8 v9, v[3:4], off
	s_mov_b32 s3, 0
	s_mov_b32 s7, exec_lo
                                        ; implicit-def: $sgpr6
	s_waitcnt vmcnt(0)
	v_cmpx_lt_i16_e32 0x7f, v9
	s_xor_b32 s7, exec_lo, s7
	s_cbranch_execz .LBB38_1557
; %bb.1537:
	s_mov_b32 s3, -1
	s_mov_b32 s8, exec_lo
                                        ; implicit-def: $sgpr6
	v_cmpx_eq_u16_e32 0x80, v9
; %bb.1538:
	s_mov_b32 s6, 0x7f800001
	s_xor_b32 s3, exec_lo, -1
; %bb.1539:
	s_or_b32 exec_lo, exec_lo, s8
	s_delay_alu instid0(SALU_CYCLE_1)
	s_and_b32 s3, s3, exec_lo
	s_or_saveexec_b32 s7, s7
	v_mov_b32_e32 v8, s6
	s_xor_b32 exec_lo, exec_lo, s7
	s_cbranch_execnz .LBB38_1558
.LBB38_1540:
	s_or_b32 exec_lo, exec_lo, s7
	s_and_saveexec_b32 s6, s3
	s_cbranch_execz .LBB38_1542
.LBB38_1541:
	v_and_b32_e32 v8, 0xffff, v9
	s_delay_alu instid0(VALU_DEP_1) | instskip(NEXT) | instid1(VALU_DEP_1)
	v_and_b32_e32 v10, 7, v8
	v_clz_i32_u32_e32 v11, v10
	s_delay_alu instid0(VALU_DEP_1) | instskip(NEXT) | instid1(VALU_DEP_1)
	v_min_u32_e32 v11, 32, v11
	v_subrev_nc_u32_e32 v12, 28, v11
	v_sub_nc_u32_e32 v11, 29, v11
	s_delay_alu instid0(VALU_DEP_2) | instskip(SKIP_1) | instid1(VALU_DEP_2)
	v_lshlrev_b32_e32 v12, v12, v8
	v_bfe_u32 v8, v8, 3, 4
	v_and_b32_e32 v12, 7, v12
	s_delay_alu instid0(VALU_DEP_2) | instskip(SKIP_1) | instid1(VALU_DEP_1)
	v_cmp_eq_u32_e32 vcc_lo, 0, v8
	v_dual_cndmask_b32 v8, v8, v11 :: v_dual_lshlrev_b32 v9, 24, v9
	v_dual_cndmask_b32 v10, v10, v12 :: v_dual_and_b32 v9, 0x80000000, v9
	s_delay_alu instid0(VALU_DEP_2) | instskip(NEXT) | instid1(VALU_DEP_2)
	v_lshl_add_u32 v8, v8, 23, 0x3b800000
	v_lshlrev_b32_e32 v10, 20, v10
	s_delay_alu instid0(VALU_DEP_1)
	v_or3_b32 v8, v9, v8, v10
.LBB38_1542:
	s_or_b32 exec_lo, exec_lo, s6
.LBB38_1543:
	s_mov_b32 s3, -1
.LBB38_1544:
	s_mov_b32 s6, 0
.LBB38_1545:
	s_delay_alu instid0(SALU_CYCLE_1)
	s_and_b32 vcc_lo, exec_lo, s6
	s_cbranch_vccz .LBB38_1578
; %bb.1546:
	v_cmp_lt_i16_e32 vcc_lo, 22, v7
	s_cbranch_vccz .LBB38_1556
; %bb.1547:
	v_cmp_gt_i16_e32 vcc_lo, 24, v7
	s_cbranch_vccnz .LBB38_1559
; %bb.1548:
	v_cmp_lt_i16_e32 vcc_lo, 24, v7
	s_cbranch_vccz .LBB38_1560
; %bb.1549:
	global_load_u8 v9, v[3:4], off
	s_mov_b32 s6, exec_lo
                                        ; implicit-def: $sgpr3
	s_waitcnt vmcnt(0)
	v_cmpx_lt_i16_e32 0x7f, v9
	s_xor_b32 s6, exec_lo, s6
	s_cbranch_execz .LBB38_1572
; %bb.1550:
	s_mov_b32 s1, -1
	s_mov_b32 s7, exec_lo
                                        ; implicit-def: $sgpr3
	v_cmpx_eq_u16_e32 0x80, v9
; %bb.1551:
	s_mov_b32 s3, 0x7f800001
	s_xor_b32 s1, exec_lo, -1
; %bb.1552:
	s_or_b32 exec_lo, exec_lo, s7
	s_delay_alu instid0(SALU_CYCLE_1)
	s_and_b32 s1, s1, exec_lo
	s_or_saveexec_b32 s6, s6
	v_mov_b32_e32 v8, s3
	s_xor_b32 exec_lo, exec_lo, s6
	s_cbranch_execnz .LBB38_1573
.LBB38_1553:
	s_or_b32 exec_lo, exec_lo, s6
	s_and_saveexec_b32 s3, s1
	s_cbranch_execz .LBB38_1555
.LBB38_1554:
	v_and_b32_e32 v8, 0xffff, v9
	s_delay_alu instid0(VALU_DEP_1) | instskip(NEXT) | instid1(VALU_DEP_1)
	v_and_b32_e32 v10, 3, v8
	v_clz_i32_u32_e32 v11, v10
	s_delay_alu instid0(VALU_DEP_1) | instskip(NEXT) | instid1(VALU_DEP_1)
	v_min_u32_e32 v11, 32, v11
	v_subrev_nc_u32_e32 v12, 29, v11
	v_sub_nc_u32_e32 v11, 30, v11
	s_delay_alu instid0(VALU_DEP_2) | instskip(SKIP_1) | instid1(VALU_DEP_2)
	v_lshlrev_b32_e32 v12, v12, v8
	v_bfe_u32 v8, v8, 2, 5
	v_and_b32_e32 v12, 3, v12
	s_delay_alu instid0(VALU_DEP_2) | instskip(SKIP_1) | instid1(VALU_DEP_1)
	v_cmp_eq_u32_e32 vcc_lo, 0, v8
	v_dual_cndmask_b32 v8, v8, v11 :: v_dual_lshlrev_b32 v9, 24, v9
	v_dual_cndmask_b32 v10, v10, v12 :: v_dual_and_b32 v9, 0x80000000, v9
	s_delay_alu instid0(VALU_DEP_2) | instskip(NEXT) | instid1(VALU_DEP_2)
	v_lshl_add_u32 v8, v8, 23, 0x37800000
	v_lshlrev_b32_e32 v10, 21, v10
	s_delay_alu instid0(VALU_DEP_1)
	v_or3_b32 v8, v9, v8, v10
.LBB38_1555:
	s_or_b32 exec_lo, exec_lo, s3
	s_mov_b32 s1, 0
	s_branch .LBB38_1561
.LBB38_1556:
	s_mov_b32 s1, -1
                                        ; implicit-def: $vgpr8
	s_branch .LBB38_1567
.LBB38_1557:
	s_or_saveexec_b32 s7, s7
	v_mov_b32_e32 v8, s6
	s_xor_b32 exec_lo, exec_lo, s7
	s_cbranch_execz .LBB38_1540
.LBB38_1558:
	v_cmp_ne_u16_e32 vcc_lo, 0, v9
	v_mov_b32_e32 v8, 0
	s_and_not1_b32 s3, s3, exec_lo
	s_and_b32 s6, vcc_lo, exec_lo
	s_delay_alu instid0(SALU_CYCLE_1)
	s_or_b32 s3, s3, s6
	s_or_b32 exec_lo, exec_lo, s7
	s_and_saveexec_b32 s6, s3
	s_cbranch_execnz .LBB38_1541
	s_branch .LBB38_1542
.LBB38_1559:
	s_mov_b32 s1, -1
                                        ; implicit-def: $vgpr8
	s_branch .LBB38_1564
.LBB38_1560:
	s_mov_b32 s1, -1
                                        ; implicit-def: $vgpr8
.LBB38_1561:
	s_delay_alu instid0(SALU_CYCLE_1)
	s_and_b32 vcc_lo, exec_lo, s1
	s_cbranch_vccz .LBB38_1563
; %bb.1562:
	global_load_u8 v8, v[3:4], off
	s_waitcnt vmcnt(0)
	v_lshlrev_b32_e32 v8, 24, v8
	s_delay_alu instid0(VALU_DEP_1) | instskip(NEXT) | instid1(VALU_DEP_1)
	v_and_b32_e32 v9, 0x7f000000, v8
	v_clz_i32_u32_e32 v10, v9
	v_add_nc_u32_e32 v12, 0x1000000, v9
	v_cmp_ne_u32_e32 vcc_lo, 0, v9
	s_delay_alu instid0(VALU_DEP_3) | instskip(NEXT) | instid1(VALU_DEP_1)
	v_min_u32_e32 v10, 32, v10
	v_sub_nc_u32_e64 v10, v10, 4 clamp
	s_delay_alu instid0(VALU_DEP_1) | instskip(SKIP_1) | instid1(VALU_DEP_2)
	v_lshlrev_b32_e32 v11, v10, v9
	v_lshlrev_b32_e32 v10, 23, v10
	v_lshrrev_b32_e32 v11, 4, v11
	s_delay_alu instid0(VALU_DEP_1) | instskip(SKIP_1) | instid1(VALU_DEP_2)
	v_sub_nc_u32_e32 v10, v11, v10
	v_ashrrev_i32_e32 v11, 8, v12
	v_add_nc_u32_e32 v10, 0x3c000000, v10
	s_delay_alu instid0(VALU_DEP_1) | instskip(NEXT) | instid1(VALU_DEP_1)
	v_and_or_b32 v10, 0x7f800000, v11, v10
	v_cndmask_b32_e32 v9, 0, v10, vcc_lo
	s_delay_alu instid0(VALU_DEP_1)
	v_and_or_b32 v8, 0x80000000, v8, v9
.LBB38_1563:
	s_mov_b32 s1, 0
.LBB38_1564:
	s_delay_alu instid0(SALU_CYCLE_1)
	s_and_not1_b32 vcc_lo, exec_lo, s1
	s_cbranch_vccnz .LBB38_1566
; %bb.1565:
	global_load_u8 v8, v[3:4], off
	s_waitcnt vmcnt(0)
	v_lshlrev_b32_e32 v9, 25, v8
	v_lshlrev_b16 v8, 8, v8
	s_delay_alu instid0(VALU_DEP_2) | instskip(NEXT) | instid1(VALU_DEP_2)
	v_lshrrev_b32_e32 v10, 4, v9
	v_and_or_b32 v11, 0x7f00, v8, 0.5
	v_bfe_i32 v8, v8, 0, 16
	s_delay_alu instid0(VALU_DEP_3) | instskip(NEXT) | instid1(VALU_DEP_1)
	v_or_b32_e32 v10, 0x70000000, v10
	v_dual_add_f32 v11, -0.5, v11 :: v_dual_mul_f32 v10, 0x7800000, v10
	v_cmp_gt_u32_e32 vcc_lo, 0x8000000, v9
	s_delay_alu instid0(VALU_DEP_2) | instskip(NEXT) | instid1(VALU_DEP_1)
	v_cndmask_b32_e32 v9, v10, v11, vcc_lo
	v_and_or_b32 v8, 0x80000000, v8, v9
.LBB38_1566:
	s_mov_b32 s1, 0
	s_mov_b32 s3, -1
.LBB38_1567:
	s_and_not1_b32 vcc_lo, exec_lo, s1
	s_mov_b32 s1, 0
	s_cbranch_vccnz .LBB38_1578
; %bb.1568:
	v_cmp_lt_i16_e32 vcc_lo, 14, v7
	s_cbranch_vccz .LBB38_1571
; %bb.1569:
	v_cmp_eq_u16_e32 vcc_lo, 15, v7
	s_cbranch_vccz .LBB38_1574
; %bb.1570:
	global_load_u16 v8, v[3:4], off
	s_mov_b32 s0, 0
	s_mov_b32 s3, -1
	s_waitcnt vmcnt(0)
	v_lshlrev_b32_e32 v8, 16, v8
	s_branch .LBB38_1576
.LBB38_1571:
	s_mov_b32 s1, -1
	s_branch .LBB38_1575
.LBB38_1572:
	s_or_saveexec_b32 s6, s6
	v_mov_b32_e32 v8, s3
	s_xor_b32 exec_lo, exec_lo, s6
	s_cbranch_execz .LBB38_1553
.LBB38_1573:
	v_cmp_ne_u16_e32 vcc_lo, 0, v9
	v_mov_b32_e32 v8, 0
	s_and_not1_b32 s1, s1, exec_lo
	s_and_b32 s3, vcc_lo, exec_lo
	s_delay_alu instid0(SALU_CYCLE_1)
	s_or_b32 s1, s1, s3
	s_or_b32 exec_lo, exec_lo, s6
	s_and_saveexec_b32 s3, s1
	s_cbranch_execnz .LBB38_1554
	s_branch .LBB38_1555
.LBB38_1574:
	s_mov_b32 s0, -1
.LBB38_1575:
                                        ; implicit-def: $vgpr8
.LBB38_1576:
	s_and_b32 vcc_lo, exec_lo, s1
	s_mov_b32 s1, 0
	s_cbranch_vccz .LBB38_1578
; %bb.1577:
	v_cmp_ne_u16_e64 s0, 11, v7
	s_mov_b32 s1, -1
                                        ; implicit-def: $vgpr8
.LBB38_1578:
	s_delay_alu instid0(VALU_DEP_1)
	s_and_b32 vcc_lo, exec_lo, s0
	s_cbranch_vccnz .LBB38_2122
; %bb.1579:
	s_and_not1_b32 vcc_lo, exec_lo, s1
	s_cbranch_vccnz .LBB38_1581
.LBB38_1580:
	global_load_u8 v8, v[3:4], off
	s_mov_b32 s3, -1
	s_waitcnt vmcnt(0)
	v_cmp_ne_u16_e32 vcc_lo, 0, v8
	v_cndmask_b32_e64 v8, 0, 1.0, vcc_lo
.LBB38_1581:
	s_mov_b32 s0, 0
.LBB38_1582:
	s_delay_alu instid0(SALU_CYCLE_1)
	s_and_b32 vcc_lo, exec_lo, s0
	s_cbranch_vccz .LBB38_1631
; %bb.1583:
	v_cmp_gt_i16_e32 vcc_lo, 5, v7
	s_cbranch_vccnz .LBB38_1588
; %bb.1584:
	v_cmp_gt_i16_e32 vcc_lo, 8, v7
	s_cbranch_vccnz .LBB38_1589
	;; [unrolled: 3-line block ×3, first 2 shown]
; %bb.1586:
	v_cmp_lt_i16_e32 vcc_lo, 9, v7
	s_cbranch_vccz .LBB38_1591
; %bb.1587:
	global_load_b64 v[8:9], v[3:4], off
	s_mov_b32 s0, 0
	s_waitcnt vmcnt(0)
	v_cvt_f32_f64_e32 v8, v[8:9]
	s_branch .LBB38_1592
.LBB38_1588:
	s_mov_b32 s0, -1
                                        ; implicit-def: $vgpr8
	s_branch .LBB38_1610
.LBB38_1589:
	s_mov_b32 s0, -1
                                        ; implicit-def: $vgpr8
	s_branch .LBB38_1598
.LBB38_1590:
	s_mov_b32 s0, -1
                                        ; implicit-def: $vgpr8
	s_branch .LBB38_1595
.LBB38_1591:
	s_mov_b32 s0, -1
                                        ; implicit-def: $vgpr8
.LBB38_1592:
	s_delay_alu instid0(SALU_CYCLE_1)
	s_and_not1_b32 vcc_lo, exec_lo, s0
	s_cbranch_vccnz .LBB38_1594
; %bb.1593:
	global_load_b32 v8, v[3:4], off
.LBB38_1594:
	s_mov_b32 s0, 0
.LBB38_1595:
	s_delay_alu instid0(SALU_CYCLE_1)
	s_and_not1_b32 vcc_lo, exec_lo, s0
	s_cbranch_vccnz .LBB38_1597
; %bb.1596:
	global_load_b32 v8, v[3:4], off
	s_waitcnt vmcnt(0)
	v_cvt_f32_f16_e32 v8, v8
.LBB38_1597:
	s_mov_b32 s0, 0
.LBB38_1598:
	s_delay_alu instid0(SALU_CYCLE_1)
	s_and_not1_b32 vcc_lo, exec_lo, s0
	s_cbranch_vccnz .LBB38_1609
; %bb.1599:
	v_cmp_gt_i16_e32 vcc_lo, 6, v7
	s_cbranch_vccnz .LBB38_1602
; %bb.1600:
	v_cmp_lt_i16_e32 vcc_lo, 6, v7
	s_cbranch_vccz .LBB38_1603
; %bb.1601:
	global_load_b64 v[8:9], v[3:4], off
	s_mov_b32 s0, 0
	s_waitcnt vmcnt(0)
	v_cvt_f32_f64_e32 v8, v[8:9]
	s_branch .LBB38_1604
.LBB38_1602:
	s_mov_b32 s0, -1
                                        ; implicit-def: $vgpr8
	s_branch .LBB38_1607
.LBB38_1603:
	s_mov_b32 s0, -1
                                        ; implicit-def: $vgpr8
.LBB38_1604:
	s_delay_alu instid0(SALU_CYCLE_1)
	s_and_not1_b32 vcc_lo, exec_lo, s0
	s_cbranch_vccnz .LBB38_1606
; %bb.1605:
	global_load_b32 v8, v[3:4], off
.LBB38_1606:
	s_mov_b32 s0, 0
.LBB38_1607:
	s_delay_alu instid0(SALU_CYCLE_1)
	s_and_not1_b32 vcc_lo, exec_lo, s0
	s_cbranch_vccnz .LBB38_1609
; %bb.1608:
	global_load_u16 v8, v[3:4], off
	s_waitcnt vmcnt(0)
	v_cvt_f32_f16_e32 v8, v8
.LBB38_1609:
	s_mov_b32 s0, 0
.LBB38_1610:
	s_delay_alu instid0(SALU_CYCLE_1)
	s_and_not1_b32 vcc_lo, exec_lo, s0
	s_cbranch_vccnz .LBB38_1630
; %bb.1611:
	v_cmp_gt_i16_e32 vcc_lo, 2, v7
	s_cbranch_vccnz .LBB38_1615
; %bb.1612:
	v_cmp_gt_i16_e32 vcc_lo, 3, v7
	s_cbranch_vccnz .LBB38_1616
; %bb.1613:
	v_cmp_lt_i16_e32 vcc_lo, 3, v7
	s_cbranch_vccz .LBB38_1617
; %bb.1614:
	global_load_b64 v[8:9], v[3:4], off
	s_mov_b32 s0, 0
	s_waitcnt vmcnt(0)
	v_xor_b32_e32 v10, v8, v9
	v_cls_i32_e32 v11, v9
	s_delay_alu instid0(VALU_DEP_2) | instskip(NEXT) | instid1(VALU_DEP_2)
	v_ashrrev_i32_e32 v10, 31, v10
	v_add_nc_u32_e32 v11, -1, v11
	s_delay_alu instid0(VALU_DEP_2) | instskip(NEXT) | instid1(VALU_DEP_1)
	v_add_nc_u32_e32 v10, 32, v10
	v_min_u32_e32 v10, v11, v10
	s_delay_alu instid0(VALU_DEP_1) | instskip(NEXT) | instid1(VALU_DEP_1)
	v_lshlrev_b64 v[8:9], v10, v[8:9]
	v_min_u32_e32 v8, 1, v8
	s_delay_alu instid0(VALU_DEP_1) | instskip(SKIP_1) | instid1(VALU_DEP_2)
	v_or_b32_e32 v8, v9, v8
	v_sub_nc_u32_e32 v9, 32, v10
	v_cvt_f32_i32_e32 v8, v8
	s_delay_alu instid0(VALU_DEP_1)
	v_ldexp_f32 v8, v8, v9
	s_branch .LBB38_1618
.LBB38_1615:
	s_mov_b32 s0, -1
                                        ; implicit-def: $vgpr8
	s_branch .LBB38_1624
.LBB38_1616:
	s_mov_b32 s0, -1
                                        ; implicit-def: $vgpr8
	s_branch .LBB38_1621
.LBB38_1617:
	s_mov_b32 s0, -1
                                        ; implicit-def: $vgpr8
.LBB38_1618:
	s_delay_alu instid0(SALU_CYCLE_1)
	s_and_not1_b32 vcc_lo, exec_lo, s0
	s_cbranch_vccnz .LBB38_1620
; %bb.1619:
	global_load_b32 v8, v[3:4], off
	s_waitcnt vmcnt(0)
	v_cvt_f32_i32_e32 v8, v8
.LBB38_1620:
	s_mov_b32 s0, 0
.LBB38_1621:
	s_delay_alu instid0(SALU_CYCLE_1)
	s_and_not1_b32 vcc_lo, exec_lo, s0
	s_cbranch_vccnz .LBB38_1623
; %bb.1622:
	global_load_i16 v8, v[3:4], off
	s_waitcnt vmcnt(0)
	v_cvt_f32_i32_e32 v8, v8
.LBB38_1623:
	s_mov_b32 s0, 0
.LBB38_1624:
	s_delay_alu instid0(SALU_CYCLE_1)
	s_and_not1_b32 vcc_lo, exec_lo, s0
	s_cbranch_vccnz .LBB38_1630
; %bb.1625:
	v_cmp_lt_i16_e32 vcc_lo, 0, v7
	s_mov_b32 s0, 0
	s_cbranch_vccz .LBB38_1627
; %bb.1626:
	global_load_i8 v7, v[3:4], off
	s_waitcnt vmcnt(0)
	v_cvt_f32_i32_e32 v8, v7
	s_branch .LBB38_1628
.LBB38_1627:
	s_mov_b32 s0, -1
                                        ; implicit-def: $vgpr8
.LBB38_1628:
	s_delay_alu instid0(SALU_CYCLE_1)
	s_and_not1_b32 vcc_lo, exec_lo, s0
	s_cbranch_vccnz .LBB38_1630
; %bb.1629:
	global_load_u8 v3, v[3:4], off
	s_waitcnt vmcnt(0)
	v_cvt_f32_ubyte0_e32 v8, v3
.LBB38_1630:
	s_mov_b32 s3, -1
.LBB38_1631:
	s_delay_alu instid0(SALU_CYCLE_1)
	s_and_not1_b32 vcc_lo, exec_lo, s3
	s_cbranch_vccnz .LBB38_1639
; %bb.1632:
	v_cmp_ne_u32_e32 vcc_lo, 1, v1
	v_mov_b32_e32 v4, 0
	s_cbranch_vccnz .LBB38_1687
; %bb.1633:
	v_cmp_lt_i64_e64 s0, s[10:11], 1
	v_mov_b32_e32 v4, 1.0
	s_delay_alu instid0(VALU_DEP_2)
	s_and_b32 vcc_lo, exec_lo, s0
	s_cbranch_vccnz .LBB38_1687
; %bb.1634:
	s_cmp_lg_u64 s[10:11], 1
	s_cbranch_scc0 .LBB38_1684
; %bb.1635:
	v_cmp_lt_u64_e64 s0, 0x80, s[10:11]
	v_mov_b32_e32 v4, 0x7fc00000
	s_delay_alu instid0(VALU_DEP_2)
	s_and_b32 vcc_lo, exec_lo, s0
	s_cbranch_vccnz .LBB38_1638
; %bb.1636:
	s_waitcnt vmcnt(0)
	v_add_f32_e32 v1, v8, v8
	v_mov_b32_e32 v3, 1.0
	s_lshl_b64 s[0:1], s[10:11], 1
	s_mov_b64 s[6:7], 2
	s_delay_alu instid0(VALU_DEP_2)
	v_mov_b32_e32 v4, v1
.LBB38_1637:                            ; =>This Inner Loop Header: Depth=1
	s_clz_i32_u32 s3, s7
	s_delay_alu instid0(SALU_CYCLE_1) | instskip(NEXT) | instid1(SALU_CYCLE_1)
	s_min_u32 s3, s3, 32
	s_lshl_b64 s[10:11], s[6:7], s3
	s_sub_i32 s3, 32, s3
	s_min_u32 s8, s10, 1
	s_delay_alu instid0(SALU_CYCLE_1) | instskip(SKIP_3) | instid1(VALU_DEP_1)
	s_or_b32 s8, s11, s8
	s_add_u32 s6, s6, 2
	v_cvt_f32_u32_e32 v7, s8
	s_addc_u32 s7, s7, 0
	v_ldexp_f32 v7, v7, s3
	v_cmp_lt_u64_e64 s3, s[6:7], s[0:1]
	s_delay_alu instid0(VALU_DEP_2) | instskip(SKIP_1) | instid1(VALU_DEP_3)
	v_mul_f32_e32 v7, v3, v7
	v_mov_b32_e32 v3, v4
	s_and_b32 vcc_lo, exec_lo, s3
	s_delay_alu instid0(VALU_DEP_2)
	v_fma_f32 v4, v1, v4, -v7
	s_cbranch_vccnz .LBB38_1637
.LBB38_1638:
	s_mov_b32 s0, 0
	s_branch .LBB38_1685
.LBB38_1639:
	s_mov_b32 s0, 0
	s_mov_b32 s1, 0
                                        ; implicit-def: $vgpr8
                                        ; implicit-def: $vgpr0_vgpr1
                                        ; implicit-def: $vgpr4
.LBB38_1640:
	s_and_not1_b32 s2, s16, exec_lo
	s_and_b32 s3, s14, exec_lo
	s_and_b32 s0, s0, exec_lo
	;; [unrolled: 1-line block ×3, first 2 shown]
	s_or_b32 s16, s2, s3
.LBB38_1641:
	s_or_b32 exec_lo, exec_lo, s15
	s_and_saveexec_b32 s1, s16
	s_cbranch_execz .LBB38_1644
; %bb.1642:
	; divergent unreachable
	s_or_b32 exec_lo, exec_lo, s1
	s_and_saveexec_b32 s1, s14
	s_delay_alu instid0(SALU_CYCLE_1)
	s_xor_b32 s1, exec_lo, s1
	s_cbranch_execnz .LBB38_1645
.LBB38_1643:
	s_or_b32 exec_lo, exec_lo, s1
	s_and_saveexec_b32 s1, s0
	s_cbranch_execnz .LBB38_1646
	s_branch .LBB38_1683
.LBB38_1644:
	s_or_b32 exec_lo, exec_lo, s1
	s_and_saveexec_b32 s1, s14
	s_delay_alu instid0(SALU_CYCLE_1)
	s_xor_b32 s1, exec_lo, s1
	s_cbranch_execz .LBB38_1643
.LBB38_1645:
	s_waitcnt vmcnt(0)
	v_cmp_neq_f32_e32 vcc_lo, 0, v4
	v_cndmask_b32_e64 v2, 0, 1, vcc_lo
	global_store_b8 v[0:1], v2, off
	s_or_b32 exec_lo, exec_lo, s1
	s_and_saveexec_b32 s1, s0
	s_cbranch_execz .LBB38_1683
.LBB38_1646:
	s_waitcnt vmcnt(0)
	s_delay_alu instid0(VALU_DEP_1)
	v_cmp_gt_i16_e32 vcc_lo, 5, v8
	s_mov_b32 s0, -1
	s_cbranch_vccnz .LBB38_1667
; %bb.1647:
	v_cmp_gt_i16_e32 vcc_lo, 8, v8
	s_cbranch_vccnz .LBB38_1657
; %bb.1648:
	v_cmp_gt_i16_e32 vcc_lo, 9, v8
	s_cbranch_vccnz .LBB38_1654
; %bb.1649:
	v_cmp_lt_i16_e32 vcc_lo, 9, v8
	s_cbranch_vccz .LBB38_1651
; %bb.1650:
	v_cvt_f64_f32_e32 v[9:10], v4
	v_mov_b32_e32 v11, 0
	s_mov_b32 s0, 0
	s_delay_alu instid0(VALU_DEP_1)
	v_mov_b32_e32 v12, v11
	global_store_b128 v[0:1], v[9:12], off
.LBB38_1651:
	s_and_not1_b32 vcc_lo, exec_lo, s0
	s_cbranch_vccnz .LBB38_1653
; %bb.1652:
	v_mov_b32_e32 v5, 0
	global_store_b64 v[0:1], v[4:5], off
.LBB38_1653:
	s_mov_b32 s0, 0
.LBB38_1654:
	s_delay_alu instid0(SALU_CYCLE_1)
	s_and_not1_b32 vcc_lo, exec_lo, s0
	s_cbranch_vccnz .LBB38_1656
; %bb.1655:
	v_cvt_f16_f32_e32 v2, v4
	s_delay_alu instid0(VALU_DEP_1)
	v_and_b32_e32 v2, 0xffff, v2
	global_store_b32 v[0:1], v2, off
.LBB38_1656:
	s_mov_b32 s0, 0
.LBB38_1657:
	s_delay_alu instid0(SALU_CYCLE_1)
	s_and_not1_b32 vcc_lo, exec_lo, s0
	s_cbranch_vccnz .LBB38_1666
; %bb.1658:
	v_cmp_gt_i16_e32 vcc_lo, 6, v8
	s_mov_b32 s0, -1
	s_cbranch_vccnz .LBB38_1664
; %bb.1659:
	v_cmp_lt_i16_e32 vcc_lo, 6, v8
	s_cbranch_vccz .LBB38_1661
; %bb.1660:
	v_cvt_f64_f32_e32 v[2:3], v4
	s_mov_b32 s0, 0
	global_store_b64 v[0:1], v[2:3], off
.LBB38_1661:
	s_and_not1_b32 vcc_lo, exec_lo, s0
	s_cbranch_vccnz .LBB38_1663
; %bb.1662:
	global_store_b32 v[0:1], v4, off
.LBB38_1663:
	s_mov_b32 s0, 0
.LBB38_1664:
	s_delay_alu instid0(SALU_CYCLE_1)
	s_and_not1_b32 vcc_lo, exec_lo, s0
	s_cbranch_vccnz .LBB38_1666
; %bb.1665:
	v_cvt_f16_f32_e32 v2, v4
	global_store_b16 v[0:1], v2, off
.LBB38_1666:
	s_mov_b32 s0, 0
.LBB38_1667:
	s_delay_alu instid0(SALU_CYCLE_1)
	s_and_not1_b32 vcc_lo, exec_lo, s0
	s_cbranch_vccnz .LBB38_1683
; %bb.1668:
	v_cmp_gt_i16_e32 vcc_lo, 2, v8
	s_mov_b32 s0, -1
	s_cbranch_vccnz .LBB38_1678
; %bb.1669:
	v_cmp_gt_i16_e32 vcc_lo, 3, v8
	s_cbranch_vccnz .LBB38_1675
; %bb.1670:
	v_cmp_lt_i16_e32 vcc_lo, 3, v8
	s_cbranch_vccz .LBB38_1672
; %bb.1671:
	v_trunc_f32_e32 v2, v4
	s_mov_b32 s0, 0
	s_delay_alu instid0(VALU_DEP_1) | instskip(SKIP_1) | instid1(VALU_DEP_2)
	v_mul_f32_e64 v3, 0x2f800000, |v2|
	v_ashrrev_i32_e32 v6, 31, v2
	v_floor_f32_e32 v3, v3
	s_delay_alu instid0(VALU_DEP_1) | instskip(SKIP_1) | instid1(VALU_DEP_2)
	v_fma_f32 v5, 0xcf800000, v3, |v2|
	v_cvt_u32_f32_e32 v3, v3
	v_cvt_u32_f32_e32 v2, v5
	s_delay_alu instid0(VALU_DEP_2) | instskip(NEXT) | instid1(VALU_DEP_2)
	v_xor_b32_e32 v3, v3, v6
	v_xor_b32_e32 v2, v2, v6
	s_delay_alu instid0(VALU_DEP_1) | instskip(NEXT) | instid1(VALU_DEP_3)
	v_sub_co_u32 v2, vcc_lo, v2, v6
	v_sub_co_ci_u32_e32 v3, vcc_lo, v3, v6, vcc_lo
	global_store_b64 v[0:1], v[2:3], off
.LBB38_1672:
	s_and_not1_b32 vcc_lo, exec_lo, s0
	s_cbranch_vccnz .LBB38_1674
; %bb.1673:
	v_cvt_i32_f32_e32 v2, v4
	global_store_b32 v[0:1], v2, off
.LBB38_1674:
	s_mov_b32 s0, 0
.LBB38_1675:
	s_delay_alu instid0(SALU_CYCLE_1)
	s_and_not1_b32 vcc_lo, exec_lo, s0
	s_cbranch_vccnz .LBB38_1677
; %bb.1676:
	v_cvt_i32_f32_e32 v2, v4
	global_store_b16 v[0:1], v2, off
.LBB38_1677:
	s_mov_b32 s0, 0
.LBB38_1678:
	s_delay_alu instid0(SALU_CYCLE_1)
	s_and_not1_b32 vcc_lo, exec_lo, s0
	s_cbranch_vccnz .LBB38_1683
; %bb.1679:
	v_cmp_lt_i16_e32 vcc_lo, 0, v8
	s_mov_b32 s0, -1
	s_cbranch_vccz .LBB38_1681
; %bb.1680:
	v_cvt_i32_f32_e32 v2, v4
	s_mov_b32 s0, 0
	global_store_b8 v[0:1], v2, off
.LBB38_1681:
	s_and_not1_b32 vcc_lo, exec_lo, s0
	s_cbranch_vccnz .LBB38_1683
; %bb.1682:
	v_trunc_f32_e32 v2, v4
	s_delay_alu instid0(VALU_DEP_1) | instskip(NEXT) | instid1(VALU_DEP_1)
	v_mul_f32_e64 v3, 0x2f800000, |v2|
	v_floor_f32_e32 v3, v3
	s_delay_alu instid0(VALU_DEP_1) | instskip(SKIP_1) | instid1(VALU_DEP_2)
	v_fma_f32 v3, 0xcf800000, v3, |v2|
	v_ashrrev_i32_e32 v2, 31, v2
	v_cvt_u32_f32_e32 v3, v3
	s_delay_alu instid0(VALU_DEP_1) | instskip(NEXT) | instid1(VALU_DEP_1)
	v_xor_b32_e32 v3, v3, v2
	v_sub_nc_u32_e32 v2, v3, v2
	global_store_b8 v[0:1], v2, off
	s_nop 0
	s_sendmsg sendmsg(MSG_DEALLOC_VGPRS)
	s_endpgm
.LBB38_1683:
	s_nop 0
	s_sendmsg sendmsg(MSG_DEALLOC_VGPRS)
	s_endpgm
.LBB38_1684:
	s_mov_b32 s0, -1
                                        ; implicit-def: $vgpr4
.LBB38_1685:
	s_delay_alu instid0(SALU_CYCLE_1)
	s_and_not1_b32 vcc_lo, exec_lo, s0
	s_cbranch_vccnz .LBB38_1687
; %bb.1686:
	s_waitcnt vmcnt(0)
	v_add_f32_e32 v4, v8, v8
.LBB38_1687:
	v_mul_lo_u32 v3, s2, v6
	s_waitcnt vmcnt(0)
	v_and_b32_e64 v8, 0xff, s9
	s_delay_alu instid0(VALU_DEP_1) | instskip(NEXT) | instid1(VALU_DEP_3)
	v_cmp_gt_i16_e32 vcc_lo, 11, v8
	v_ashrrev_i32_e32 v1, 31, v3
	v_add_co_u32 v6, s0, s4, v3
	s_delay_alu instid0(VALU_DEP_1)
	v_add_co_ci_u32_e64 v7, s0, s5, v1, s0
	s_cbranch_vccnz .LBB38_1765
; %bb.1688:
	v_cmp_lt_i16_e32 vcc_lo, 25, v8
	s_mov_b32 s6, -1
	s_mov_b32 s1, 0
	s_mov_b32 s3, 0
	s_mov_b32 s0, 0
	s_cbranch_vccz .LBB38_1721
; %bb.1689:
	v_cmp_lt_i16_e32 vcc_lo, 28, v8
	s_cbranch_vccz .LBB38_1704
; %bb.1690:
	v_cmp_lt_i16_e32 vcc_lo, 43, v8
	;; [unrolled: 3-line block ×3, first 2 shown]
	s_cbranch_vccz .LBB38_1694
; %bb.1692:
	v_cmp_eq_u16_e32 vcc_lo, 46, v8
	s_mov_b32 s0, -1
	s_mov_b32 s6, 0
	s_cbranch_vccz .LBB38_1694
; %bb.1693:
	v_bfe_u32 v1, v0, 16, 1
	v_cmp_o_f32_e32 vcc_lo, v0, v0
	s_mov_b32 s0, 0
	s_mov_b32 s3, -1
	s_delay_alu instid0(VALU_DEP_2) | instskip(NEXT) | instid1(VALU_DEP_1)
	v_add3_u32 v1, v0, v1, 0x7fff
	v_lshrrev_b32_e32 v1, 16, v1
	s_delay_alu instid0(VALU_DEP_1)
	v_cndmask_b32_e32 v1, 0x7fc0, v1, vcc_lo
	global_store_b32 v[6:7], v1, off
.LBB38_1694:
	s_and_b32 vcc_lo, exec_lo, s6
	s_cbranch_vccz .LBB38_1699
; %bb.1695:
	v_cmp_eq_u16_e32 vcc_lo, 44, v8
	s_mov_b32 s0, -1
	s_cbranch_vccz .LBB38_1699
; %bb.1696:
	v_bfe_u32 v9, v0, 23, 8
	v_mov_b32_e32 v1, 0xff
	s_mov_b32 s3, exec_lo
	s_delay_alu instid0(VALU_DEP_2)
	v_cmpx_ne_u32_e32 0xff, v9
; %bb.1697:
	v_and_b32_e32 v1, 0x400000, v0
	v_and_or_b32 v9, 0x3fffff, v0, v9
	s_delay_alu instid0(VALU_DEP_2) | instskip(NEXT) | instid1(VALU_DEP_2)
	v_cmp_ne_u32_e32 vcc_lo, 0, v1
	v_cmp_ne_u32_e64 s0, 0, v9
	v_lshrrev_b32_e32 v1, 23, v0
	s_delay_alu instid0(VALU_DEP_2) | instskip(NEXT) | instid1(SALU_CYCLE_1)
	s_and_b32 s0, vcc_lo, s0
	v_cndmask_b32_e64 v9, 0, 1, s0
	s_delay_alu instid0(VALU_DEP_1)
	v_add_nc_u32_e32 v1, v1, v9
; %bb.1698:
	s_or_b32 exec_lo, exec_lo, s3
	s_mov_b32 s0, 0
	s_mov_b32 s3, -1
	global_store_b8 v[6:7], v1, off
.LBB38_1699:
	s_mov_b32 s6, 0
.LBB38_1700:
	s_delay_alu instid0(SALU_CYCLE_1)
	s_and_b32 vcc_lo, exec_lo, s6
	s_cbranch_vccz .LBB38_1703
; %bb.1701:
	v_cmp_eq_u16_e32 vcc_lo, 29, v8
	s_mov_b32 s0, -1
	s_cbranch_vccz .LBB38_1703
; %bb.1702:
	v_trunc_f32_e32 v1, v0
	s_mov_b32 s0, 0
	s_mov_b32 s3, -1
	s_delay_alu instid0(VALU_DEP_1) | instskip(NEXT) | instid1(VALU_DEP_1)
	v_mul_f32_e32 v9, 0x2f800000, v1
	v_floor_f32_e32 v9, v9
	s_delay_alu instid0(VALU_DEP_1) | instskip(SKIP_1) | instid1(VALU_DEP_2)
	v_fmamk_f32 v1, v9, 0xcf800000, v1
	v_cvt_u32_f32_e32 v10, v9
	v_cvt_u32_f32_e32 v9, v1
	global_store_b64 v[6:7], v[9:10], off
.LBB38_1703:
	s_mov_b32 s6, 0
.LBB38_1704:
	s_delay_alu instid0(SALU_CYCLE_1)
	s_and_b32 vcc_lo, exec_lo, s6
	s_cbranch_vccz .LBB38_1720
; %bb.1705:
	v_cmp_gt_i16_e32 vcc_lo, 27, v8
	s_mov_b32 s3, -1
	s_cbranch_vccnz .LBB38_1711
; %bb.1706:
	v_cmp_lt_i16_e32 vcc_lo, 27, v8
	v_cvt_u32_f32_e32 v1, v0
	s_cbranch_vccz .LBB38_1708
; %bb.1707:
	s_mov_b32 s3, 0
	global_store_b32 v[6:7], v1, off
.LBB38_1708:
	s_and_not1_b32 vcc_lo, exec_lo, s3
	s_cbranch_vccnz .LBB38_1710
; %bb.1709:
	global_store_b16 v[6:7], v1, off
.LBB38_1710:
	s_mov_b32 s3, 0
.LBB38_1711:
	s_delay_alu instid0(SALU_CYCLE_1)
	s_and_not1_b32 vcc_lo, exec_lo, s3
	s_cbranch_vccnz .LBB38_1719
; %bb.1712:
	v_and_b32_e32 v1, 0x7fffffff, v0
	v_mov_b32_e32 v9, 0x80
	s_mov_b32 s3, exec_lo
	s_delay_alu instid0(VALU_DEP_2)
	v_cmpx_gt_u32_e32 0x43800000, v1
	s_cbranch_execz .LBB38_1718
; %bb.1713:
	v_cmp_lt_u32_e32 vcc_lo, 0x3bffffff, v1
	s_mov_b32 s6, 0
                                        ; implicit-def: $vgpr1
	s_and_saveexec_b32 s7, vcc_lo
	s_delay_alu instid0(SALU_CYCLE_1)
	s_xor_b32 s7, exec_lo, s7
	s_cbranch_execz .LBB38_2124
; %bb.1714:
	v_bfe_u32 v1, v0, 20, 1
	s_mov_b32 s6, exec_lo
	s_delay_alu instid0(VALU_DEP_1) | instskip(NEXT) | instid1(VALU_DEP_1)
	v_add3_u32 v1, v0, v1, 0x487ffff
	v_lshrrev_b32_e32 v1, 20, v1
	s_or_saveexec_b32 s7, s7
                                        ; implicit-def: $sgpr8
	s_delay_alu instid0(SALU_CYCLE_1)
	s_xor_b32 exec_lo, exec_lo, s7
	s_cbranch_execnz .LBB38_2125
.LBB38_1715:
	s_or_b32 exec_lo, exec_lo, s7
	v_mov_b32_e32 v9, s8
	s_and_saveexec_b32 s7, s6
.LBB38_1716:
	v_lshrrev_b32_e32 v9, 24, v0
	s_delay_alu instid0(VALU_DEP_1)
	v_and_or_b32 v9, 0x80, v9, v1
.LBB38_1717:
	s_or_b32 exec_lo, exec_lo, s7
.LBB38_1718:
	s_delay_alu instid0(SALU_CYCLE_1)
	s_or_b32 exec_lo, exec_lo, s3
	global_store_b8 v[6:7], v9, off
.LBB38_1719:
	s_mov_b32 s3, -1
.LBB38_1720:
	s_mov_b32 s6, 0
.LBB38_1721:
	s_delay_alu instid0(SALU_CYCLE_1)
	s_and_b32 vcc_lo, exec_lo, s6
	s_cbranch_vccz .LBB38_1761
; %bb.1722:
	v_cmp_lt_i16_e32 vcc_lo, 22, v8
	s_mov_b32 s1, -1
	s_cbranch_vccz .LBB38_1754
; %bb.1723:
	v_cmp_gt_i16_e32 vcc_lo, 24, v8
	s_cbranch_vccnz .LBB38_1743
; %bb.1724:
	v_cmp_lt_i16_e32 vcc_lo, 24, v8
	s_cbranch_vccz .LBB38_1732
; %bb.1725:
	v_and_b32_e32 v1, 0x7fffffff, v0
	v_mov_b32_e32 v9, 0x80
	s_mov_b32 s1, exec_lo
	s_delay_alu instid0(VALU_DEP_2)
	v_cmpx_gt_u32_e32 0x47800000, v1
	s_cbranch_execz .LBB38_1731
; %bb.1726:
	v_cmp_lt_u32_e32 vcc_lo, 0x37ffffff, v1
	s_mov_b32 s3, 0
                                        ; implicit-def: $vgpr1
	s_and_saveexec_b32 s6, vcc_lo
	s_delay_alu instid0(SALU_CYCLE_1)
	s_xor_b32 s6, exec_lo, s6
	s_cbranch_execz .LBB38_2130
; %bb.1727:
	v_bfe_u32 v1, v0, 21, 1
	s_mov_b32 s3, exec_lo
	s_delay_alu instid0(VALU_DEP_1) | instskip(NEXT) | instid1(VALU_DEP_1)
	v_add3_u32 v1, v0, v1, 0x88fffff
	v_lshrrev_b32_e32 v1, 21, v1
	s_or_saveexec_b32 s6, s6
                                        ; implicit-def: $sgpr7
	s_delay_alu instid0(SALU_CYCLE_1)
	s_xor_b32 exec_lo, exec_lo, s6
	s_cbranch_execnz .LBB38_2131
.LBB38_1728:
	s_or_b32 exec_lo, exec_lo, s6
	v_mov_b32_e32 v9, s7
	s_and_saveexec_b32 s6, s3
.LBB38_1729:
	v_lshrrev_b32_e32 v9, 24, v0
	s_delay_alu instid0(VALU_DEP_1)
	v_and_or_b32 v9, 0x80, v9, v1
.LBB38_1730:
	s_or_b32 exec_lo, exec_lo, s6
.LBB38_1731:
	s_delay_alu instid0(SALU_CYCLE_1)
	s_or_b32 exec_lo, exec_lo, s1
	s_mov_b32 s1, 0
	global_store_b8 v[6:7], v9, off
.LBB38_1732:
	s_and_b32 vcc_lo, exec_lo, s1
	s_cbranch_vccz .LBB38_1742
; %bb.1733:
	v_and_b32_e32 v9, 0x7fffffff, v0
	s_mov_b32 s1, exec_lo
                                        ; implicit-def: $vgpr1
	s_delay_alu instid0(VALU_DEP_1)
	v_cmpx_gt_u32_e32 0x43f00000, v9
	s_xor_b32 s1, exec_lo, s1
	s_cbranch_execz .LBB38_1739
; %bb.1734:
	s_mov_b32 s3, exec_lo
                                        ; implicit-def: $vgpr1
	v_cmpx_lt_u32_e32 0x3c7fffff, v9
	s_xor_b32 s3, exec_lo, s3
; %bb.1735:
	v_bfe_u32 v1, v0, 20, 1
	s_delay_alu instid0(VALU_DEP_1) | instskip(NEXT) | instid1(VALU_DEP_1)
	v_add3_u32 v1, v0, v1, 0x407ffff
	v_and_b32_e32 v9, 0xff00000, v1
	v_lshrrev_b32_e32 v1, 20, v1
	s_delay_alu instid0(VALU_DEP_2) | instskip(NEXT) | instid1(VALU_DEP_2)
	v_cmp_ne_u32_e32 vcc_lo, 0x7f00000, v9
	v_cndmask_b32_e32 v1, 0x7e, v1, vcc_lo
; %bb.1736:
	s_and_not1_saveexec_b32 s3, s3
; %bb.1737:
	v_add_f32_e64 v1, 0x46800000, |v0|
; %bb.1738:
	s_or_b32 exec_lo, exec_lo, s3
                                        ; implicit-def: $vgpr9
.LBB38_1739:
	s_and_not1_saveexec_b32 s1, s1
; %bb.1740:
	v_mov_b32_e32 v1, 0x7f
	v_cmp_lt_u32_e32 vcc_lo, 0x7f800000, v9
	s_delay_alu instid0(VALU_DEP_2)
	v_cndmask_b32_e32 v1, 0x7e, v1, vcc_lo
; %bb.1741:
	s_or_b32 exec_lo, exec_lo, s1
	v_lshrrev_b32_e32 v9, 24, v0
	s_delay_alu instid0(VALU_DEP_1)
	v_and_or_b32 v1, 0x80, v9, v1
	global_store_b8 v[6:7], v1, off
.LBB38_1742:
	s_mov_b32 s1, 0
.LBB38_1743:
	s_delay_alu instid0(SALU_CYCLE_1)
	s_and_not1_b32 vcc_lo, exec_lo, s1
	s_cbranch_vccnz .LBB38_1753
; %bb.1744:
	v_and_b32_e32 v9, 0x7fffffff, v0
	s_mov_b32 s1, exec_lo
                                        ; implicit-def: $vgpr1
	s_delay_alu instid0(VALU_DEP_1)
	v_cmpx_gt_u32_e32 0x47800000, v9
	s_xor_b32 s1, exec_lo, s1
	s_cbranch_execz .LBB38_1750
; %bb.1745:
	s_mov_b32 s3, exec_lo
                                        ; implicit-def: $vgpr1
	v_cmpx_lt_u32_e32 0x387fffff, v9
	s_xor_b32 s3, exec_lo, s3
; %bb.1746:
	v_bfe_u32 v1, v0, 21, 1
	s_delay_alu instid0(VALU_DEP_1) | instskip(NEXT) | instid1(VALU_DEP_1)
	v_add3_u32 v1, v0, v1, 0x80fffff
	v_lshrrev_b32_e32 v1, 21, v1
; %bb.1747:
	s_and_not1_saveexec_b32 s3, s3
; %bb.1748:
	v_add_f32_e64 v1, 0x43000000, |v0|
; %bb.1749:
	s_or_b32 exec_lo, exec_lo, s3
                                        ; implicit-def: $vgpr9
.LBB38_1750:
	s_and_not1_saveexec_b32 s1, s1
; %bb.1751:
	v_mov_b32_e32 v1, 0x7f
	v_cmp_lt_u32_e32 vcc_lo, 0x7f800000, v9
	s_delay_alu instid0(VALU_DEP_2)
	v_cndmask_b32_e32 v1, 0x7c, v1, vcc_lo
; %bb.1752:
	s_or_b32 exec_lo, exec_lo, s1
	v_lshrrev_b32_e32 v9, 24, v0
	s_delay_alu instid0(VALU_DEP_1)
	v_and_or_b32 v1, 0x80, v9, v1
	global_store_b8 v[6:7], v1, off
.LBB38_1753:
	s_mov_b32 s1, 0
	s_mov_b32 s3, -1
.LBB38_1754:
	s_and_not1_b32 vcc_lo, exec_lo, s1
	s_mov_b32 s1, 0
	s_cbranch_vccnz .LBB38_1761
; %bb.1755:
	v_cmp_lt_i16_e32 vcc_lo, 14, v8
	s_mov_b32 s1, -1
	s_cbranch_vccz .LBB38_1759
; %bb.1756:
	v_cmp_eq_u16_e32 vcc_lo, 15, v8
	s_mov_b32 s0, -1
	s_cbranch_vccz .LBB38_1758
; %bb.1757:
	v_bfe_u32 v1, v0, 16, 1
	v_cmp_o_f32_e32 vcc_lo, v0, v0
	s_mov_b32 s0, 0
	s_mov_b32 s3, -1
	s_delay_alu instid0(VALU_DEP_2) | instskip(NEXT) | instid1(VALU_DEP_1)
	v_add3_u32 v1, v0, v1, 0x7fff
	v_lshrrev_b32_e32 v1, 16, v1
	s_delay_alu instid0(VALU_DEP_1)
	v_cndmask_b32_e32 v1, 0x7fc0, v1, vcc_lo
	global_store_b16 v[6:7], v1, off
.LBB38_1758:
	s_mov_b32 s1, 0
.LBB38_1759:
	s_delay_alu instid0(SALU_CYCLE_1)
	s_and_b32 vcc_lo, exec_lo, s1
	s_mov_b32 s1, 0
	s_cbranch_vccz .LBB38_1761
; %bb.1760:
	v_cmp_ne_u16_e64 s0, 11, v8
	s_mov_b32 s1, -1
.LBB38_1761:
	s_delay_alu instid0(VALU_DEP_1)
	s_and_b32 vcc_lo, exec_lo, s0
	s_cbranch_vccnz .LBB38_2128
; %bb.1762:
	s_and_not1_b32 vcc_lo, exec_lo, s1
	s_cbranch_vccnz .LBB38_1764
.LBB38_1763:
	v_cmp_neq_f32_e32 vcc_lo, 0, v0
	s_mov_b32 s3, -1
	v_cndmask_b32_e64 v1, 0, 1, vcc_lo
	global_store_b8 v[6:7], v1, off
.LBB38_1764:
	s_mov_b32 s0, 0
	s_branch .LBB38_1766
.LBB38_1765:
	s_mov_b32 s0, -1
	s_mov_b32 s3, 0
.LBB38_1766:
	s_and_b32 vcc_lo, exec_lo, s0
	s_cbranch_vccz .LBB38_1805
; %bb.1767:
	v_cmp_gt_i16_e32 vcc_lo, 5, v8
	s_mov_b32 s0, -1
	s_cbranch_vccnz .LBB38_1788
; %bb.1768:
	v_cmp_gt_i16_e32 vcc_lo, 8, v8
	s_cbranch_vccnz .LBB38_1778
; %bb.1769:
	v_cmp_gt_i16_e32 vcc_lo, 9, v8
	s_cbranch_vccnz .LBB38_1775
; %bb.1770:
	v_cmp_lt_i16_e32 vcc_lo, 9, v8
	s_cbranch_vccz .LBB38_1772
; %bb.1771:
	v_cvt_f64_f32_e32 v[9:10], v0
	v_mov_b32_e32 v11, 0
	s_mov_b32 s0, 0
	s_delay_alu instid0(VALU_DEP_1)
	v_mov_b32_e32 v12, v11
	global_store_b128 v[6:7], v[9:12], off
.LBB38_1772:
	s_and_not1_b32 vcc_lo, exec_lo, s0
	s_cbranch_vccnz .LBB38_1774
; %bb.1773:
	v_mov_b32_e32 v1, 0
	global_store_b64 v[6:7], v[0:1], off
.LBB38_1774:
	s_mov_b32 s0, 0
.LBB38_1775:
	s_delay_alu instid0(SALU_CYCLE_1)
	s_and_not1_b32 vcc_lo, exec_lo, s0
	s_cbranch_vccnz .LBB38_1777
; %bb.1776:
	v_cvt_f16_f32_e32 v1, v0
	s_delay_alu instid0(VALU_DEP_1)
	v_and_b32_e32 v1, 0xffff, v1
	global_store_b32 v[6:7], v1, off
.LBB38_1777:
	s_mov_b32 s0, 0
.LBB38_1778:
	s_delay_alu instid0(SALU_CYCLE_1)
	s_and_not1_b32 vcc_lo, exec_lo, s0
	s_cbranch_vccnz .LBB38_1787
; %bb.1779:
	v_cmp_gt_i16_e32 vcc_lo, 6, v8
	s_mov_b32 s0, -1
	s_cbranch_vccnz .LBB38_1785
; %bb.1780:
	v_cmp_lt_i16_e32 vcc_lo, 6, v8
	s_cbranch_vccz .LBB38_1782
; %bb.1781:
	v_cvt_f64_f32_e32 v[9:10], v0
	s_mov_b32 s0, 0
	global_store_b64 v[6:7], v[9:10], off
.LBB38_1782:
	s_and_not1_b32 vcc_lo, exec_lo, s0
	s_cbranch_vccnz .LBB38_1784
; %bb.1783:
	global_store_b32 v[6:7], v0, off
.LBB38_1784:
	s_mov_b32 s0, 0
.LBB38_1785:
	s_delay_alu instid0(SALU_CYCLE_1)
	s_and_not1_b32 vcc_lo, exec_lo, s0
	s_cbranch_vccnz .LBB38_1787
; %bb.1786:
	v_cvt_f16_f32_e32 v1, v0
	global_store_b16 v[6:7], v1, off
.LBB38_1787:
	s_mov_b32 s0, 0
.LBB38_1788:
	s_delay_alu instid0(SALU_CYCLE_1)
	s_and_not1_b32 vcc_lo, exec_lo, s0
	s_cbranch_vccnz .LBB38_1804
; %bb.1789:
	v_cmp_gt_i16_e32 vcc_lo, 2, v8
	s_mov_b32 s0, -1
	s_cbranch_vccnz .LBB38_1799
; %bb.1790:
	v_cmp_gt_i16_e32 vcc_lo, 3, v8
	s_cbranch_vccnz .LBB38_1796
; %bb.1791:
	v_cmp_lt_i16_e32 vcc_lo, 3, v8
	s_cbranch_vccz .LBB38_1793
; %bb.1792:
	v_trunc_f32_e32 v1, v0
	s_mov_b32 s0, 0
	s_delay_alu instid0(VALU_DEP_1) | instskip(NEXT) | instid1(VALU_DEP_1)
	v_mul_f32_e64 v9, 0x2f800000, |v1|
	v_floor_f32_e32 v9, v9
	s_delay_alu instid0(VALU_DEP_1) | instskip(SKIP_2) | instid1(VALU_DEP_3)
	v_fma_f32 v10, 0xcf800000, v9, |v1|
	v_ashrrev_i32_e32 v1, 31, v1
	v_cvt_u32_f32_e32 v9, v9
	v_cvt_u32_f32_e32 v10, v10
	s_delay_alu instid0(VALU_DEP_2) | instskip(NEXT) | instid1(VALU_DEP_2)
	v_xor_b32_e32 v11, v9, v1
	v_xor_b32_e32 v10, v10, v1
	s_delay_alu instid0(VALU_DEP_1) | instskip(NEXT) | instid1(VALU_DEP_3)
	v_sub_co_u32 v9, vcc_lo, v10, v1
	v_sub_co_ci_u32_e32 v10, vcc_lo, v11, v1, vcc_lo
	global_store_b64 v[6:7], v[9:10], off
.LBB38_1793:
	s_and_not1_b32 vcc_lo, exec_lo, s0
	s_cbranch_vccnz .LBB38_1795
; %bb.1794:
	v_cvt_i32_f32_e32 v1, v0
	global_store_b32 v[6:7], v1, off
.LBB38_1795:
	s_mov_b32 s0, 0
.LBB38_1796:
	s_delay_alu instid0(SALU_CYCLE_1)
	s_and_not1_b32 vcc_lo, exec_lo, s0
	s_cbranch_vccnz .LBB38_1798
; %bb.1797:
	v_cvt_i32_f32_e32 v1, v0
	global_store_b16 v[6:7], v1, off
.LBB38_1798:
	s_mov_b32 s0, 0
.LBB38_1799:
	s_delay_alu instid0(SALU_CYCLE_1)
	s_and_not1_b32 vcc_lo, exec_lo, s0
	s_cbranch_vccnz .LBB38_1804
; %bb.1800:
	v_cmp_lt_i16_e32 vcc_lo, 0, v8
	s_mov_b32 s0, -1
	s_cbranch_vccz .LBB38_1802
; %bb.1801:
	v_cvt_i32_f32_e32 v1, v0
	s_mov_b32 s0, 0
	global_store_b8 v[6:7], v1, off
.LBB38_1802:
	s_and_not1_b32 vcc_lo, exec_lo, s0
	s_cbranch_vccnz .LBB38_1804
; %bb.1803:
	v_trunc_f32_e32 v0, v0
	s_delay_alu instid0(VALU_DEP_1) | instskip(NEXT) | instid1(VALU_DEP_1)
	v_mul_f32_e64 v1, 0x2f800000, |v0|
	v_floor_f32_e32 v1, v1
	s_delay_alu instid0(VALU_DEP_1) | instskip(SKIP_1) | instid1(VALU_DEP_2)
	v_fma_f32 v1, 0xcf800000, v1, |v0|
	v_ashrrev_i32_e32 v0, 31, v0
	v_cvt_u32_f32_e32 v1, v1
	s_delay_alu instid0(VALU_DEP_1) | instskip(NEXT) | instid1(VALU_DEP_1)
	v_xor_b32_e32 v1, v1, v0
	v_sub_nc_u32_e32 v0, v1, v0
	global_store_b8 v[6:7], v0, off
.LBB38_1804:
	s_mov_b32 s3, -1
.LBB38_1805:
	s_delay_alu instid0(SALU_CYCLE_1)
	s_and_not1_b32 vcc_lo, exec_lo, s3
	s_cbranch_vccnz .LBB38_2120
; %bb.1806:
	s_lshl_b32 s1, s2, 7
	v_cmp_gt_i16_e32 vcc_lo, 11, v8
	v_add_nc_u32_e32 v6, s1, v3
	s_delay_alu instid0(VALU_DEP_1) | instskip(SKIP_1) | instid1(VALU_DEP_1)
	v_ashrrev_i32_e32 v1, 31, v6
	v_add_co_u32 v0, s0, s4, v6
	v_add_co_ci_u32_e64 v1, s0, s5, v1, s0
	s_cbranch_vccnz .LBB38_1884
; %bb.1807:
	v_cmp_lt_i16_e32 vcc_lo, 25, v8
	s_mov_b32 s6, -1
	s_mov_b32 s2, 0
	s_mov_b32 s3, 0
	;; [unrolled: 1-line block ×3, first 2 shown]
	s_cbranch_vccz .LBB38_1840
; %bb.1808:
	v_cmp_lt_i16_e32 vcc_lo, 28, v8
	s_cbranch_vccz .LBB38_1823
; %bb.1809:
	v_cmp_lt_i16_e32 vcc_lo, 43, v8
	;; [unrolled: 3-line block ×3, first 2 shown]
	s_cbranch_vccz .LBB38_1813
; %bb.1811:
	v_cmp_eq_u16_e32 vcc_lo, 46, v8
	s_mov_b32 s0, -1
	s_mov_b32 s6, 0
	s_cbranch_vccz .LBB38_1813
; %bb.1812:
	v_bfe_u32 v3, v2, 16, 1
	v_cmp_o_f32_e32 vcc_lo, v2, v2
	s_mov_b32 s0, 0
	s_mov_b32 s3, -1
	s_delay_alu instid0(VALU_DEP_2) | instskip(NEXT) | instid1(VALU_DEP_1)
	v_add3_u32 v3, v2, v3, 0x7fff
	v_lshrrev_b32_e32 v3, 16, v3
	s_delay_alu instid0(VALU_DEP_1)
	v_cndmask_b32_e32 v3, 0x7fc0, v3, vcc_lo
	global_store_b32 v[0:1], v3, off
.LBB38_1813:
	s_and_b32 vcc_lo, exec_lo, s6
	s_cbranch_vccz .LBB38_1818
; %bb.1814:
	v_cmp_eq_u16_e32 vcc_lo, 44, v8
	s_mov_b32 s0, -1
	s_cbranch_vccz .LBB38_1818
; %bb.1815:
	v_bfe_u32 v7, v2, 23, 8
	v_mov_b32_e32 v3, 0xff
	s_mov_b32 s3, exec_lo
	s_delay_alu instid0(VALU_DEP_2)
	v_cmpx_ne_u32_e32 0xff, v7
; %bb.1816:
	v_and_b32_e32 v3, 0x400000, v2
	v_and_or_b32 v7, 0x3fffff, v2, v7
	s_delay_alu instid0(VALU_DEP_2) | instskip(NEXT) | instid1(VALU_DEP_2)
	v_cmp_ne_u32_e32 vcc_lo, 0, v3
	v_cmp_ne_u32_e64 s0, 0, v7
	v_lshrrev_b32_e32 v3, 23, v2
	s_delay_alu instid0(VALU_DEP_2) | instskip(NEXT) | instid1(SALU_CYCLE_1)
	s_and_b32 s0, vcc_lo, s0
	v_cndmask_b32_e64 v7, 0, 1, s0
	s_delay_alu instid0(VALU_DEP_1)
	v_add_nc_u32_e32 v3, v3, v7
; %bb.1817:
	s_or_b32 exec_lo, exec_lo, s3
	s_mov_b32 s0, 0
	s_mov_b32 s3, -1
	global_store_b8 v[0:1], v3, off
.LBB38_1818:
	s_mov_b32 s6, 0
.LBB38_1819:
	s_delay_alu instid0(SALU_CYCLE_1)
	s_and_b32 vcc_lo, exec_lo, s6
	s_cbranch_vccz .LBB38_1822
; %bb.1820:
	v_cmp_eq_u16_e32 vcc_lo, 29, v8
	s_mov_b32 s0, -1
	s_cbranch_vccz .LBB38_1822
; %bb.1821:
	v_trunc_f32_e32 v3, v2
	s_mov_b32 s0, 0
	s_mov_b32 s3, -1
	s_delay_alu instid0(VALU_DEP_1) | instskip(NEXT) | instid1(VALU_DEP_1)
	v_mul_f32_e32 v7, 0x2f800000, v3
	v_floor_f32_e32 v7, v7
	s_delay_alu instid0(VALU_DEP_1) | instskip(SKIP_1) | instid1(VALU_DEP_2)
	v_fmamk_f32 v3, v7, 0xcf800000, v3
	v_cvt_u32_f32_e32 v10, v7
	v_cvt_u32_f32_e32 v9, v3
	global_store_b64 v[0:1], v[9:10], off
.LBB38_1822:
	s_mov_b32 s6, 0
.LBB38_1823:
	s_delay_alu instid0(SALU_CYCLE_1)
	s_and_b32 vcc_lo, exec_lo, s6
	s_cbranch_vccz .LBB38_1839
; %bb.1824:
	v_cmp_gt_i16_e32 vcc_lo, 27, v8
	s_mov_b32 s3, -1
	s_cbranch_vccnz .LBB38_1830
; %bb.1825:
	v_cmp_lt_i16_e32 vcc_lo, 27, v8
	v_cvt_u32_f32_e32 v3, v2
	s_cbranch_vccz .LBB38_1827
; %bb.1826:
	s_mov_b32 s3, 0
	global_store_b32 v[0:1], v3, off
.LBB38_1827:
	s_and_not1_b32 vcc_lo, exec_lo, s3
	s_cbranch_vccnz .LBB38_1829
; %bb.1828:
	global_store_b16 v[0:1], v3, off
.LBB38_1829:
	s_mov_b32 s3, 0
.LBB38_1830:
	s_delay_alu instid0(SALU_CYCLE_1)
	s_and_not1_b32 vcc_lo, exec_lo, s3
	s_cbranch_vccnz .LBB38_1838
; %bb.1831:
	v_and_b32_e32 v3, 0x7fffffff, v2
	v_mov_b32_e32 v7, 0x80
	s_mov_b32 s3, exec_lo
	s_delay_alu instid0(VALU_DEP_2)
	v_cmpx_gt_u32_e32 0x43800000, v3
	s_cbranch_execz .LBB38_1837
; %bb.1832:
	v_cmp_lt_u32_e32 vcc_lo, 0x3bffffff, v3
	s_mov_b32 s6, 0
                                        ; implicit-def: $vgpr3
	s_and_saveexec_b32 s7, vcc_lo
	s_delay_alu instid0(SALU_CYCLE_1)
	s_xor_b32 s7, exec_lo, s7
	s_cbranch_execz .LBB38_2132
; %bb.1833:
	v_bfe_u32 v3, v2, 20, 1
	s_mov_b32 s6, exec_lo
	s_delay_alu instid0(VALU_DEP_1) | instskip(NEXT) | instid1(VALU_DEP_1)
	v_add3_u32 v3, v2, v3, 0x487ffff
	v_lshrrev_b32_e32 v3, 20, v3
	s_or_saveexec_b32 s7, s7
                                        ; implicit-def: $sgpr8
	s_delay_alu instid0(SALU_CYCLE_1)
	s_xor_b32 exec_lo, exec_lo, s7
	s_cbranch_execnz .LBB38_2133
.LBB38_1834:
	s_or_b32 exec_lo, exec_lo, s7
	v_mov_b32_e32 v7, s8
	s_and_saveexec_b32 s7, s6
.LBB38_1835:
	v_lshrrev_b32_e32 v7, 24, v2
	s_delay_alu instid0(VALU_DEP_1)
	v_and_or_b32 v7, 0x80, v7, v3
.LBB38_1836:
	s_or_b32 exec_lo, exec_lo, s7
.LBB38_1837:
	s_delay_alu instid0(SALU_CYCLE_1)
	s_or_b32 exec_lo, exec_lo, s3
	global_store_b8 v[0:1], v7, off
.LBB38_1838:
	s_mov_b32 s3, -1
.LBB38_1839:
	s_mov_b32 s6, 0
.LBB38_1840:
	s_delay_alu instid0(SALU_CYCLE_1)
	s_and_b32 vcc_lo, exec_lo, s6
	s_cbranch_vccz .LBB38_1880
; %bb.1841:
	v_cmp_lt_i16_e32 vcc_lo, 22, v8
	s_mov_b32 s2, -1
	s_cbranch_vccz .LBB38_1873
; %bb.1842:
	v_cmp_gt_i16_e32 vcc_lo, 24, v8
	s_cbranch_vccnz .LBB38_1862
; %bb.1843:
	v_cmp_lt_i16_e32 vcc_lo, 24, v8
	s_cbranch_vccz .LBB38_1851
; %bb.1844:
	v_and_b32_e32 v3, 0x7fffffff, v2
	v_mov_b32_e32 v7, 0x80
	s_mov_b32 s2, exec_lo
	s_delay_alu instid0(VALU_DEP_2)
	v_cmpx_gt_u32_e32 0x47800000, v3
	s_cbranch_execz .LBB38_1850
; %bb.1845:
	v_cmp_lt_u32_e32 vcc_lo, 0x37ffffff, v3
	s_mov_b32 s3, 0
                                        ; implicit-def: $vgpr3
	s_and_saveexec_b32 s6, vcc_lo
	s_delay_alu instid0(SALU_CYCLE_1)
	s_xor_b32 s6, exec_lo, s6
	s_cbranch_execz .LBB38_2138
; %bb.1846:
	v_bfe_u32 v3, v2, 21, 1
	s_mov_b32 s3, exec_lo
	s_delay_alu instid0(VALU_DEP_1) | instskip(NEXT) | instid1(VALU_DEP_1)
	v_add3_u32 v3, v2, v3, 0x88fffff
	v_lshrrev_b32_e32 v3, 21, v3
	s_or_saveexec_b32 s6, s6
                                        ; implicit-def: $sgpr7
	s_delay_alu instid0(SALU_CYCLE_1)
	s_xor_b32 exec_lo, exec_lo, s6
	s_cbranch_execnz .LBB38_2139
.LBB38_1847:
	s_or_b32 exec_lo, exec_lo, s6
	v_mov_b32_e32 v7, s7
	s_and_saveexec_b32 s6, s3
.LBB38_1848:
	v_lshrrev_b32_e32 v7, 24, v2
	s_delay_alu instid0(VALU_DEP_1)
	v_and_or_b32 v7, 0x80, v7, v3
.LBB38_1849:
	s_or_b32 exec_lo, exec_lo, s6
.LBB38_1850:
	s_delay_alu instid0(SALU_CYCLE_1)
	s_or_b32 exec_lo, exec_lo, s2
	s_mov_b32 s2, 0
	global_store_b8 v[0:1], v7, off
.LBB38_1851:
	s_and_b32 vcc_lo, exec_lo, s2
	s_cbranch_vccz .LBB38_1861
; %bb.1852:
	v_and_b32_e32 v7, 0x7fffffff, v2
	s_mov_b32 s2, exec_lo
                                        ; implicit-def: $vgpr3
	s_delay_alu instid0(VALU_DEP_1)
	v_cmpx_gt_u32_e32 0x43f00000, v7
	s_xor_b32 s2, exec_lo, s2
	s_cbranch_execz .LBB38_1858
; %bb.1853:
	s_mov_b32 s3, exec_lo
                                        ; implicit-def: $vgpr3
	v_cmpx_lt_u32_e32 0x3c7fffff, v7
	s_xor_b32 s3, exec_lo, s3
; %bb.1854:
	v_bfe_u32 v3, v2, 20, 1
	s_delay_alu instid0(VALU_DEP_1) | instskip(NEXT) | instid1(VALU_DEP_1)
	v_add3_u32 v3, v2, v3, 0x407ffff
	v_and_b32_e32 v7, 0xff00000, v3
	v_lshrrev_b32_e32 v3, 20, v3
	s_delay_alu instid0(VALU_DEP_2) | instskip(NEXT) | instid1(VALU_DEP_2)
	v_cmp_ne_u32_e32 vcc_lo, 0x7f00000, v7
	v_cndmask_b32_e32 v3, 0x7e, v3, vcc_lo
; %bb.1855:
	s_and_not1_saveexec_b32 s3, s3
; %bb.1856:
	v_add_f32_e64 v3, 0x46800000, |v2|
; %bb.1857:
	s_or_b32 exec_lo, exec_lo, s3
                                        ; implicit-def: $vgpr7
.LBB38_1858:
	s_and_not1_saveexec_b32 s2, s2
; %bb.1859:
	v_mov_b32_e32 v3, 0x7f
	v_cmp_lt_u32_e32 vcc_lo, 0x7f800000, v7
	s_delay_alu instid0(VALU_DEP_2)
	v_cndmask_b32_e32 v3, 0x7e, v3, vcc_lo
; %bb.1860:
	s_or_b32 exec_lo, exec_lo, s2
	v_lshrrev_b32_e32 v7, 24, v2
	s_delay_alu instid0(VALU_DEP_1)
	v_and_or_b32 v3, 0x80, v7, v3
	global_store_b8 v[0:1], v3, off
.LBB38_1861:
	s_mov_b32 s2, 0
.LBB38_1862:
	s_delay_alu instid0(SALU_CYCLE_1)
	s_and_not1_b32 vcc_lo, exec_lo, s2
	s_cbranch_vccnz .LBB38_1872
; %bb.1863:
	v_and_b32_e32 v7, 0x7fffffff, v2
	s_mov_b32 s2, exec_lo
                                        ; implicit-def: $vgpr3
	s_delay_alu instid0(VALU_DEP_1)
	v_cmpx_gt_u32_e32 0x47800000, v7
	s_xor_b32 s2, exec_lo, s2
	s_cbranch_execz .LBB38_1869
; %bb.1864:
	s_mov_b32 s3, exec_lo
                                        ; implicit-def: $vgpr3
	v_cmpx_lt_u32_e32 0x387fffff, v7
	s_xor_b32 s3, exec_lo, s3
; %bb.1865:
	v_bfe_u32 v3, v2, 21, 1
	s_delay_alu instid0(VALU_DEP_1) | instskip(NEXT) | instid1(VALU_DEP_1)
	v_add3_u32 v3, v2, v3, 0x80fffff
	v_lshrrev_b32_e32 v3, 21, v3
; %bb.1866:
	s_and_not1_saveexec_b32 s3, s3
; %bb.1867:
	v_add_f32_e64 v3, 0x43000000, |v2|
; %bb.1868:
	s_or_b32 exec_lo, exec_lo, s3
                                        ; implicit-def: $vgpr7
.LBB38_1869:
	s_and_not1_saveexec_b32 s2, s2
; %bb.1870:
	v_mov_b32_e32 v3, 0x7f
	v_cmp_lt_u32_e32 vcc_lo, 0x7f800000, v7
	s_delay_alu instid0(VALU_DEP_2)
	v_cndmask_b32_e32 v3, 0x7c, v3, vcc_lo
; %bb.1871:
	s_or_b32 exec_lo, exec_lo, s2
	v_lshrrev_b32_e32 v7, 24, v2
	s_delay_alu instid0(VALU_DEP_1)
	v_and_or_b32 v3, 0x80, v7, v3
	global_store_b8 v[0:1], v3, off
.LBB38_1872:
	s_mov_b32 s2, 0
	s_mov_b32 s3, -1
.LBB38_1873:
	s_and_not1_b32 vcc_lo, exec_lo, s2
	s_mov_b32 s2, 0
	s_cbranch_vccnz .LBB38_1880
; %bb.1874:
	v_cmp_lt_i16_e32 vcc_lo, 14, v8
	s_mov_b32 s2, -1
	s_cbranch_vccz .LBB38_1878
; %bb.1875:
	v_cmp_eq_u16_e32 vcc_lo, 15, v8
	s_mov_b32 s0, -1
	s_cbranch_vccz .LBB38_1877
; %bb.1876:
	v_bfe_u32 v3, v2, 16, 1
	v_cmp_o_f32_e32 vcc_lo, v2, v2
	s_mov_b32 s0, 0
	s_mov_b32 s3, -1
	s_delay_alu instid0(VALU_DEP_2) | instskip(NEXT) | instid1(VALU_DEP_1)
	v_add3_u32 v3, v2, v3, 0x7fff
	v_lshrrev_b32_e32 v3, 16, v3
	s_delay_alu instid0(VALU_DEP_1)
	v_cndmask_b32_e32 v3, 0x7fc0, v3, vcc_lo
	global_store_b16 v[0:1], v3, off
.LBB38_1877:
	s_mov_b32 s2, 0
.LBB38_1878:
	s_delay_alu instid0(SALU_CYCLE_1)
	s_and_b32 vcc_lo, exec_lo, s2
	s_mov_b32 s2, 0
	s_cbranch_vccz .LBB38_1880
; %bb.1879:
	v_cmp_ne_u16_e64 s0, 11, v8
	s_mov_b32 s2, -1
.LBB38_1880:
	s_delay_alu instid0(VALU_DEP_1)
	s_and_b32 vcc_lo, exec_lo, s0
	s_cbranch_vccnz .LBB38_2136
; %bb.1881:
	s_and_not1_b32 vcc_lo, exec_lo, s2
	s_cbranch_vccnz .LBB38_1883
.LBB38_1882:
	v_cmp_neq_f32_e32 vcc_lo, 0, v2
	s_mov_b32 s3, -1
	v_cndmask_b32_e64 v3, 0, 1, vcc_lo
	global_store_b8 v[0:1], v3, off
.LBB38_1883:
	s_mov_b32 s0, 0
	s_branch .LBB38_1885
.LBB38_1884:
	s_mov_b32 s0, -1
	s_mov_b32 s3, 0
.LBB38_1885:
	s_and_b32 vcc_lo, exec_lo, s0
	s_cbranch_vccz .LBB38_1924
; %bb.1886:
	v_cmp_gt_i16_e32 vcc_lo, 5, v8
	s_mov_b32 s0, -1
	s_cbranch_vccnz .LBB38_1907
; %bb.1887:
	v_cmp_gt_i16_e32 vcc_lo, 8, v8
	s_cbranch_vccnz .LBB38_1897
; %bb.1888:
	v_cmp_gt_i16_e32 vcc_lo, 9, v8
	s_cbranch_vccnz .LBB38_1894
; %bb.1889:
	v_cmp_lt_i16_e32 vcc_lo, 9, v8
	s_cbranch_vccz .LBB38_1891
; %bb.1890:
	v_cvt_f64_f32_e32 v[9:10], v2
	v_mov_b32_e32 v11, 0
	s_mov_b32 s0, 0
	s_delay_alu instid0(VALU_DEP_1)
	v_mov_b32_e32 v12, v11
	global_store_b128 v[0:1], v[9:12], off
.LBB38_1891:
	s_and_not1_b32 vcc_lo, exec_lo, s0
	s_cbranch_vccnz .LBB38_1893
; %bb.1892:
	v_mov_b32_e32 v3, 0
	global_store_b64 v[0:1], v[2:3], off
.LBB38_1893:
	s_mov_b32 s0, 0
.LBB38_1894:
	s_delay_alu instid0(SALU_CYCLE_1)
	s_and_not1_b32 vcc_lo, exec_lo, s0
	s_cbranch_vccnz .LBB38_1896
; %bb.1895:
	v_cvt_f16_f32_e32 v3, v2
	s_delay_alu instid0(VALU_DEP_1)
	v_and_b32_e32 v3, 0xffff, v3
	global_store_b32 v[0:1], v3, off
.LBB38_1896:
	s_mov_b32 s0, 0
.LBB38_1897:
	s_delay_alu instid0(SALU_CYCLE_1)
	s_and_not1_b32 vcc_lo, exec_lo, s0
	s_cbranch_vccnz .LBB38_1906
; %bb.1898:
	v_cmp_gt_i16_e32 vcc_lo, 6, v8
	s_mov_b32 s0, -1
	s_cbranch_vccnz .LBB38_1904
; %bb.1899:
	v_cmp_lt_i16_e32 vcc_lo, 6, v8
	s_cbranch_vccz .LBB38_1901
; %bb.1900:
	v_cvt_f64_f32_e32 v[9:10], v2
	s_mov_b32 s0, 0
	global_store_b64 v[0:1], v[9:10], off
.LBB38_1901:
	s_and_not1_b32 vcc_lo, exec_lo, s0
	s_cbranch_vccnz .LBB38_1903
; %bb.1902:
	global_store_b32 v[0:1], v2, off
.LBB38_1903:
	s_mov_b32 s0, 0
.LBB38_1904:
	s_delay_alu instid0(SALU_CYCLE_1)
	s_and_not1_b32 vcc_lo, exec_lo, s0
	s_cbranch_vccnz .LBB38_1906
; %bb.1905:
	v_cvt_f16_f32_e32 v3, v2
	global_store_b16 v[0:1], v3, off
.LBB38_1906:
	s_mov_b32 s0, 0
.LBB38_1907:
	s_delay_alu instid0(SALU_CYCLE_1)
	s_and_not1_b32 vcc_lo, exec_lo, s0
	s_cbranch_vccnz .LBB38_1923
; %bb.1908:
	v_cmp_gt_i16_e32 vcc_lo, 2, v8
	s_mov_b32 s0, -1
	s_cbranch_vccnz .LBB38_1918
; %bb.1909:
	v_cmp_gt_i16_e32 vcc_lo, 3, v8
	s_cbranch_vccnz .LBB38_1915
; %bb.1910:
	v_cmp_lt_i16_e32 vcc_lo, 3, v8
	s_cbranch_vccz .LBB38_1912
; %bb.1911:
	v_trunc_f32_e32 v3, v2
	s_mov_b32 s0, 0
	s_delay_alu instid0(VALU_DEP_1) | instskip(NEXT) | instid1(VALU_DEP_1)
	v_mul_f32_e64 v7, 0x2f800000, |v3|
	v_floor_f32_e32 v7, v7
	s_delay_alu instid0(VALU_DEP_1) | instskip(SKIP_2) | instid1(VALU_DEP_3)
	v_fma_f32 v9, 0xcf800000, v7, |v3|
	v_ashrrev_i32_e32 v3, 31, v3
	v_cvt_u32_f32_e32 v7, v7
	v_cvt_u32_f32_e32 v9, v9
	s_delay_alu instid0(VALU_DEP_2) | instskip(NEXT) | instid1(VALU_DEP_2)
	v_xor_b32_e32 v7, v7, v3
	v_xor_b32_e32 v9, v9, v3
	s_delay_alu instid0(VALU_DEP_1) | instskip(NEXT) | instid1(VALU_DEP_3)
	v_sub_co_u32 v9, vcc_lo, v9, v3
	v_sub_co_ci_u32_e32 v10, vcc_lo, v7, v3, vcc_lo
	global_store_b64 v[0:1], v[9:10], off
.LBB38_1912:
	s_and_not1_b32 vcc_lo, exec_lo, s0
	s_cbranch_vccnz .LBB38_1914
; %bb.1913:
	v_cvt_i32_f32_e32 v3, v2
	global_store_b32 v[0:1], v3, off
.LBB38_1914:
	s_mov_b32 s0, 0
.LBB38_1915:
	s_delay_alu instid0(SALU_CYCLE_1)
	s_and_not1_b32 vcc_lo, exec_lo, s0
	s_cbranch_vccnz .LBB38_1917
; %bb.1916:
	v_cvt_i32_f32_e32 v3, v2
	global_store_b16 v[0:1], v3, off
.LBB38_1917:
	s_mov_b32 s0, 0
.LBB38_1918:
	s_delay_alu instid0(SALU_CYCLE_1)
	s_and_not1_b32 vcc_lo, exec_lo, s0
	s_cbranch_vccnz .LBB38_1923
; %bb.1919:
	v_cmp_lt_i16_e32 vcc_lo, 0, v8
	s_mov_b32 s0, -1
	s_cbranch_vccz .LBB38_1921
; %bb.1920:
	v_cvt_i32_f32_e32 v3, v2
	s_mov_b32 s0, 0
	global_store_b8 v[0:1], v3, off
.LBB38_1921:
	s_and_not1_b32 vcc_lo, exec_lo, s0
	s_cbranch_vccnz .LBB38_1923
; %bb.1922:
	v_trunc_f32_e32 v2, v2
	s_delay_alu instid0(VALU_DEP_1) | instskip(NEXT) | instid1(VALU_DEP_1)
	v_mul_f32_e64 v3, 0x2f800000, |v2|
	v_floor_f32_e32 v3, v3
	s_delay_alu instid0(VALU_DEP_1) | instskip(SKIP_1) | instid1(VALU_DEP_2)
	v_fma_f32 v3, 0xcf800000, v3, |v2|
	v_ashrrev_i32_e32 v2, 31, v2
	v_cvt_u32_f32_e32 v3, v3
	s_delay_alu instid0(VALU_DEP_1) | instskip(NEXT) | instid1(VALU_DEP_1)
	v_xor_b32_e32 v3, v3, v2
	v_sub_nc_u32_e32 v2, v3, v2
	global_store_b8 v[0:1], v2, off
.LBB38_1923:
	s_mov_b32 s3, -1
.LBB38_1924:
	s_delay_alu instid0(SALU_CYCLE_1)
	s_and_not1_b32 vcc_lo, exec_lo, s3
	s_cbranch_vccnz .LBB38_2120
; %bb.1925:
	v_add_nc_u32_e32 v2, s1, v6
	v_cmp_gt_i16_e32 vcc_lo, 11, v8
	s_delay_alu instid0(VALU_DEP_2) | instskip(SKIP_1) | instid1(VALU_DEP_1)
	v_ashrrev_i32_e32 v1, 31, v2
	v_add_co_u32 v0, s0, s4, v2
	v_add_co_ci_u32_e64 v1, s0, s5, v1, s0
	s_cbranch_vccnz .LBB38_2003
; %bb.1926:
	v_cmp_lt_i16_e32 vcc_lo, 25, v8
	s_mov_b32 s6, -1
	s_mov_b32 s2, 0
	s_mov_b32 s3, 0
	;; [unrolled: 1-line block ×3, first 2 shown]
	s_cbranch_vccz .LBB38_1959
; %bb.1927:
	v_cmp_lt_i16_e32 vcc_lo, 28, v8
	s_cbranch_vccz .LBB38_1942
; %bb.1928:
	v_cmp_lt_i16_e32 vcc_lo, 43, v8
	;; [unrolled: 3-line block ×3, first 2 shown]
	s_cbranch_vccz .LBB38_1932
; %bb.1930:
	v_cmp_eq_u16_e32 vcc_lo, 46, v8
	s_mov_b32 s0, -1
	s_mov_b32 s6, 0
	s_cbranch_vccz .LBB38_1932
; %bb.1931:
	v_bfe_u32 v3, v5, 16, 1
	v_cmp_o_f32_e32 vcc_lo, v5, v5
	s_mov_b32 s0, 0
	s_mov_b32 s3, -1
	s_delay_alu instid0(VALU_DEP_2) | instskip(NEXT) | instid1(VALU_DEP_1)
	v_add3_u32 v3, v5, v3, 0x7fff
	v_lshrrev_b32_e32 v3, 16, v3
	s_delay_alu instid0(VALU_DEP_1)
	v_cndmask_b32_e32 v3, 0x7fc0, v3, vcc_lo
	global_store_b32 v[0:1], v3, off
.LBB38_1932:
	s_and_b32 vcc_lo, exec_lo, s6
	s_cbranch_vccz .LBB38_1937
; %bb.1933:
	v_cmp_eq_u16_e32 vcc_lo, 44, v8
	s_mov_b32 s0, -1
	s_cbranch_vccz .LBB38_1937
; %bb.1934:
	v_bfe_u32 v6, v5, 23, 8
	v_mov_b32_e32 v3, 0xff
	s_mov_b32 s3, exec_lo
	s_delay_alu instid0(VALU_DEP_2)
	v_cmpx_ne_u32_e32 0xff, v6
; %bb.1935:
	v_and_b32_e32 v3, 0x400000, v5
	v_and_or_b32 v6, 0x3fffff, v5, v6
	s_delay_alu instid0(VALU_DEP_2) | instskip(NEXT) | instid1(VALU_DEP_2)
	v_cmp_ne_u32_e32 vcc_lo, 0, v3
	v_cmp_ne_u32_e64 s0, 0, v6
	v_lshrrev_b32_e32 v3, 23, v5
	s_delay_alu instid0(VALU_DEP_2) | instskip(NEXT) | instid1(SALU_CYCLE_1)
	s_and_b32 s0, vcc_lo, s0
	v_cndmask_b32_e64 v6, 0, 1, s0
	s_delay_alu instid0(VALU_DEP_1)
	v_add_nc_u32_e32 v3, v3, v6
; %bb.1936:
	s_or_b32 exec_lo, exec_lo, s3
	s_mov_b32 s0, 0
	s_mov_b32 s3, -1
	global_store_b8 v[0:1], v3, off
.LBB38_1937:
	s_mov_b32 s6, 0
.LBB38_1938:
	s_delay_alu instid0(SALU_CYCLE_1)
	s_and_b32 vcc_lo, exec_lo, s6
	s_cbranch_vccz .LBB38_1941
; %bb.1939:
	v_cmp_eq_u16_e32 vcc_lo, 29, v8
	s_mov_b32 s0, -1
	s_cbranch_vccz .LBB38_1941
; %bb.1940:
	v_trunc_f32_e32 v3, v5
	s_mov_b32 s0, 0
	s_mov_b32 s3, -1
	s_delay_alu instid0(VALU_DEP_1) | instskip(NEXT) | instid1(VALU_DEP_1)
	v_mul_f32_e32 v6, 0x2f800000, v3
	v_floor_f32_e32 v6, v6
	s_delay_alu instid0(VALU_DEP_1) | instskip(SKIP_1) | instid1(VALU_DEP_2)
	v_fmamk_f32 v3, v6, 0xcf800000, v3
	v_cvt_u32_f32_e32 v7, v6
	v_cvt_u32_f32_e32 v6, v3
	global_store_b64 v[0:1], v[6:7], off
.LBB38_1941:
	s_mov_b32 s6, 0
.LBB38_1942:
	s_delay_alu instid0(SALU_CYCLE_1)
	s_and_b32 vcc_lo, exec_lo, s6
	s_cbranch_vccz .LBB38_1958
; %bb.1943:
	v_cmp_gt_i16_e32 vcc_lo, 27, v8
	s_mov_b32 s3, -1
	s_cbranch_vccnz .LBB38_1949
; %bb.1944:
	v_cmp_lt_i16_e32 vcc_lo, 27, v8
	v_cvt_u32_f32_e32 v3, v5
	s_cbranch_vccz .LBB38_1946
; %bb.1945:
	s_mov_b32 s3, 0
	global_store_b32 v[0:1], v3, off
.LBB38_1946:
	s_and_not1_b32 vcc_lo, exec_lo, s3
	s_cbranch_vccnz .LBB38_1948
; %bb.1947:
	global_store_b16 v[0:1], v3, off
.LBB38_1948:
	s_mov_b32 s3, 0
.LBB38_1949:
	s_delay_alu instid0(SALU_CYCLE_1)
	s_and_not1_b32 vcc_lo, exec_lo, s3
	s_cbranch_vccnz .LBB38_1957
; %bb.1950:
	v_and_b32_e32 v3, 0x7fffffff, v5
	v_mov_b32_e32 v6, 0x80
	s_mov_b32 s3, exec_lo
	s_delay_alu instid0(VALU_DEP_2)
	v_cmpx_gt_u32_e32 0x43800000, v3
	s_cbranch_execz .LBB38_1956
; %bb.1951:
	v_cmp_lt_u32_e32 vcc_lo, 0x3bffffff, v3
	s_mov_b32 s6, 0
                                        ; implicit-def: $vgpr3
	s_and_saveexec_b32 s7, vcc_lo
	s_delay_alu instid0(SALU_CYCLE_1)
	s_xor_b32 s7, exec_lo, s7
	s_cbranch_execz .LBB38_2140
; %bb.1952:
	v_bfe_u32 v3, v5, 20, 1
	s_mov_b32 s6, exec_lo
	s_delay_alu instid0(VALU_DEP_1) | instskip(NEXT) | instid1(VALU_DEP_1)
	v_add3_u32 v3, v5, v3, 0x487ffff
	v_lshrrev_b32_e32 v3, 20, v3
	s_or_saveexec_b32 s7, s7
                                        ; implicit-def: $sgpr8
	s_delay_alu instid0(SALU_CYCLE_1)
	s_xor_b32 exec_lo, exec_lo, s7
	s_cbranch_execnz .LBB38_2141
.LBB38_1953:
	s_or_b32 exec_lo, exec_lo, s7
	v_mov_b32_e32 v6, s8
	s_and_saveexec_b32 s7, s6
.LBB38_1954:
	v_lshrrev_b32_e32 v6, 24, v5
	s_delay_alu instid0(VALU_DEP_1)
	v_and_or_b32 v6, 0x80, v6, v3
.LBB38_1955:
	s_or_b32 exec_lo, exec_lo, s7
.LBB38_1956:
	s_delay_alu instid0(SALU_CYCLE_1)
	s_or_b32 exec_lo, exec_lo, s3
	global_store_b8 v[0:1], v6, off
.LBB38_1957:
	s_mov_b32 s3, -1
.LBB38_1958:
	s_mov_b32 s6, 0
.LBB38_1959:
	s_delay_alu instid0(SALU_CYCLE_1)
	s_and_b32 vcc_lo, exec_lo, s6
	s_cbranch_vccz .LBB38_1999
; %bb.1960:
	v_cmp_lt_i16_e32 vcc_lo, 22, v8
	s_mov_b32 s2, -1
	s_cbranch_vccz .LBB38_1992
; %bb.1961:
	v_cmp_gt_i16_e32 vcc_lo, 24, v8
	s_cbranch_vccnz .LBB38_1981
; %bb.1962:
	v_cmp_lt_i16_e32 vcc_lo, 24, v8
	s_cbranch_vccz .LBB38_1970
; %bb.1963:
	v_and_b32_e32 v3, 0x7fffffff, v5
	v_mov_b32_e32 v6, 0x80
	s_mov_b32 s2, exec_lo
	s_delay_alu instid0(VALU_DEP_2)
	v_cmpx_gt_u32_e32 0x47800000, v3
	s_cbranch_execz .LBB38_1969
; %bb.1964:
	v_cmp_lt_u32_e32 vcc_lo, 0x37ffffff, v3
	s_mov_b32 s3, 0
                                        ; implicit-def: $vgpr3
	s_and_saveexec_b32 s6, vcc_lo
	s_delay_alu instid0(SALU_CYCLE_1)
	s_xor_b32 s6, exec_lo, s6
	s_cbranch_execz .LBB38_2146
; %bb.1965:
	v_bfe_u32 v3, v5, 21, 1
	s_mov_b32 s3, exec_lo
	s_delay_alu instid0(VALU_DEP_1) | instskip(NEXT) | instid1(VALU_DEP_1)
	v_add3_u32 v3, v5, v3, 0x88fffff
	v_lshrrev_b32_e32 v3, 21, v3
	s_or_saveexec_b32 s6, s6
                                        ; implicit-def: $sgpr7
	s_delay_alu instid0(SALU_CYCLE_1)
	s_xor_b32 exec_lo, exec_lo, s6
	s_cbranch_execnz .LBB38_2147
.LBB38_1966:
	s_or_b32 exec_lo, exec_lo, s6
	v_mov_b32_e32 v6, s7
	s_and_saveexec_b32 s6, s3
.LBB38_1967:
	v_lshrrev_b32_e32 v6, 24, v5
	s_delay_alu instid0(VALU_DEP_1)
	v_and_or_b32 v6, 0x80, v6, v3
.LBB38_1968:
	s_or_b32 exec_lo, exec_lo, s6
.LBB38_1969:
	s_delay_alu instid0(SALU_CYCLE_1)
	s_or_b32 exec_lo, exec_lo, s2
	s_mov_b32 s2, 0
	global_store_b8 v[0:1], v6, off
.LBB38_1970:
	s_and_b32 vcc_lo, exec_lo, s2
	s_cbranch_vccz .LBB38_1980
; %bb.1971:
	v_and_b32_e32 v6, 0x7fffffff, v5
	s_mov_b32 s2, exec_lo
                                        ; implicit-def: $vgpr3
	s_delay_alu instid0(VALU_DEP_1)
	v_cmpx_gt_u32_e32 0x43f00000, v6
	s_xor_b32 s2, exec_lo, s2
	s_cbranch_execz .LBB38_1977
; %bb.1972:
	s_mov_b32 s3, exec_lo
                                        ; implicit-def: $vgpr3
	v_cmpx_lt_u32_e32 0x3c7fffff, v6
	s_xor_b32 s3, exec_lo, s3
; %bb.1973:
	v_bfe_u32 v3, v5, 20, 1
	s_delay_alu instid0(VALU_DEP_1) | instskip(NEXT) | instid1(VALU_DEP_1)
	v_add3_u32 v3, v5, v3, 0x407ffff
	v_and_b32_e32 v6, 0xff00000, v3
	v_lshrrev_b32_e32 v3, 20, v3
	s_delay_alu instid0(VALU_DEP_2) | instskip(NEXT) | instid1(VALU_DEP_2)
	v_cmp_ne_u32_e32 vcc_lo, 0x7f00000, v6
	v_cndmask_b32_e32 v3, 0x7e, v3, vcc_lo
; %bb.1974:
	s_and_not1_saveexec_b32 s3, s3
; %bb.1975:
	v_add_f32_e64 v3, 0x46800000, |v5|
; %bb.1976:
	s_or_b32 exec_lo, exec_lo, s3
                                        ; implicit-def: $vgpr6
.LBB38_1977:
	s_and_not1_saveexec_b32 s2, s2
; %bb.1978:
	v_mov_b32_e32 v3, 0x7f
	v_cmp_lt_u32_e32 vcc_lo, 0x7f800000, v6
	s_delay_alu instid0(VALU_DEP_2)
	v_cndmask_b32_e32 v3, 0x7e, v3, vcc_lo
; %bb.1979:
	s_or_b32 exec_lo, exec_lo, s2
	v_lshrrev_b32_e32 v6, 24, v5
	s_delay_alu instid0(VALU_DEP_1)
	v_and_or_b32 v3, 0x80, v6, v3
	global_store_b8 v[0:1], v3, off
.LBB38_1980:
	s_mov_b32 s2, 0
.LBB38_1981:
	s_delay_alu instid0(SALU_CYCLE_1)
	s_and_not1_b32 vcc_lo, exec_lo, s2
	s_cbranch_vccnz .LBB38_1991
; %bb.1982:
	v_and_b32_e32 v6, 0x7fffffff, v5
	s_mov_b32 s2, exec_lo
                                        ; implicit-def: $vgpr3
	s_delay_alu instid0(VALU_DEP_1)
	v_cmpx_gt_u32_e32 0x47800000, v6
	s_xor_b32 s2, exec_lo, s2
	s_cbranch_execz .LBB38_1988
; %bb.1983:
	s_mov_b32 s3, exec_lo
                                        ; implicit-def: $vgpr3
	v_cmpx_lt_u32_e32 0x387fffff, v6
	s_xor_b32 s3, exec_lo, s3
; %bb.1984:
	v_bfe_u32 v3, v5, 21, 1
	s_delay_alu instid0(VALU_DEP_1) | instskip(NEXT) | instid1(VALU_DEP_1)
	v_add3_u32 v3, v5, v3, 0x80fffff
	v_lshrrev_b32_e32 v3, 21, v3
; %bb.1985:
	s_and_not1_saveexec_b32 s3, s3
; %bb.1986:
	v_add_f32_e64 v3, 0x43000000, |v5|
; %bb.1987:
	s_or_b32 exec_lo, exec_lo, s3
                                        ; implicit-def: $vgpr6
.LBB38_1988:
	s_and_not1_saveexec_b32 s2, s2
; %bb.1989:
	v_mov_b32_e32 v3, 0x7f
	v_cmp_lt_u32_e32 vcc_lo, 0x7f800000, v6
	s_delay_alu instid0(VALU_DEP_2)
	v_cndmask_b32_e32 v3, 0x7c, v3, vcc_lo
; %bb.1990:
	s_or_b32 exec_lo, exec_lo, s2
	v_lshrrev_b32_e32 v6, 24, v5
	s_delay_alu instid0(VALU_DEP_1)
	v_and_or_b32 v3, 0x80, v6, v3
	global_store_b8 v[0:1], v3, off
.LBB38_1991:
	s_mov_b32 s2, 0
	s_mov_b32 s3, -1
.LBB38_1992:
	s_and_not1_b32 vcc_lo, exec_lo, s2
	s_mov_b32 s2, 0
	s_cbranch_vccnz .LBB38_1999
; %bb.1993:
	v_cmp_lt_i16_e32 vcc_lo, 14, v8
	s_mov_b32 s2, -1
	s_cbranch_vccz .LBB38_1997
; %bb.1994:
	v_cmp_eq_u16_e32 vcc_lo, 15, v8
	s_mov_b32 s0, -1
	s_cbranch_vccz .LBB38_1996
; %bb.1995:
	v_bfe_u32 v3, v5, 16, 1
	v_cmp_o_f32_e32 vcc_lo, v5, v5
	s_mov_b32 s0, 0
	s_mov_b32 s3, -1
	s_delay_alu instid0(VALU_DEP_2) | instskip(NEXT) | instid1(VALU_DEP_1)
	v_add3_u32 v3, v5, v3, 0x7fff
	v_lshrrev_b32_e32 v3, 16, v3
	s_delay_alu instid0(VALU_DEP_1)
	v_cndmask_b32_e32 v3, 0x7fc0, v3, vcc_lo
	global_store_b16 v[0:1], v3, off
.LBB38_1996:
	s_mov_b32 s2, 0
.LBB38_1997:
	s_delay_alu instid0(SALU_CYCLE_1)
	s_and_b32 vcc_lo, exec_lo, s2
	s_mov_b32 s2, 0
	s_cbranch_vccz .LBB38_1999
; %bb.1998:
	v_cmp_ne_u16_e64 s0, 11, v8
	s_mov_b32 s2, -1
.LBB38_1999:
	s_delay_alu instid0(VALU_DEP_1)
	s_and_b32 vcc_lo, exec_lo, s0
	s_cbranch_vccnz .LBB38_2144
; %bb.2000:
	s_and_not1_b32 vcc_lo, exec_lo, s2
	s_cbranch_vccnz .LBB38_2002
.LBB38_2001:
	v_cmp_neq_f32_e32 vcc_lo, 0, v5
	s_mov_b32 s3, -1
	v_cndmask_b32_e64 v3, 0, 1, vcc_lo
	global_store_b8 v[0:1], v3, off
.LBB38_2002:
	s_mov_b32 s0, 0
	s_branch .LBB38_2004
.LBB38_2003:
	s_mov_b32 s0, -1
	s_mov_b32 s3, 0
.LBB38_2004:
	s_and_b32 vcc_lo, exec_lo, s0
	s_cbranch_vccz .LBB38_2043
; %bb.2005:
	v_cmp_gt_i16_e32 vcc_lo, 5, v8
	s_mov_b32 s0, -1
	s_cbranch_vccnz .LBB38_2026
; %bb.2006:
	v_cmp_gt_i16_e32 vcc_lo, 8, v8
	s_cbranch_vccnz .LBB38_2016
; %bb.2007:
	v_cmp_gt_i16_e32 vcc_lo, 9, v8
	s_cbranch_vccnz .LBB38_2013
; %bb.2008:
	v_cmp_lt_i16_e32 vcc_lo, 9, v8
	s_cbranch_vccz .LBB38_2010
; %bb.2009:
	v_cvt_f64_f32_e32 v[9:10], v5
	v_mov_b32_e32 v11, 0
	s_mov_b32 s0, 0
	s_delay_alu instid0(VALU_DEP_1)
	v_mov_b32_e32 v12, v11
	global_store_b128 v[0:1], v[9:12], off
.LBB38_2010:
	s_and_not1_b32 vcc_lo, exec_lo, s0
	s_cbranch_vccnz .LBB38_2012
; %bb.2011:
	v_mov_b32_e32 v6, 0
	global_store_b64 v[0:1], v[5:6], off
.LBB38_2012:
	s_mov_b32 s0, 0
.LBB38_2013:
	s_delay_alu instid0(SALU_CYCLE_1)
	s_and_not1_b32 vcc_lo, exec_lo, s0
	s_cbranch_vccnz .LBB38_2015
; %bb.2014:
	v_cvt_f16_f32_e32 v3, v5
	s_delay_alu instid0(VALU_DEP_1)
	v_and_b32_e32 v3, 0xffff, v3
	global_store_b32 v[0:1], v3, off
.LBB38_2015:
	s_mov_b32 s0, 0
.LBB38_2016:
	s_delay_alu instid0(SALU_CYCLE_1)
	s_and_not1_b32 vcc_lo, exec_lo, s0
	s_cbranch_vccnz .LBB38_2025
; %bb.2017:
	v_cmp_gt_i16_e32 vcc_lo, 6, v8
	s_mov_b32 s0, -1
	s_cbranch_vccnz .LBB38_2023
; %bb.2018:
	v_cmp_lt_i16_e32 vcc_lo, 6, v8
	s_cbranch_vccz .LBB38_2020
; %bb.2019:
	v_cvt_f64_f32_e32 v[6:7], v5
	s_mov_b32 s0, 0
	global_store_b64 v[0:1], v[6:7], off
.LBB38_2020:
	s_and_not1_b32 vcc_lo, exec_lo, s0
	s_cbranch_vccnz .LBB38_2022
; %bb.2021:
	global_store_b32 v[0:1], v5, off
.LBB38_2022:
	s_mov_b32 s0, 0
.LBB38_2023:
	s_delay_alu instid0(SALU_CYCLE_1)
	s_and_not1_b32 vcc_lo, exec_lo, s0
	s_cbranch_vccnz .LBB38_2025
; %bb.2024:
	v_cvt_f16_f32_e32 v3, v5
	global_store_b16 v[0:1], v3, off
.LBB38_2025:
	s_mov_b32 s0, 0
.LBB38_2026:
	s_delay_alu instid0(SALU_CYCLE_1)
	s_and_not1_b32 vcc_lo, exec_lo, s0
	s_cbranch_vccnz .LBB38_2042
; %bb.2027:
	v_cmp_gt_i16_e32 vcc_lo, 2, v8
	s_mov_b32 s0, -1
	s_cbranch_vccnz .LBB38_2037
; %bb.2028:
	v_cmp_gt_i16_e32 vcc_lo, 3, v8
	s_cbranch_vccnz .LBB38_2034
; %bb.2029:
	v_cmp_lt_i16_e32 vcc_lo, 3, v8
	s_cbranch_vccz .LBB38_2031
; %bb.2030:
	v_trunc_f32_e32 v3, v5
	s_mov_b32 s0, 0
	s_delay_alu instid0(VALU_DEP_1) | instskip(NEXT) | instid1(VALU_DEP_1)
	v_mul_f32_e64 v6, 0x2f800000, |v3|
	v_floor_f32_e32 v6, v6
	s_delay_alu instid0(VALU_DEP_1) | instskip(SKIP_2) | instid1(VALU_DEP_3)
	v_fma_f32 v7, 0xcf800000, v6, |v3|
	v_ashrrev_i32_e32 v3, 31, v3
	v_cvt_u32_f32_e32 v6, v6
	v_cvt_u32_f32_e32 v7, v7
	s_delay_alu instid0(VALU_DEP_2) | instskip(NEXT) | instid1(VALU_DEP_2)
	v_xor_b32_e32 v9, v6, v3
	v_xor_b32_e32 v7, v7, v3
	s_delay_alu instid0(VALU_DEP_1) | instskip(NEXT) | instid1(VALU_DEP_3)
	v_sub_co_u32 v6, vcc_lo, v7, v3
	v_sub_co_ci_u32_e32 v7, vcc_lo, v9, v3, vcc_lo
	global_store_b64 v[0:1], v[6:7], off
.LBB38_2031:
	s_and_not1_b32 vcc_lo, exec_lo, s0
	s_cbranch_vccnz .LBB38_2033
; %bb.2032:
	v_cvt_i32_f32_e32 v3, v5
	global_store_b32 v[0:1], v3, off
.LBB38_2033:
	s_mov_b32 s0, 0
.LBB38_2034:
	s_delay_alu instid0(SALU_CYCLE_1)
	s_and_not1_b32 vcc_lo, exec_lo, s0
	s_cbranch_vccnz .LBB38_2036
; %bb.2035:
	v_cvt_i32_f32_e32 v3, v5
	global_store_b16 v[0:1], v3, off
.LBB38_2036:
	s_mov_b32 s0, 0
.LBB38_2037:
	s_delay_alu instid0(SALU_CYCLE_1)
	s_and_not1_b32 vcc_lo, exec_lo, s0
	s_cbranch_vccnz .LBB38_2042
; %bb.2038:
	v_cmp_lt_i16_e32 vcc_lo, 0, v8
	s_mov_b32 s0, -1
	s_cbranch_vccz .LBB38_2040
; %bb.2039:
	v_cvt_i32_f32_e32 v3, v5
	s_mov_b32 s0, 0
	global_store_b8 v[0:1], v3, off
.LBB38_2040:
	s_and_not1_b32 vcc_lo, exec_lo, s0
	s_cbranch_vccnz .LBB38_2042
; %bb.2041:
	v_trunc_f32_e32 v3, v5
	s_delay_alu instid0(VALU_DEP_1) | instskip(NEXT) | instid1(VALU_DEP_1)
	v_mul_f32_e64 v5, 0x2f800000, |v3|
	v_floor_f32_e32 v5, v5
	s_delay_alu instid0(VALU_DEP_1) | instskip(SKIP_1) | instid1(VALU_DEP_2)
	v_fma_f32 v5, 0xcf800000, v5, |v3|
	v_ashrrev_i32_e32 v3, 31, v3
	v_cvt_u32_f32_e32 v5, v5
	s_delay_alu instid0(VALU_DEP_1) | instskip(NEXT) | instid1(VALU_DEP_1)
	v_xor_b32_e32 v5, v5, v3
	v_sub_nc_u32_e32 v3, v5, v3
	global_store_b8 v[0:1], v3, off
.LBB38_2042:
	s_mov_b32 s3, -1
.LBB38_2043:
	s_delay_alu instid0(SALU_CYCLE_1)
	s_and_not1_b32 vcc_lo, exec_lo, s3
	s_cbranch_vccnz .LBB38_2120
; %bb.2044:
	v_add_nc_u32_e32 v0, s1, v2
	v_cmp_gt_i16_e32 vcc_lo, 11, v8
	s_delay_alu instid0(VALU_DEP_2) | instskip(SKIP_1) | instid1(VALU_DEP_1)
	v_ashrrev_i32_e32 v1, 31, v0
	v_add_co_u32 v0, s0, s4, v0
	v_add_co_ci_u32_e64 v1, s0, s5, v1, s0
	s_cbranch_vccnz .LBB38_2121
; %bb.2045:
	v_cmp_lt_i16_e32 vcc_lo, 25, v8
	s_mov_b32 s2, -1
	s_mov_b32 s1, 0
	s_mov_b32 s0, 0
	s_cbranch_vccz .LBB38_2078
; %bb.2046:
	v_cmp_lt_i16_e32 vcc_lo, 28, v8
	s_cbranch_vccz .LBB38_2062
; %bb.2047:
	v_cmp_lt_i16_e32 vcc_lo, 43, v8
	;; [unrolled: 3-line block ×3, first 2 shown]
	s_cbranch_vccz .LBB38_2052
; %bb.2049:
	v_cmp_eq_u16_e32 vcc_lo, 46, v8
	s_mov_b32 s0, -1
	s_cbranch_vccz .LBB38_2051
; %bb.2050:
	v_bfe_u32 v2, v4, 16, 1
	v_cmp_o_f32_e32 vcc_lo, v4, v4
	s_mov_b32 s0, 0
	s_delay_alu instid0(VALU_DEP_2) | instskip(NEXT) | instid1(VALU_DEP_1)
	v_add3_u32 v2, v4, v2, 0x7fff
	v_lshrrev_b32_e32 v2, 16, v2
	s_delay_alu instid0(VALU_DEP_1)
	v_cndmask_b32_e32 v2, 0x7fc0, v2, vcc_lo
	global_store_b32 v[0:1], v2, off
.LBB38_2051:
	s_mov_b32 s2, 0
.LBB38_2052:
	s_delay_alu instid0(SALU_CYCLE_1)
	s_and_b32 vcc_lo, exec_lo, s2
	s_cbranch_vccz .LBB38_2057
; %bb.2053:
	v_cmp_eq_u16_e32 vcc_lo, 44, v8
	s_mov_b32 s0, -1
	s_cbranch_vccz .LBB38_2057
; %bb.2054:
	v_bfe_u32 v3, v4, 23, 8
	v_mov_b32_e32 v2, 0xff
	s_mov_b32 s2, exec_lo
	s_delay_alu instid0(VALU_DEP_2)
	v_cmpx_ne_u32_e32 0xff, v3
; %bb.2055:
	v_and_b32_e32 v2, 0x400000, v4
	v_and_or_b32 v3, 0x3fffff, v4, v3
	s_delay_alu instid0(VALU_DEP_2) | instskip(NEXT) | instid1(VALU_DEP_2)
	v_cmp_ne_u32_e32 vcc_lo, 0, v2
	v_cmp_ne_u32_e64 s0, 0, v3
	v_lshrrev_b32_e32 v2, 23, v4
	s_delay_alu instid0(VALU_DEP_2) | instskip(NEXT) | instid1(SALU_CYCLE_1)
	s_and_b32 s0, vcc_lo, s0
	v_cndmask_b32_e64 v3, 0, 1, s0
	s_delay_alu instid0(VALU_DEP_1)
	v_add_nc_u32_e32 v2, v2, v3
; %bb.2056:
	s_or_b32 exec_lo, exec_lo, s2
	s_mov_b32 s0, 0
	global_store_b8 v[0:1], v2, off
.LBB38_2057:
	s_mov_b32 s2, 0
.LBB38_2058:
	s_delay_alu instid0(SALU_CYCLE_1)
	s_and_b32 vcc_lo, exec_lo, s2
	s_cbranch_vccz .LBB38_2061
; %bb.2059:
	v_cmp_eq_u16_e32 vcc_lo, 29, v8
	s_mov_b32 s0, -1
	s_cbranch_vccz .LBB38_2061
; %bb.2060:
	v_trunc_f32_e32 v2, v4
	s_mov_b32 s0, 0
	s_delay_alu instid0(VALU_DEP_1) | instskip(NEXT) | instid1(VALU_DEP_1)
	v_mul_f32_e32 v3, 0x2f800000, v2
	v_floor_f32_e32 v3, v3
	s_delay_alu instid0(VALU_DEP_1) | instskip(SKIP_1) | instid1(VALU_DEP_2)
	v_fmamk_f32 v2, v3, 0xcf800000, v2
	v_cvt_u32_f32_e32 v3, v3
	v_cvt_u32_f32_e32 v2, v2
	global_store_b64 v[0:1], v[2:3], off
.LBB38_2061:
	s_mov_b32 s2, 0
.LBB38_2062:
	s_delay_alu instid0(SALU_CYCLE_1)
	s_and_b32 vcc_lo, exec_lo, s2
	s_cbranch_vccz .LBB38_2077
; %bb.2063:
	v_cmp_gt_i16_e32 vcc_lo, 27, v8
	s_mov_b32 s2, -1
	s_cbranch_vccnz .LBB38_2069
; %bb.2064:
	v_cmp_lt_i16_e32 vcc_lo, 27, v8
	v_cvt_u32_f32_e32 v2, v4
	s_cbranch_vccz .LBB38_2066
; %bb.2065:
	s_mov_b32 s2, 0
	global_store_b32 v[0:1], v2, off
.LBB38_2066:
	s_and_not1_b32 vcc_lo, exec_lo, s2
	s_cbranch_vccnz .LBB38_2068
; %bb.2067:
	global_store_b16 v[0:1], v2, off
.LBB38_2068:
	s_mov_b32 s2, 0
.LBB38_2069:
	s_delay_alu instid0(SALU_CYCLE_1)
	s_and_not1_b32 vcc_lo, exec_lo, s2
	s_cbranch_vccnz .LBB38_2077
; %bb.2070:
	v_and_b32_e32 v2, 0x7fffffff, v4
	v_mov_b32_e32 v3, 0x80
	s_mov_b32 s2, exec_lo
	s_delay_alu instid0(VALU_DEP_2)
	v_cmpx_gt_u32_e32 0x43800000, v2
	s_cbranch_execz .LBB38_2076
; %bb.2071:
	v_cmp_lt_u32_e32 vcc_lo, 0x3bffffff, v2
	s_mov_b32 s3, 0
                                        ; implicit-def: $vgpr2
	s_and_saveexec_b32 s4, vcc_lo
	s_delay_alu instid0(SALU_CYCLE_1)
	s_xor_b32 s4, exec_lo, s4
	s_cbranch_execz .LBB38_2148
; %bb.2072:
	v_bfe_u32 v2, v4, 20, 1
	s_mov_b32 s3, exec_lo
	s_delay_alu instid0(VALU_DEP_1) | instskip(NEXT) | instid1(VALU_DEP_1)
	v_add3_u32 v2, v4, v2, 0x487ffff
	v_lshrrev_b32_e32 v2, 20, v2
	s_or_saveexec_b32 s4, s4
                                        ; implicit-def: $sgpr5
	s_delay_alu instid0(SALU_CYCLE_1)
	s_xor_b32 exec_lo, exec_lo, s4
	s_cbranch_execnz .LBB38_2149
.LBB38_2073:
	s_or_b32 exec_lo, exec_lo, s4
	v_mov_b32_e32 v3, s5
	s_and_saveexec_b32 s4, s3
.LBB38_2074:
	v_lshrrev_b32_e32 v3, 24, v4
	s_delay_alu instid0(VALU_DEP_1)
	v_and_or_b32 v3, 0x80, v3, v2
.LBB38_2075:
	s_or_b32 exec_lo, exec_lo, s4
.LBB38_2076:
	s_delay_alu instid0(SALU_CYCLE_1)
	s_or_b32 exec_lo, exec_lo, s2
	global_store_b8 v[0:1], v3, off
.LBB38_2077:
	s_mov_b32 s2, 0
.LBB38_2078:
	s_delay_alu instid0(SALU_CYCLE_1)
	s_and_b32 vcc_lo, exec_lo, s2
	s_cbranch_vccz .LBB38_2118
; %bb.2079:
	v_cmp_lt_i16_e32 vcc_lo, 22, v8
	s_mov_b32 s1, -1
	s_cbranch_vccz .LBB38_2111
; %bb.2080:
	v_cmp_gt_i16_e32 vcc_lo, 24, v8
	s_cbranch_vccnz .LBB38_2100
; %bb.2081:
	v_cmp_lt_i16_e32 vcc_lo, 24, v8
	s_cbranch_vccz .LBB38_2089
; %bb.2082:
	v_and_b32_e32 v2, 0x7fffffff, v4
	v_mov_b32_e32 v3, 0x80
	s_mov_b32 s1, exec_lo
	s_delay_alu instid0(VALU_DEP_2)
	v_cmpx_gt_u32_e32 0x47800000, v2
	s_cbranch_execz .LBB38_2088
; %bb.2083:
	v_cmp_lt_u32_e32 vcc_lo, 0x37ffffff, v2
	s_mov_b32 s2, 0
                                        ; implicit-def: $vgpr2
	s_and_saveexec_b32 s3, vcc_lo
	s_delay_alu instid0(SALU_CYCLE_1)
	s_xor_b32 s3, exec_lo, s3
	s_cbranch_execz .LBB38_2154
; %bb.2084:
	v_bfe_u32 v2, v4, 21, 1
	s_mov_b32 s2, exec_lo
	s_delay_alu instid0(VALU_DEP_1) | instskip(NEXT) | instid1(VALU_DEP_1)
	v_add3_u32 v2, v4, v2, 0x88fffff
	v_lshrrev_b32_e32 v2, 21, v2
	s_or_saveexec_b32 s3, s3
                                        ; implicit-def: $sgpr4
	s_delay_alu instid0(SALU_CYCLE_1)
	s_xor_b32 exec_lo, exec_lo, s3
	s_cbranch_execnz .LBB38_2155
.LBB38_2085:
	s_or_b32 exec_lo, exec_lo, s3
	v_mov_b32_e32 v3, s4
	s_and_saveexec_b32 s3, s2
.LBB38_2086:
	v_lshrrev_b32_e32 v3, 24, v4
	s_delay_alu instid0(VALU_DEP_1)
	v_and_or_b32 v3, 0x80, v3, v2
.LBB38_2087:
	s_or_b32 exec_lo, exec_lo, s3
.LBB38_2088:
	s_delay_alu instid0(SALU_CYCLE_1)
	s_or_b32 exec_lo, exec_lo, s1
	s_mov_b32 s1, 0
	global_store_b8 v[0:1], v3, off
.LBB38_2089:
	s_and_b32 vcc_lo, exec_lo, s1
	s_cbranch_vccz .LBB38_2099
; %bb.2090:
	v_and_b32_e32 v3, 0x7fffffff, v4
	s_mov_b32 s1, exec_lo
                                        ; implicit-def: $vgpr2
	s_delay_alu instid0(VALU_DEP_1)
	v_cmpx_gt_u32_e32 0x43f00000, v3
	s_xor_b32 s1, exec_lo, s1
	s_cbranch_execz .LBB38_2096
; %bb.2091:
	s_mov_b32 s2, exec_lo
                                        ; implicit-def: $vgpr2
	v_cmpx_lt_u32_e32 0x3c7fffff, v3
	s_xor_b32 s2, exec_lo, s2
; %bb.2092:
	v_bfe_u32 v2, v4, 20, 1
	s_delay_alu instid0(VALU_DEP_1) | instskip(NEXT) | instid1(VALU_DEP_1)
	v_add3_u32 v2, v4, v2, 0x407ffff
	v_and_b32_e32 v3, 0xff00000, v2
	v_lshrrev_b32_e32 v2, 20, v2
	s_delay_alu instid0(VALU_DEP_2) | instskip(NEXT) | instid1(VALU_DEP_2)
	v_cmp_ne_u32_e32 vcc_lo, 0x7f00000, v3
	v_cndmask_b32_e32 v2, 0x7e, v2, vcc_lo
; %bb.2093:
	s_and_not1_saveexec_b32 s2, s2
; %bb.2094:
	v_add_f32_e64 v2, 0x46800000, |v4|
; %bb.2095:
	s_or_b32 exec_lo, exec_lo, s2
                                        ; implicit-def: $vgpr3
.LBB38_2096:
	s_and_not1_saveexec_b32 s1, s1
; %bb.2097:
	v_mov_b32_e32 v2, 0x7f
	v_cmp_lt_u32_e32 vcc_lo, 0x7f800000, v3
	s_delay_alu instid0(VALU_DEP_2)
	v_cndmask_b32_e32 v2, 0x7e, v2, vcc_lo
; %bb.2098:
	s_or_b32 exec_lo, exec_lo, s1
	v_lshrrev_b32_e32 v3, 24, v4
	s_delay_alu instid0(VALU_DEP_1)
	v_and_or_b32 v2, 0x80, v3, v2
	global_store_b8 v[0:1], v2, off
.LBB38_2099:
	s_mov_b32 s1, 0
.LBB38_2100:
	s_delay_alu instid0(SALU_CYCLE_1)
	s_and_not1_b32 vcc_lo, exec_lo, s1
	s_cbranch_vccnz .LBB38_2110
; %bb.2101:
	v_and_b32_e32 v3, 0x7fffffff, v4
	s_mov_b32 s1, exec_lo
                                        ; implicit-def: $vgpr2
	s_delay_alu instid0(VALU_DEP_1)
	v_cmpx_gt_u32_e32 0x47800000, v3
	s_xor_b32 s1, exec_lo, s1
	s_cbranch_execz .LBB38_2107
; %bb.2102:
	s_mov_b32 s2, exec_lo
                                        ; implicit-def: $vgpr2
	v_cmpx_lt_u32_e32 0x387fffff, v3
	s_xor_b32 s2, exec_lo, s2
; %bb.2103:
	v_bfe_u32 v2, v4, 21, 1
	s_delay_alu instid0(VALU_DEP_1) | instskip(NEXT) | instid1(VALU_DEP_1)
	v_add3_u32 v2, v4, v2, 0x80fffff
	v_lshrrev_b32_e32 v2, 21, v2
; %bb.2104:
	s_and_not1_saveexec_b32 s2, s2
; %bb.2105:
	v_add_f32_e64 v2, 0x43000000, |v4|
; %bb.2106:
	s_or_b32 exec_lo, exec_lo, s2
                                        ; implicit-def: $vgpr3
.LBB38_2107:
	s_and_not1_saveexec_b32 s1, s1
; %bb.2108:
	v_mov_b32_e32 v2, 0x7f
	v_cmp_lt_u32_e32 vcc_lo, 0x7f800000, v3
	s_delay_alu instid0(VALU_DEP_2)
	v_cndmask_b32_e32 v2, 0x7c, v2, vcc_lo
; %bb.2109:
	s_or_b32 exec_lo, exec_lo, s1
	v_lshrrev_b32_e32 v3, 24, v4
	s_delay_alu instid0(VALU_DEP_1)
	v_and_or_b32 v2, 0x80, v3, v2
	global_store_b8 v[0:1], v2, off
.LBB38_2110:
	s_mov_b32 s1, 0
.LBB38_2111:
	s_delay_alu instid0(SALU_CYCLE_1)
	s_and_not1_b32 vcc_lo, exec_lo, s1
	s_mov_b32 s1, 0
	s_cbranch_vccnz .LBB38_2118
; %bb.2112:
	v_cmp_lt_i16_e32 vcc_lo, 14, v8
	s_mov_b32 s1, -1
	s_cbranch_vccz .LBB38_2116
; %bb.2113:
	v_cmp_eq_u16_e32 vcc_lo, 15, v8
	s_mov_b32 s0, -1
	s_cbranch_vccz .LBB38_2115
; %bb.2114:
	v_bfe_u32 v2, v4, 16, 1
	v_cmp_o_f32_e32 vcc_lo, v4, v4
	s_mov_b32 s0, 0
	s_delay_alu instid0(VALU_DEP_2) | instskip(NEXT) | instid1(VALU_DEP_1)
	v_add3_u32 v2, v4, v2, 0x7fff
	v_lshrrev_b32_e32 v2, 16, v2
	s_delay_alu instid0(VALU_DEP_1)
	v_cndmask_b32_e32 v2, 0x7fc0, v2, vcc_lo
	global_store_b16 v[0:1], v2, off
.LBB38_2115:
	s_mov_b32 s1, 0
.LBB38_2116:
	s_delay_alu instid0(SALU_CYCLE_1)
	s_and_b32 vcc_lo, exec_lo, s1
	s_mov_b32 s1, 0
	s_cbranch_vccz .LBB38_2118
; %bb.2117:
	v_cmp_ne_u16_e64 s0, 11, v8
	s_mov_b32 s1, -1
.LBB38_2118:
	s_delay_alu instid0(VALU_DEP_1)
	s_and_b32 vcc_lo, exec_lo, s0
	s_cbranch_vccnz .LBB38_2152
.LBB38_2119:
	s_mov_b32 s0, 0
	s_branch .LBB38_1640
.LBB38_2120:
	s_mov_b32 s0, 0
	s_mov_b32 s1, 0
                                        ; implicit-def: $vgpr8
                                        ; implicit-def: $vgpr0_vgpr1
	s_branch .LBB38_1640
.LBB38_2121:
	s_mov_b32 s1, 0
	s_mov_b32 s0, -1
	s_branch .LBB38_1640
.LBB38_2122:
	s_cbranch_execnz .LBB38_2126
; %bb.2123:
	s_or_b32 s14, s14, exec_lo
                                        ; implicit-def: $vgpr8
	s_cbranch_execz .LBB38_1580
	s_branch .LBB38_1581
.LBB38_2124:
	s_or_saveexec_b32 s7, s7
                                        ; implicit-def: $sgpr8
	s_delay_alu instid0(SALU_CYCLE_1)
	s_xor_b32 exec_lo, exec_lo, s7
	s_cbranch_execz .LBB38_1715
.LBB38_2125:
	v_add_f32_e64 v1, 0x46000000, |v0|
	s_and_not1_b32 s6, s6, exec_lo
	s_mov_b32 s8, 0
	s_delay_alu instid0(VALU_DEP_1) | instskip(NEXT) | instid1(VALU_DEP_1)
	v_and_b32_e32 v1, 0xff, v1
	v_cmp_ne_u32_e32 vcc_lo, 0, v1
	s_and_b32 s9, vcc_lo, exec_lo
	s_delay_alu instid0(SALU_CYCLE_1)
	s_or_b32 s6, s6, s9
	s_or_b32 exec_lo, exec_lo, s7
	v_mov_b32_e32 v9, s8
	s_and_saveexec_b32 s7, s6
	s_cbranch_execnz .LBB38_1716
	s_branch .LBB38_1717
.LBB38_2126:
	s_trap 2
	s_sendmsg_rtn_b32 s0, sendmsg(MSG_RTN_GET_DOORBELL)
	s_mov_b32 ttmp2, m0
	s_waitcnt lgkmcnt(0)
	s_and_b32 s0, s0, 0x3ff
	s_delay_alu instid0(SALU_CYCLE_1) | instskip(NEXT) | instid1(SALU_CYCLE_1)
	s_bitset1_b32 s0, 10
	s_mov_b32 m0, s0
	s_sendmsg sendmsg(MSG_INTERRUPT)
	s_mov_b32 m0, ttmp2
.LBB38_2127:                            ; =>This Inner Loop Header: Depth=1
	s_sethalt 5
	s_branch .LBB38_2127
.LBB38_2128:
	s_cbranch_execnz .LBB38_2134
; %bb.2129:
	s_or_b32 s14, s14, exec_lo
	s_cbranch_execz .LBB38_1763
	s_branch .LBB38_1764
.LBB38_2130:
	s_or_saveexec_b32 s6, s6
                                        ; implicit-def: $sgpr7
	s_delay_alu instid0(SALU_CYCLE_1)
	s_xor_b32 exec_lo, exec_lo, s6
	s_cbranch_execz .LBB38_1728
.LBB38_2131:
	v_add_f32_e64 v1, 0x42800000, |v0|
	s_and_not1_b32 s3, s3, exec_lo
	s_mov_b32 s7, 0
	s_delay_alu instid0(VALU_DEP_1) | instskip(NEXT) | instid1(VALU_DEP_1)
	v_and_b32_e32 v1, 0xff, v1
	v_cmp_ne_u32_e32 vcc_lo, 0, v1
	s_and_b32 s8, vcc_lo, exec_lo
	s_delay_alu instid0(SALU_CYCLE_1)
	s_or_b32 s3, s3, s8
	s_or_b32 exec_lo, exec_lo, s6
	v_mov_b32_e32 v9, s7
	s_and_saveexec_b32 s6, s3
	s_cbranch_execnz .LBB38_1729
	s_branch .LBB38_1730
.LBB38_2132:
	s_or_saveexec_b32 s7, s7
                                        ; implicit-def: $sgpr8
	s_delay_alu instid0(SALU_CYCLE_1)
	s_xor_b32 exec_lo, exec_lo, s7
	s_cbranch_execz .LBB38_1834
.LBB38_2133:
	v_add_f32_e64 v3, 0x46000000, |v2|
	s_and_not1_b32 s6, s6, exec_lo
	s_mov_b32 s8, 0
	s_delay_alu instid0(VALU_DEP_1) | instskip(NEXT) | instid1(VALU_DEP_1)
	v_and_b32_e32 v3, 0xff, v3
	v_cmp_ne_u32_e32 vcc_lo, 0, v3
	s_and_b32 s9, vcc_lo, exec_lo
	s_delay_alu instid0(SALU_CYCLE_1)
	s_or_b32 s6, s6, s9
	s_or_b32 exec_lo, exec_lo, s7
	v_mov_b32_e32 v7, s8
	s_and_saveexec_b32 s7, s6
	s_cbranch_execnz .LBB38_1835
	s_branch .LBB38_1836
.LBB38_2134:
	s_trap 2
	s_sendmsg_rtn_b32 s0, sendmsg(MSG_RTN_GET_DOORBELL)
	s_mov_b32 ttmp2, m0
	s_waitcnt lgkmcnt(0)
	s_and_b32 s0, s0, 0x3ff
	s_delay_alu instid0(SALU_CYCLE_1) | instskip(NEXT) | instid1(SALU_CYCLE_1)
	s_bitset1_b32 s0, 10
	s_mov_b32 m0, s0
	s_sendmsg sendmsg(MSG_INTERRUPT)
	s_mov_b32 m0, ttmp2
.LBB38_2135:                            ; =>This Inner Loop Header: Depth=1
	s_sethalt 5
	s_branch .LBB38_2135
.LBB38_2136:
	s_cbranch_execnz .LBB38_2142
; %bb.2137:
	s_or_b32 s14, s14, exec_lo
	s_cbranch_execz .LBB38_1882
	s_branch .LBB38_1883
.LBB38_2138:
	s_or_saveexec_b32 s6, s6
                                        ; implicit-def: $sgpr7
	s_delay_alu instid0(SALU_CYCLE_1)
	s_xor_b32 exec_lo, exec_lo, s6
	s_cbranch_execz .LBB38_1847
.LBB38_2139:
	v_add_f32_e64 v3, 0x42800000, |v2|
	s_and_not1_b32 s3, s3, exec_lo
	s_mov_b32 s7, 0
	s_delay_alu instid0(VALU_DEP_1) | instskip(NEXT) | instid1(VALU_DEP_1)
	v_and_b32_e32 v3, 0xff, v3
	v_cmp_ne_u32_e32 vcc_lo, 0, v3
	s_and_b32 s8, vcc_lo, exec_lo
	s_delay_alu instid0(SALU_CYCLE_1)
	s_or_b32 s3, s3, s8
	s_or_b32 exec_lo, exec_lo, s6
	v_mov_b32_e32 v7, s7
	s_and_saveexec_b32 s6, s3
	s_cbranch_execnz .LBB38_1848
	s_branch .LBB38_1849
.LBB38_2140:
	s_or_saveexec_b32 s7, s7
                                        ; implicit-def: $sgpr8
	s_delay_alu instid0(SALU_CYCLE_1)
	s_xor_b32 exec_lo, exec_lo, s7
	s_cbranch_execz .LBB38_1953
.LBB38_2141:
	v_add_f32_e64 v3, 0x46000000, |v5|
	s_and_not1_b32 s6, s6, exec_lo
	s_mov_b32 s8, 0
	s_delay_alu instid0(VALU_DEP_1) | instskip(NEXT) | instid1(VALU_DEP_1)
	v_and_b32_e32 v3, 0xff, v3
	v_cmp_ne_u32_e32 vcc_lo, 0, v3
	s_and_b32 s9, vcc_lo, exec_lo
	s_delay_alu instid0(SALU_CYCLE_1)
	s_or_b32 s6, s6, s9
	s_or_b32 exec_lo, exec_lo, s7
	v_mov_b32_e32 v6, s8
	s_and_saveexec_b32 s7, s6
	s_cbranch_execnz .LBB38_1954
	s_branch .LBB38_1955
.LBB38_2142:
	s_trap 2
	s_sendmsg_rtn_b32 s0, sendmsg(MSG_RTN_GET_DOORBELL)
	s_mov_b32 ttmp2, m0
	s_waitcnt lgkmcnt(0)
	s_and_b32 s0, s0, 0x3ff
	s_delay_alu instid0(SALU_CYCLE_1) | instskip(NEXT) | instid1(SALU_CYCLE_1)
	s_bitset1_b32 s0, 10
	s_mov_b32 m0, s0
	s_sendmsg sendmsg(MSG_INTERRUPT)
	s_mov_b32 m0, ttmp2
.LBB38_2143:                            ; =>This Inner Loop Header: Depth=1
	s_sethalt 5
	s_branch .LBB38_2143
.LBB38_2144:
	s_cbranch_execnz .LBB38_2150
; %bb.2145:
	s_or_b32 s14, s14, exec_lo
	s_cbranch_execz .LBB38_2001
	s_branch .LBB38_2002
.LBB38_2146:
	s_or_saveexec_b32 s6, s6
                                        ; implicit-def: $sgpr7
	s_delay_alu instid0(SALU_CYCLE_1)
	s_xor_b32 exec_lo, exec_lo, s6
	s_cbranch_execz .LBB38_1966
.LBB38_2147:
	v_add_f32_e64 v3, 0x42800000, |v5|
	s_and_not1_b32 s3, s3, exec_lo
	s_mov_b32 s7, 0
	s_delay_alu instid0(VALU_DEP_1) | instskip(NEXT) | instid1(VALU_DEP_1)
	v_and_b32_e32 v3, 0xff, v3
	v_cmp_ne_u32_e32 vcc_lo, 0, v3
	s_and_b32 s8, vcc_lo, exec_lo
	s_delay_alu instid0(SALU_CYCLE_1)
	s_or_b32 s3, s3, s8
	s_or_b32 exec_lo, exec_lo, s6
	v_mov_b32_e32 v6, s7
	s_and_saveexec_b32 s6, s3
	s_cbranch_execnz .LBB38_1967
	s_branch .LBB38_1968
.LBB38_2148:
	s_or_saveexec_b32 s4, s4
                                        ; implicit-def: $sgpr5
	s_delay_alu instid0(SALU_CYCLE_1)
	s_xor_b32 exec_lo, exec_lo, s4
	s_cbranch_execz .LBB38_2073
.LBB38_2149:
	v_add_f32_e64 v2, 0x46000000, |v4|
	s_and_not1_b32 s3, s3, exec_lo
	s_mov_b32 s5, 0
	s_delay_alu instid0(VALU_DEP_1) | instskip(NEXT) | instid1(VALU_DEP_1)
	v_and_b32_e32 v2, 0xff, v2
	v_cmp_ne_u32_e32 vcc_lo, 0, v2
	s_and_b32 s6, vcc_lo, exec_lo
	s_delay_alu instid0(SALU_CYCLE_1)
	s_or_b32 s3, s3, s6
	s_or_b32 exec_lo, exec_lo, s4
	v_mov_b32_e32 v3, s5
	s_and_saveexec_b32 s4, s3
	s_cbranch_execnz .LBB38_2074
	s_branch .LBB38_2075
.LBB38_2150:
	s_trap 2
	s_sendmsg_rtn_b32 s0, sendmsg(MSG_RTN_GET_DOORBELL)
	s_mov_b32 ttmp2, m0
	s_waitcnt lgkmcnt(0)
	s_and_b32 s0, s0, 0x3ff
	s_delay_alu instid0(SALU_CYCLE_1) | instskip(NEXT) | instid1(SALU_CYCLE_1)
	s_bitset1_b32 s0, 10
	s_mov_b32 m0, s0
	s_sendmsg sendmsg(MSG_INTERRUPT)
	s_mov_b32 m0, ttmp2
.LBB38_2151:                            ; =>This Inner Loop Header: Depth=1
	s_sethalt 5
	s_branch .LBB38_2151
.LBB38_2152:
	s_cbranch_execnz .LBB38_2156
; %bb.2153:
	s_mov_b32 s1, 0
	s_or_b32 s14, s14, exec_lo
	s_branch .LBB38_2119
.LBB38_2154:
	s_or_saveexec_b32 s3, s3
                                        ; implicit-def: $sgpr4
	s_delay_alu instid0(SALU_CYCLE_1)
	s_xor_b32 exec_lo, exec_lo, s3
	s_cbranch_execz .LBB38_2085
.LBB38_2155:
	v_add_f32_e64 v2, 0x42800000, |v4|
	s_and_not1_b32 s2, s2, exec_lo
	s_mov_b32 s4, 0
	s_delay_alu instid0(VALU_DEP_1) | instskip(NEXT) | instid1(VALU_DEP_1)
	v_and_b32_e32 v2, 0xff, v2
	v_cmp_ne_u32_e32 vcc_lo, 0, v2
	s_and_b32 s5, vcc_lo, exec_lo
	s_delay_alu instid0(SALU_CYCLE_1)
	s_or_b32 s2, s2, s5
	s_or_b32 exec_lo, exec_lo, s3
	v_mov_b32_e32 v3, s4
	s_and_saveexec_b32 s3, s2
	s_cbranch_execnz .LBB38_2086
	s_branch .LBB38_2087
.LBB38_2156:
	s_trap 2
	s_sendmsg_rtn_b32 s0, sendmsg(MSG_RTN_GET_DOORBELL)
	s_mov_b32 ttmp2, m0
	s_waitcnt lgkmcnt(0)
	s_and_b32 s0, s0, 0x3ff
	s_delay_alu instid0(SALU_CYCLE_1) | instskip(NEXT) | instid1(SALU_CYCLE_1)
	s_bitset1_b32 s0, 10
	s_mov_b32 m0, s0
	s_sendmsg sendmsg(MSG_INTERRUPT)
	s_mov_b32 m0, ttmp2
.LBB38_2157:                            ; =>This Inner Loop Header: Depth=1
	s_sethalt 5
	s_branch .LBB38_2157
	.section	.rodata,"a",@progbits
	.p2align	6, 0x0
	.amdhsa_kernel _ZN2at6native32elementwise_kernel_manual_unrollILi128ELi4EZNS0_15gpu_kernel_implINS0_13BUnaryFunctorIfffZZZNS0_12_GLOBAL__N_132hermite_polynomial_h_kernel_cudaERNS_18TensorIteratorBaseEENKUlvE_clEvENKUlvE0_clEvEUlffE_EEEEvS6_RKT_EUlibE_EEviT1_
		.amdhsa_group_segment_fixed_size 0
		.amdhsa_private_segment_fixed_size 0
		.amdhsa_kernarg_size 48
		.amdhsa_user_sgpr_count 15
		.amdhsa_user_sgpr_dispatch_ptr 0
		.amdhsa_user_sgpr_queue_ptr 0
		.amdhsa_user_sgpr_kernarg_segment_ptr 1
		.amdhsa_user_sgpr_dispatch_id 0
		.amdhsa_user_sgpr_private_segment_size 0
		.amdhsa_wavefront_size32 1
		.amdhsa_uses_dynamic_stack 0
		.amdhsa_enable_private_segment 0
		.amdhsa_system_sgpr_workgroup_id_x 1
		.amdhsa_system_sgpr_workgroup_id_y 0
		.amdhsa_system_sgpr_workgroup_id_z 0
		.amdhsa_system_sgpr_workgroup_info 0
		.amdhsa_system_vgpr_workitem_id 0
		.amdhsa_next_free_vgpr 13
		.amdhsa_next_free_sgpr 32
		.amdhsa_reserve_vcc 1
		.amdhsa_float_round_mode_32 0
		.amdhsa_float_round_mode_16_64 0
		.amdhsa_float_denorm_mode_32 3
		.amdhsa_float_denorm_mode_16_64 3
		.amdhsa_dx10_clamp 1
		.amdhsa_ieee_mode 1
		.amdhsa_fp16_overflow 0
		.amdhsa_workgroup_processor_mode 1
		.amdhsa_memory_ordered 1
		.amdhsa_forward_progress 0
		.amdhsa_shared_vgpr_count 0
		.amdhsa_exception_fp_ieee_invalid_op 0
		.amdhsa_exception_fp_denorm_src 0
		.amdhsa_exception_fp_ieee_div_zero 0
		.amdhsa_exception_fp_ieee_overflow 0
		.amdhsa_exception_fp_ieee_underflow 0
		.amdhsa_exception_fp_ieee_inexact 0
		.amdhsa_exception_int_div_zero 0
	.end_amdhsa_kernel
	.section	.text._ZN2at6native32elementwise_kernel_manual_unrollILi128ELi4EZNS0_15gpu_kernel_implINS0_13BUnaryFunctorIfffZZZNS0_12_GLOBAL__N_132hermite_polynomial_h_kernel_cudaERNS_18TensorIteratorBaseEENKUlvE_clEvENKUlvE0_clEvEUlffE_EEEEvS6_RKT_EUlibE_EEviT1_,"axG",@progbits,_ZN2at6native32elementwise_kernel_manual_unrollILi128ELi4EZNS0_15gpu_kernel_implINS0_13BUnaryFunctorIfffZZZNS0_12_GLOBAL__N_132hermite_polynomial_h_kernel_cudaERNS_18TensorIteratorBaseEENKUlvE_clEvENKUlvE0_clEvEUlffE_EEEEvS6_RKT_EUlibE_EEviT1_,comdat
.Lfunc_end38:
	.size	_ZN2at6native32elementwise_kernel_manual_unrollILi128ELi4EZNS0_15gpu_kernel_implINS0_13BUnaryFunctorIfffZZZNS0_12_GLOBAL__N_132hermite_polynomial_h_kernel_cudaERNS_18TensorIteratorBaseEENKUlvE_clEvENKUlvE0_clEvEUlffE_EEEEvS6_RKT_EUlibE_EEviT1_, .Lfunc_end38-_ZN2at6native32elementwise_kernel_manual_unrollILi128ELi4EZNS0_15gpu_kernel_implINS0_13BUnaryFunctorIfffZZZNS0_12_GLOBAL__N_132hermite_polynomial_h_kernel_cudaERNS_18TensorIteratorBaseEENKUlvE_clEvENKUlvE0_clEvEUlffE_EEEEvS6_RKT_EUlibE_EEviT1_
                                        ; -- End function
	.section	.AMDGPU.csdata,"",@progbits
; Kernel info:
; codeLenInByte = 37520
; NumSgprs: 34
; NumVgprs: 13
; ScratchSize: 0
; MemoryBound: 1
; FloatMode: 240
; IeeeMode: 1
; LDSByteSize: 0 bytes/workgroup (compile time only)
; SGPRBlocks: 4
; VGPRBlocks: 1
; NumSGPRsForWavesPerEU: 34
; NumVGPRsForWavesPerEU: 13
; Occupancy: 16
; WaveLimiterHint : 0
; COMPUTE_PGM_RSRC2:SCRATCH_EN: 0
; COMPUTE_PGM_RSRC2:USER_SGPR: 15
; COMPUTE_PGM_RSRC2:TRAP_HANDLER: 0
; COMPUTE_PGM_RSRC2:TGID_X_EN: 1
; COMPUTE_PGM_RSRC2:TGID_Y_EN: 0
; COMPUTE_PGM_RSRC2:TGID_Z_EN: 0
; COMPUTE_PGM_RSRC2:TIDIG_COMP_CNT: 0
	.section	.text._ZN2at6native32elementwise_kernel_manual_unrollILi128ELi4EZNS0_15gpu_kernel_implINS0_13BUnaryFunctorIfffZZZNS0_12_GLOBAL__N_132hermite_polynomial_h_kernel_cudaERNS_18TensorIteratorBaseEENKUlvE_clEvENKUlvE0_clEvEUlffE_EEEEvS6_RKT_EUlibE0_EEviT1_,"axG",@progbits,_ZN2at6native32elementwise_kernel_manual_unrollILi128ELi4EZNS0_15gpu_kernel_implINS0_13BUnaryFunctorIfffZZZNS0_12_GLOBAL__N_132hermite_polynomial_h_kernel_cudaERNS_18TensorIteratorBaseEENKUlvE_clEvENKUlvE0_clEvEUlffE_EEEEvS6_RKT_EUlibE0_EEviT1_,comdat
	.globl	_ZN2at6native32elementwise_kernel_manual_unrollILi128ELi4EZNS0_15gpu_kernel_implINS0_13BUnaryFunctorIfffZZZNS0_12_GLOBAL__N_132hermite_polynomial_h_kernel_cudaERNS_18TensorIteratorBaseEENKUlvE_clEvENKUlvE0_clEvEUlffE_EEEEvS6_RKT_EUlibE0_EEviT1_ ; -- Begin function _ZN2at6native32elementwise_kernel_manual_unrollILi128ELi4EZNS0_15gpu_kernel_implINS0_13BUnaryFunctorIfffZZZNS0_12_GLOBAL__N_132hermite_polynomial_h_kernel_cudaERNS_18TensorIteratorBaseEENKUlvE_clEvENKUlvE0_clEvEUlffE_EEEEvS6_RKT_EUlibE0_EEviT1_
	.p2align	8
	.type	_ZN2at6native32elementwise_kernel_manual_unrollILi128ELi4EZNS0_15gpu_kernel_implINS0_13BUnaryFunctorIfffZZZNS0_12_GLOBAL__N_132hermite_polynomial_h_kernel_cudaERNS_18TensorIteratorBaseEENKUlvE_clEvENKUlvE0_clEvEUlffE_EEEEvS6_RKT_EUlibE0_EEviT1_,@function
_ZN2at6native32elementwise_kernel_manual_unrollILi128ELi4EZNS0_15gpu_kernel_implINS0_13BUnaryFunctorIfffZZZNS0_12_GLOBAL__N_132hermite_polynomial_h_kernel_cudaERNS_18TensorIteratorBaseEENKUlvE_clEvENKUlvE0_clEvEUlffE_EEEEvS6_RKT_EUlibE0_EEviT1_: ; @_ZN2at6native32elementwise_kernel_manual_unrollILi128ELi4EZNS0_15gpu_kernel_implINS0_13BUnaryFunctorIfffZZZNS0_12_GLOBAL__N_132hermite_polynomial_h_kernel_cudaERNS_18TensorIteratorBaseEENKUlvE_clEvENKUlvE0_clEvEUlffE_EEEEvS6_RKT_EUlibE0_EEviT1_
; %bb.0:
	s_clause 0x1
	s_load_b32 s30, s[0:1], 0x8
	s_load_b32 s39, s[0:1], 0x0
	v_lshl_or_b32 v7, s15, 9, v0
	s_or_b32 s16, s0, 8
	s_mov_b32 s26, -1
	s_mov_b32 s33, 0
	s_mov_b32 s17, s1
	v_or_b32_e32 v9, 0x180, v7
	s_mov_b32 s10, 0
	s_mov_b32 s2, exec_lo
	s_waitcnt lgkmcnt(0)
	s_add_i32 s31, s30, -1
	s_delay_alu instid0(SALU_CYCLE_1)
	s_cmp_gt_u32 s31, 1
	s_cselect_b32 s34, -1, 0
	v_cmpx_le_i32_e64 s39, v9
	s_xor_b32 s35, exec_lo, s2
	s_cbranch_execz .LBB39_1116
; %bb.1:
	s_load_b64 s[2:3], s[16:17], 0x15c
	s_cmp_lg_u32 s30, 0
	s_clause 0x1
	s_load_b128 s[8:11], s[16:17], 0x4
	s_load_b64 s[22:23], s[16:17], 0x14
	s_cselect_b32 s41, -1, 0
	s_add_u32 s24, s16, 0xc4
	s_addc_u32 s25, s17, 0
	s_min_u32 s40, s31, 15
	s_clause 0x1
	s_load_b128 s[12:15], s[16:17], 0xc4
	s_load_b128 s[4:7], s[16:17], 0x148
	s_cmp_gt_u32 s30, 1
	s_mov_b32 s45, 0
	s_cselect_b32 s38, -1, 0
	s_mov_b32 s43, 0
	s_mov_b32 s42, 0
	s_mov_b32 s44, exec_lo
	s_waitcnt lgkmcnt(0)
	v_trunc_f32_e32 v0, s2
	v_cmp_class_f32_e64 s2, s2, 0x1f8
	v_lshrrev_b16 v5, 8, s3
	s_delay_alu instid0(VALU_DEP_3) | instskip(SKIP_1) | instid1(VALU_DEP_2)
	v_mul_f32_e64 v1, 0x2f800000, |v0|
	v_readfirstlane_b32 s20, v0
	v_floor_f32_e32 v1, v1
	s_delay_alu instid0(VALU_DEP_2) | instskip(NEXT) | instid1(SALU_CYCLE_1)
	s_ashr_i32 s20, s20, 31
	s_mov_b32 s21, s20
	s_delay_alu instid0(VALU_DEP_1) | instskip(SKIP_1) | instid1(VALU_DEP_2)
	v_fma_f32 v2, 0xcf800000, v1, |v0|
	v_cvt_u32_f32_e32 v0, v1
	v_cvt_u32_f32_e32 v1, v2
	s_delay_alu instid0(VALU_DEP_2) | instskip(NEXT) | instid1(VALU_DEP_2)
	v_readfirstlane_b32 s19, v0
	v_readfirstlane_b32 s18, v1
	s_delay_alu instid0(VALU_DEP_1) | instskip(NEXT) | instid1(SALU_CYCLE_1)
	s_xor_b64 s[18:19], s[18:19], s[20:21]
	s_sub_u32 s18, s18, s20
	s_subb_u32 s19, s19, s20
	s_and_b32 s2, s2, exec_lo
	s_cselect_b32 s21, s19, -1
	s_cselect_b32 s20, s18, -1
	s_delay_alu instid0(SALU_CYCLE_1)
	v_cmp_gt_i64_e64 s37, s[20:21], -1
	v_cmp_gt_u64_e64 s36, 0x81, s[20:21]
	s_lshl_b64 s[18:19], s[20:21], 1
	v_cmpx_gt_i32_e64 s39, v7
	s_cbranch_execz .LBB39_273
; %bb.2:
	s_and_not1_b32 vcc_lo, exec_lo, s34
	s_cbranch_vccnz .LBB39_7
; %bb.3:
	v_dual_mov_b32 v0, 0 :: v_dual_mov_b32 v1, 0
	s_and_not1_b32 vcc_lo, exec_lo, s41
	s_mov_b32 s2, 0
	s_cbranch_vccnz .LBB39_12
; %bb.4:
	v_mov_b32_e32 v0, 0
	s_add_i32 s43, s40, 1
	s_cmp_eq_u32 s31, 2
	s_cbranch_scc1 .LBB39_8
; %bb.5:
	v_dual_mov_b32 v1, 0 :: v_dual_mov_b32 v0, 0
	v_mov_b32_e32 v2, v7
	s_and_b32 s42, s43, 28
	s_mov_b32 s46, 0
	s_mov_b64 s[26:27], s[24:25]
	s_mov_b64 s[28:29], s[16:17]
.LBB39_6:                               ; =>This Inner Loop Header: Depth=1
	s_clause 0x1
	s_load_b256 s[48:55], s[28:29], 0x4
	s_load_b128 s[64:67], s[28:29], 0x24
	s_load_b256 s[56:63], s[26:27], 0x0
	s_add_u32 s28, s28, 48
	s_addc_u32 s29, s29, 0
	s_add_i32 s46, s46, 4
	s_add_u32 s26, s26, 32
	s_addc_u32 s27, s27, 0
	s_cmp_lg_u32 s42, s46
	s_waitcnt lgkmcnt(0)
	v_mul_hi_u32 v3, s49, v2
	s_delay_alu instid0(VALU_DEP_1) | instskip(NEXT) | instid1(VALU_DEP_1)
	v_add_nc_u32_e32 v3, v2, v3
	v_lshrrev_b32_e32 v3, s50, v3
	s_delay_alu instid0(VALU_DEP_1) | instskip(SKIP_1) | instid1(VALU_DEP_2)
	v_mul_hi_u32 v4, s52, v3
	v_mul_lo_u32 v8, v3, s48
	v_add_nc_u32_e32 v4, v3, v4
	s_delay_alu instid0(VALU_DEP_2) | instskip(NEXT) | instid1(VALU_DEP_2)
	v_sub_nc_u32_e32 v2, v2, v8
	v_lshrrev_b32_e32 v4, s53, v4
	s_delay_alu instid0(VALU_DEP_2) | instskip(SKIP_1) | instid1(VALU_DEP_3)
	v_mul_lo_u32 v8, v2, s56
	v_mul_lo_u32 v10, v2, s57
	v_mul_hi_u32 v6, s55, v4
	s_delay_alu instid0(VALU_DEP_1) | instskip(NEXT) | instid1(VALU_DEP_1)
	v_add_nc_u32_e32 v6, v4, v6
	v_lshrrev_b32_e32 v6, s64, v6
	s_delay_alu instid0(VALU_DEP_1) | instskip(SKIP_1) | instid1(VALU_DEP_2)
	v_mul_hi_u32 v9, s66, v6
	v_mul_lo_u32 v11, v6, s54
	v_add_nc_u32_e32 v2, v6, v9
	v_mul_lo_u32 v9, v4, s51
	s_delay_alu instid0(VALU_DEP_3) | instskip(NEXT) | instid1(VALU_DEP_3)
	v_sub_nc_u32_e32 v4, v4, v11
	v_lshrrev_b32_e32 v2, s67, v2
	s_delay_alu instid0(VALU_DEP_2) | instskip(SKIP_2) | instid1(VALU_DEP_4)
	v_mul_lo_u32 v11, v4, s60
	v_mul_lo_u32 v4, v4, s61
	v_sub_nc_u32_e32 v3, v3, v9
	v_mul_lo_u32 v12, v2, s65
	s_delay_alu instid0(VALU_DEP_2) | instskip(SKIP_1) | instid1(VALU_DEP_3)
	v_mul_lo_u32 v9, v3, s58
	v_mul_lo_u32 v3, v3, s59
	v_sub_nc_u32_e32 v6, v6, v12
	s_delay_alu instid0(VALU_DEP_3) | instskip(NEXT) | instid1(VALU_DEP_2)
	v_add3_u32 v0, v8, v0, v9
	v_mul_lo_u32 v12, v6, s62
	v_mul_lo_u32 v6, v6, s63
	v_add3_u32 v1, v10, v1, v3
	s_delay_alu instid0(VALU_DEP_3) | instskip(NEXT) | instid1(VALU_DEP_2)
	v_add3_u32 v0, v11, v0, v12
	v_add3_u32 v1, v4, v1, v6
	s_cbranch_scc1 .LBB39_6
	s_branch .LBB39_9
.LBB39_7:
	s_mov_b32 s2, -1
                                        ; implicit-def: $vgpr0
                                        ; implicit-def: $vgpr1
	s_branch .LBB39_12
.LBB39_8:
	v_dual_mov_b32 v2, v7 :: v_dual_mov_b32 v1, 0
.LBB39_9:
	s_and_b32 s43, s43, 3
	s_delay_alu instid0(SALU_CYCLE_1)
	s_cmp_eq_u32 s43, 0
	s_cbranch_scc1 .LBB39_12
; %bb.10:
	s_lshl_b32 s26, s42, 3
	s_mul_i32 s28, s42, 12
	s_add_u32 s26, s26, s16
	s_addc_u32 s27, s17, 0
	s_add_u32 s26, s26, 0xc4
	s_addc_u32 s27, s27, 0
	s_add_u32 s28, s16, s28
	s_addc_u32 s29, s17, 0
	.p2align	6
.LBB39_11:                              ; =>This Inner Loop Header: Depth=1
	s_clause 0x1
	s_load_b64 s[46:47], s[28:29], 0x4
	s_load_b32 s42, s[28:29], 0xc
	s_load_b64 s[48:49], s[26:27], 0x0
	s_add_u32 s28, s28, 12
	s_addc_u32 s29, s29, 0
	s_add_u32 s26, s26, 8
	s_addc_u32 s27, s27, 0
	s_add_i32 s43, s43, -1
	s_delay_alu instid0(SALU_CYCLE_1) | instskip(SKIP_2) | instid1(VALU_DEP_1)
	s_cmp_lg_u32 s43, 0
	s_waitcnt lgkmcnt(0)
	v_mul_hi_u32 v3, s47, v2
	v_add_nc_u32_e32 v3, v2, v3
	s_delay_alu instid0(VALU_DEP_1) | instskip(NEXT) | instid1(VALU_DEP_1)
	v_lshrrev_b32_e32 v6, s42, v3
	v_mul_lo_u32 v3, v6, s46
	s_delay_alu instid0(VALU_DEP_1) | instskip(NEXT) | instid1(VALU_DEP_1)
	v_sub_nc_u32_e32 v2, v2, v3
	v_mad_u64_u32 v[3:4], null, v2, s48, v[0:1]
	v_mad_u64_u32 v[8:9], null, v2, s49, v[1:2]
	v_mov_b32_e32 v2, v6
	s_delay_alu instid0(VALU_DEP_2)
	v_dual_mov_b32 v0, v3 :: v_dual_mov_b32 v1, v8
	s_cbranch_scc1 .LBB39_11
.LBB39_12:
	s_and_not1_b32 vcc_lo, exec_lo, s2
	s_cbranch_vccnz .LBB39_15
; %bb.13:
	v_mul_hi_u32 v0, s9, v7
	s_and_not1_b32 vcc_lo, exec_lo, s38
	s_delay_alu instid0(VALU_DEP_1) | instskip(NEXT) | instid1(VALU_DEP_1)
	v_add_nc_u32_e32 v0, v7, v0
	v_lshrrev_b32_e32 v2, s10, v0
	s_delay_alu instid0(VALU_DEP_1) | instskip(NEXT) | instid1(VALU_DEP_1)
	v_mul_lo_u32 v0, v2, s8
	v_sub_nc_u32_e32 v1, v7, v0
	s_delay_alu instid0(VALU_DEP_1)
	v_mul_lo_u32 v0, v1, s12
	v_mul_lo_u32 v1, v1, s13
	s_cbranch_vccnz .LBB39_15
; %bb.14:
	v_mul_hi_u32 v3, s22, v2
	s_delay_alu instid0(VALU_DEP_1) | instskip(NEXT) | instid1(VALU_DEP_1)
	v_add_nc_u32_e32 v3, v2, v3
	v_lshrrev_b32_e32 v3, s23, v3
	s_delay_alu instid0(VALU_DEP_1) | instskip(NEXT) | instid1(VALU_DEP_1)
	v_mul_lo_u32 v3, v3, s11
	v_sub_nc_u32_e32 v6, v2, v3
	s_delay_alu instid0(VALU_DEP_1) | instskip(NEXT) | instid1(VALU_DEP_1)
	v_mad_u64_u32 v[2:3], null, v6, s14, v[0:1]
	v_mad_u64_u32 v[3:4], null, v6, s15, v[1:2]
	s_delay_alu instid0(VALU_DEP_1)
	v_dual_mov_b32 v0, v2 :: v_dual_mov_b32 v1, v3
.LBB39_15:
	v_cmp_gt_i16_e32 vcc_lo, 11, v5
	s_delay_alu instid0(VALU_DEP_2) | instskip(NEXT) | instid1(VALU_DEP_1)
	v_add_co_u32 v1, s2, s6, v1
	v_add_co_ci_u32_e64 v2, null, s7, 0, s2
	s_mov_b32 s28, 0
	s_cbranch_vccnz .LBB39_22
; %bb.16:
	v_cmp_lt_i16_e32 vcc_lo, 25, v5
	s_cbranch_vccz .LBB39_31
; %bb.17:
	v_cmp_lt_i16_e32 vcc_lo, 28, v5
	s_cbranch_vccz .LBB39_32
	;; [unrolled: 3-line block ×4, first 2 shown]
; %bb.20:
	v_cmp_eq_u16_e32 vcc_lo, 46, v5
	s_mov_b32 s26, 0
	s_cbranch_vccz .LBB39_155
; %bb.21:
	global_load_b32 v3, v[1:2], off
	s_mov_b32 s2, -1
	s_waitcnt vmcnt(0)
	v_lshlrev_b32_e32 v3, 16, v3
	s_branch .LBB39_157
.LBB39_22:
	s_mov_b32 s2, 0
                                        ; implicit-def: $vgpr3
	s_cbranch_execnz .LBB39_223
.LBB39_23:
	s_and_not1_b32 vcc_lo, exec_lo, s2
	s_cbranch_vccnz .LBB39_270
.LBB39_24:
	v_mov_b32_e32 v1, 0
	s_and_not1_b32 vcc_lo, exec_lo, s37
	s_cbranch_vccnz .LBB39_37
; %bb.25:
	v_cmp_lt_i64_e64 s2, s[20:21], 1
	v_mov_b32_e32 v1, 1.0
	s_delay_alu instid0(VALU_DEP_2)
	s_and_b32 vcc_lo, exec_lo, s2
	s_cbranch_vccnz .LBB39_37
; %bb.26:
	s_cmp_lg_u64 s[20:21], 1
	s_cbranch_scc0 .LBB39_34
; %bb.27:
	v_mov_b32_e32 v1, 0x7fc00000
	s_and_not1_b32 vcc_lo, exec_lo, s36
	s_cbranch_vccnz .LBB39_30
; %bb.28:
	s_waitcnt vmcnt(0)
	v_add_f32_e32 v2, v3, v3
	v_mov_b32_e32 v4, 1.0
	s_mov_b64 s[26:27], 2
	s_delay_alu instid0(VALU_DEP_2)
	v_mov_b32_e32 v1, v2
	.p2align	6
.LBB39_29:                              ; =>This Inner Loop Header: Depth=1
	s_clz_i32_u32 s2, s27
	s_delay_alu instid0(SALU_CYCLE_1) | instskip(NEXT) | instid1(SALU_CYCLE_1)
	s_min_u32 s2, s2, 32
	s_lshl_b64 s[42:43], s[26:27], s2
	s_sub_i32 s2, 32, s2
	s_min_u32 s29, s42, 1
	s_delay_alu instid0(SALU_CYCLE_1) | instskip(SKIP_3) | instid1(VALU_DEP_1)
	s_or_b32 s29, s43, s29
	s_add_u32 s26, s26, 2
	v_cvt_f32_u32_e32 v6, s29
	s_addc_u32 s27, s27, 0
	v_ldexp_f32 v6, v6, s2
	v_cmp_lt_u64_e64 s2, s[26:27], s[18:19]
	s_delay_alu instid0(VALU_DEP_2) | instskip(SKIP_1) | instid1(VALU_DEP_3)
	v_mul_f32_e32 v6, v4, v6
	v_mov_b32_e32 v4, v1
	s_and_b32 vcc_lo, exec_lo, s2
	s_delay_alu instid0(VALU_DEP_2)
	v_fma_f32 v1, v2, v1, -v6
	s_cbranch_vccnz .LBB39_29
.LBB39_30:
	s_mov_b32 s2, 0
	s_branch .LBB39_35
.LBB39_31:
	s_mov_b32 s2, 0
                                        ; implicit-def: $vgpr3
	s_cbranch_execnz .LBB39_188
	s_branch .LBB39_222
.LBB39_32:
	s_mov_b32 s26, -1
	s_mov_b32 s2, 0
                                        ; implicit-def: $vgpr3
	s_branch .LBB39_169
.LBB39_33:
	s_mov_b32 s26, -1
	s_mov_b32 s2, 0
                                        ; implicit-def: $vgpr3
	s_branch .LBB39_164
.LBB39_34:
	s_mov_b32 s2, -1
                                        ; implicit-def: $vgpr1
.LBB39_35:
	s_delay_alu instid0(SALU_CYCLE_1)
	s_and_not1_b32 vcc_lo, exec_lo, s2
	s_cbranch_vccnz .LBB39_37
; %bb.36:
	s_waitcnt vmcnt(0)
	s_delay_alu instid0(VALU_DEP_4)
	v_add_f32_e32 v1, v3, v3
.LBB39_37:
	v_and_b32_e64 v6, 0xff, s3
	s_waitcnt vmcnt(0)
	v_add_co_u32 v3, s26, s4, v0
	s_delay_alu instid0(VALU_DEP_1) | instskip(NEXT) | instid1(VALU_DEP_3)
	v_add_co_ci_u32_e64 v4, null, s5, 0, s26
	v_cmp_gt_i16_e32 vcc_lo, 11, v6
	s_mov_b32 s2, 0
	s_mov_b32 s27, -1
	s_mov_b32 s26, 0
	s_cbranch_vccnz .LBB39_114
; %bb.38:
	v_cmp_lt_i16_e32 vcc_lo, 25, v6
	s_cbranch_vccz .LBB39_71
; %bb.39:
	v_cmp_lt_i16_e32 vcc_lo, 28, v6
	s_cbranch_vccz .LBB39_54
	;; [unrolled: 3-line block ×4, first 2 shown]
; %bb.42:
	v_cmp_eq_u16_e32 vcc_lo, 46, v6
	s_mov_b32 s27, 0
	s_mov_b32 s2, -1
	s_cbranch_vccz .LBB39_44
; %bb.43:
	v_bfe_u32 v0, v1, 16, 1
	v_cmp_o_f32_e32 vcc_lo, v1, v1
	s_mov_b32 s26, -1
	s_mov_b32 s2, 0
	s_delay_alu instid0(VALU_DEP_2) | instskip(NEXT) | instid1(VALU_DEP_1)
	v_add3_u32 v0, v1, v0, 0x7fff
	v_lshrrev_b32_e32 v0, 16, v0
	s_delay_alu instid0(VALU_DEP_1)
	v_cndmask_b32_e32 v0, 0x7fc0, v0, vcc_lo
	global_store_b32 v[3:4], v0, off
.LBB39_44:
	s_and_b32 vcc_lo, exec_lo, s27
	s_cbranch_vccz .LBB39_49
; %bb.45:
	v_cmp_eq_u16_e32 vcc_lo, 44, v6
	s_mov_b32 s2, -1
	s_cbranch_vccz .LBB39_49
; %bb.46:
	v_bfe_u32 v2, v1, 23, 8
	v_mov_b32_e32 v0, 0xff
	s_mov_b32 s26, exec_lo
	s_delay_alu instid0(VALU_DEP_2)
	v_cmpx_ne_u32_e32 0xff, v2
; %bb.47:
	v_and_b32_e32 v0, 0x400000, v1
	v_and_or_b32 v2, 0x3fffff, v1, v2
	s_delay_alu instid0(VALU_DEP_2) | instskip(NEXT) | instid1(VALU_DEP_2)
	v_cmp_ne_u32_e32 vcc_lo, 0, v0
	v_cmp_ne_u32_e64 s2, 0, v2
	v_lshrrev_b32_e32 v0, 23, v1
	s_delay_alu instid0(VALU_DEP_2) | instskip(NEXT) | instid1(SALU_CYCLE_1)
	s_and_b32 s2, vcc_lo, s2
	v_cndmask_b32_e64 v2, 0, 1, s2
	s_delay_alu instid0(VALU_DEP_1)
	v_add_nc_u32_e32 v0, v0, v2
; %bb.48:
	s_or_b32 exec_lo, exec_lo, s26
	s_mov_b32 s26, -1
	s_mov_b32 s2, 0
	global_store_b8 v[3:4], v0, off
.LBB39_49:
	s_mov_b32 s27, 0
.LBB39_50:
	s_delay_alu instid0(SALU_CYCLE_1)
	s_and_b32 vcc_lo, exec_lo, s27
	s_cbranch_vccz .LBB39_53
; %bb.51:
	v_cmp_eq_u16_e32 vcc_lo, 29, v6
	s_mov_b32 s2, -1
	s_cbranch_vccz .LBB39_53
; %bb.52:
	v_trunc_f32_e32 v0, v1
	s_mov_b32 s26, -1
	s_mov_b32 s2, 0
	s_delay_alu instid0(VALU_DEP_1) | instskip(NEXT) | instid1(VALU_DEP_1)
	v_mul_f32_e32 v2, 0x2f800000, v0
	v_floor_f32_e32 v2, v2
	s_delay_alu instid0(VALU_DEP_1) | instskip(SKIP_1) | instid1(VALU_DEP_2)
	v_fmamk_f32 v0, v2, 0xcf800000, v0
	v_cvt_u32_f32_e32 v9, v2
	v_cvt_u32_f32_e32 v8, v0
	global_store_b64 v[3:4], v[8:9], off
.LBB39_53:
	s_mov_b32 s27, 0
.LBB39_54:
	s_delay_alu instid0(SALU_CYCLE_1)
	s_and_b32 vcc_lo, exec_lo, s27
	s_cbranch_vccz .LBB39_70
; %bb.55:
	v_cmp_gt_i16_e32 vcc_lo, 27, v6
	s_mov_b32 s26, -1
	s_cbranch_vccnz .LBB39_61
; %bb.56:
	v_cmp_lt_i16_e32 vcc_lo, 27, v6
	s_cbranch_vccz .LBB39_58
; %bb.57:
	v_cvt_u32_f32_e32 v0, v1
	s_mov_b32 s26, 0
	global_store_b32 v[3:4], v0, off
.LBB39_58:
	s_and_not1_b32 vcc_lo, exec_lo, s26
	s_cbranch_vccnz .LBB39_60
; %bb.59:
	v_cvt_u32_f32_e32 v0, v1
	global_store_b16 v[3:4], v0, off
.LBB39_60:
	s_mov_b32 s26, 0
.LBB39_61:
	s_delay_alu instid0(SALU_CYCLE_1)
	s_and_not1_b32 vcc_lo, exec_lo, s26
	s_cbranch_vccnz .LBB39_69
; %bb.62:
	v_and_b32_e32 v0, 0x7fffffff, v1
	v_mov_b32_e32 v2, 0x80
	s_mov_b32 s26, exec_lo
	s_delay_alu instid0(VALU_DEP_2)
	v_cmpx_gt_u32_e32 0x43800000, v0
	s_cbranch_execz .LBB39_68
; %bb.63:
	v_cmp_lt_u32_e32 vcc_lo, 0x3bffffff, v0
	s_mov_b32 s27, 0
                                        ; implicit-def: $vgpr0
	s_and_saveexec_b32 s29, vcc_lo
	s_delay_alu instid0(SALU_CYCLE_1)
	s_xor_b32 s29, exec_lo, s29
	s_cbranch_execz .LBB39_160
; %bb.64:
	v_bfe_u32 v0, v1, 20, 1
	s_mov_b32 s27, exec_lo
	s_delay_alu instid0(VALU_DEP_1) | instskip(NEXT) | instid1(VALU_DEP_1)
	v_add3_u32 v0, v1, v0, 0x487ffff
	v_lshrrev_b32_e32 v0, 20, v0
	s_or_saveexec_b32 s29, s29
                                        ; implicit-def: $sgpr42
	s_delay_alu instid0(SALU_CYCLE_1)
	s_xor_b32 exec_lo, exec_lo, s29
	s_cbranch_execnz .LBB39_161
.LBB39_65:
	s_or_b32 exec_lo, exec_lo, s29
	v_mov_b32_e32 v2, s42
	s_and_saveexec_b32 s29, s27
.LBB39_66:
	v_lshrrev_b32_e32 v2, 24, v1
	s_delay_alu instid0(VALU_DEP_1)
	v_and_or_b32 v2, 0x80, v2, v0
.LBB39_67:
	s_or_b32 exec_lo, exec_lo, s29
.LBB39_68:
	s_delay_alu instid0(SALU_CYCLE_1)
	s_or_b32 exec_lo, exec_lo, s26
	global_store_b8 v[3:4], v2, off
.LBB39_69:
	s_mov_b32 s26, -1
.LBB39_70:
	s_mov_b32 s27, 0
.LBB39_71:
	s_delay_alu instid0(SALU_CYCLE_1)
	s_and_b32 vcc_lo, exec_lo, s27
	s_cbranch_vccz .LBB39_112
; %bb.72:
	v_cmp_lt_i16_e32 vcc_lo, 22, v6
	s_mov_b32 s27, -1
	s_cbranch_vccz .LBB39_104
; %bb.73:
	v_cmp_gt_i16_e32 vcc_lo, 24, v6
	s_mov_b32 s26, -1
	s_cbranch_vccnz .LBB39_93
; %bb.74:
	v_cmp_lt_i16_e32 vcc_lo, 24, v6
	s_cbranch_vccz .LBB39_82
; %bb.75:
	v_and_b32_e32 v0, 0x7fffffff, v1
	v_mov_b32_e32 v2, 0x80
	s_mov_b32 s26, exec_lo
	s_delay_alu instid0(VALU_DEP_2)
	v_cmpx_gt_u32_e32 0x47800000, v0
	s_cbranch_execz .LBB39_81
; %bb.76:
	v_cmp_lt_u32_e32 vcc_lo, 0x37ffffff, v0
	s_mov_b32 s27, 0
                                        ; implicit-def: $vgpr0
	s_and_saveexec_b32 s29, vcc_lo
	s_delay_alu instid0(SALU_CYCLE_1)
	s_xor_b32 s29, exec_lo, s29
	s_cbranch_execz .LBB39_361
; %bb.77:
	v_bfe_u32 v0, v1, 21, 1
	s_mov_b32 s27, exec_lo
	s_delay_alu instid0(VALU_DEP_1) | instskip(NEXT) | instid1(VALU_DEP_1)
	v_add3_u32 v0, v1, v0, 0x88fffff
	v_lshrrev_b32_e32 v0, 21, v0
	s_or_saveexec_b32 s29, s29
                                        ; implicit-def: $sgpr42
	s_delay_alu instid0(SALU_CYCLE_1)
	s_xor_b32 exec_lo, exec_lo, s29
	s_cbranch_execnz .LBB39_362
.LBB39_78:
	s_or_b32 exec_lo, exec_lo, s29
	v_mov_b32_e32 v2, s42
	s_and_saveexec_b32 s29, s27
.LBB39_79:
	v_lshrrev_b32_e32 v2, 24, v1
	s_delay_alu instid0(VALU_DEP_1)
	v_and_or_b32 v2, 0x80, v2, v0
.LBB39_80:
	s_or_b32 exec_lo, exec_lo, s29
.LBB39_81:
	s_delay_alu instid0(SALU_CYCLE_1)
	s_or_b32 exec_lo, exec_lo, s26
	s_mov_b32 s26, 0
	global_store_b8 v[3:4], v2, off
.LBB39_82:
	s_and_b32 vcc_lo, exec_lo, s26
	s_cbranch_vccz .LBB39_92
; %bb.83:
	v_and_b32_e32 v2, 0x7fffffff, v1
	s_mov_b32 s26, exec_lo
                                        ; implicit-def: $vgpr0
	s_delay_alu instid0(VALU_DEP_1)
	v_cmpx_gt_u32_e32 0x43f00000, v2
	s_xor_b32 s26, exec_lo, s26
	s_cbranch_execz .LBB39_89
; %bb.84:
	s_mov_b32 s27, exec_lo
                                        ; implicit-def: $vgpr0
	v_cmpx_lt_u32_e32 0x3c7fffff, v2
	s_xor_b32 s27, exec_lo, s27
; %bb.85:
	v_bfe_u32 v0, v1, 20, 1
	s_delay_alu instid0(VALU_DEP_1) | instskip(NEXT) | instid1(VALU_DEP_1)
	v_add3_u32 v0, v1, v0, 0x407ffff
	v_and_b32_e32 v2, 0xff00000, v0
	v_lshrrev_b32_e32 v0, 20, v0
	s_delay_alu instid0(VALU_DEP_2) | instskip(NEXT) | instid1(VALU_DEP_2)
	v_cmp_ne_u32_e32 vcc_lo, 0x7f00000, v2
	v_cndmask_b32_e32 v0, 0x7e, v0, vcc_lo
; %bb.86:
	s_and_not1_saveexec_b32 s27, s27
; %bb.87:
	v_add_f32_e64 v0, 0x46800000, |v1|
; %bb.88:
	s_or_b32 exec_lo, exec_lo, s27
                                        ; implicit-def: $vgpr2
.LBB39_89:
	s_and_not1_saveexec_b32 s26, s26
; %bb.90:
	v_mov_b32_e32 v0, 0x7f
	v_cmp_lt_u32_e32 vcc_lo, 0x7f800000, v2
	s_delay_alu instid0(VALU_DEP_2)
	v_cndmask_b32_e32 v0, 0x7e, v0, vcc_lo
; %bb.91:
	s_or_b32 exec_lo, exec_lo, s26
	v_lshrrev_b32_e32 v2, 24, v1
	s_delay_alu instid0(VALU_DEP_1)
	v_and_or_b32 v0, 0x80, v2, v0
	global_store_b8 v[3:4], v0, off
.LBB39_92:
	s_mov_b32 s26, 0
.LBB39_93:
	s_delay_alu instid0(SALU_CYCLE_1)
	s_and_not1_b32 vcc_lo, exec_lo, s26
	s_cbranch_vccnz .LBB39_103
; %bb.94:
	v_and_b32_e32 v2, 0x7fffffff, v1
	s_mov_b32 s26, exec_lo
                                        ; implicit-def: $vgpr0
	s_delay_alu instid0(VALU_DEP_1)
	v_cmpx_gt_u32_e32 0x47800000, v2
	s_xor_b32 s26, exec_lo, s26
	s_cbranch_execz .LBB39_100
; %bb.95:
	s_mov_b32 s27, exec_lo
                                        ; implicit-def: $vgpr0
	v_cmpx_lt_u32_e32 0x387fffff, v2
	s_xor_b32 s27, exec_lo, s27
; %bb.96:
	v_bfe_u32 v0, v1, 21, 1
	s_delay_alu instid0(VALU_DEP_1) | instskip(NEXT) | instid1(VALU_DEP_1)
	v_add3_u32 v0, v1, v0, 0x80fffff
	v_lshrrev_b32_e32 v0, 21, v0
; %bb.97:
	s_and_not1_saveexec_b32 s27, s27
; %bb.98:
	v_add_f32_e64 v0, 0x43000000, |v1|
; %bb.99:
	s_or_b32 exec_lo, exec_lo, s27
                                        ; implicit-def: $vgpr2
.LBB39_100:
	s_and_not1_saveexec_b32 s26, s26
; %bb.101:
	v_mov_b32_e32 v0, 0x7f
	v_cmp_lt_u32_e32 vcc_lo, 0x7f800000, v2
	s_delay_alu instid0(VALU_DEP_2)
	v_cndmask_b32_e32 v0, 0x7c, v0, vcc_lo
; %bb.102:
	s_or_b32 exec_lo, exec_lo, s26
	v_lshrrev_b32_e32 v2, 24, v1
	s_delay_alu instid0(VALU_DEP_1)
	v_and_or_b32 v0, 0x80, v2, v0
	global_store_b8 v[3:4], v0, off
.LBB39_103:
	s_mov_b32 s27, 0
	s_mov_b32 s26, -1
.LBB39_104:
	s_and_not1_b32 vcc_lo, exec_lo, s27
	s_cbranch_vccnz .LBB39_112
; %bb.105:
	v_cmp_lt_i16_e32 vcc_lo, 14, v6
	s_mov_b32 s27, -1
	s_cbranch_vccz .LBB39_109
; %bb.106:
	v_cmp_eq_u16_e32 vcc_lo, 15, v6
	s_mov_b32 s2, -1
	s_cbranch_vccz .LBB39_108
; %bb.107:
	v_bfe_u32 v0, v1, 16, 1
	v_cmp_o_f32_e32 vcc_lo, v1, v1
	s_mov_b32 s26, -1
	s_mov_b32 s2, 0
	s_delay_alu instid0(VALU_DEP_2) | instskip(NEXT) | instid1(VALU_DEP_1)
	v_add3_u32 v0, v1, v0, 0x7fff
	v_lshrrev_b32_e32 v0, 16, v0
	s_delay_alu instid0(VALU_DEP_1)
	v_cndmask_b32_e32 v0, 0x7fc0, v0, vcc_lo
	global_store_b16 v[3:4], v0, off
.LBB39_108:
	s_mov_b32 s27, 0
.LBB39_109:
	s_delay_alu instid0(SALU_CYCLE_1)
	s_and_b32 vcc_lo, exec_lo, s27
	s_cbranch_vccz .LBB39_112
; %bb.110:
	v_cmp_eq_u16_e32 vcc_lo, 11, v6
	s_mov_b32 s2, -1
	s_cbranch_vccz .LBB39_112
; %bb.111:
	v_cmp_neq_f32_e32 vcc_lo, 0, v1
	s_mov_b32 s2, 0
	s_mov_b32 s26, -1
	v_cndmask_b32_e64 v0, 0, 1, vcc_lo
	global_store_b8 v[3:4], v0, off
.LBB39_112:
.LBB39_113:
	s_and_not1_b32 vcc_lo, exec_lo, s26
	s_cbranch_vccz .LBB39_153
	s_branch .LBB39_271
.LBB39_114:
	s_and_b32 vcc_lo, exec_lo, s27
	s_cbranch_vccz .LBB39_113
; %bb.115:
	v_cmp_gt_i16_e32 vcc_lo, 5, v6
	s_mov_b32 s26, -1
	s_cbranch_vccnz .LBB39_136
; %bb.116:
	v_cmp_gt_i16_e32 vcc_lo, 8, v6
	s_cbranch_vccnz .LBB39_126
; %bb.117:
	v_cmp_gt_i16_e32 vcc_lo, 9, v6
	s_cbranch_vccnz .LBB39_123
; %bb.118:
	v_cmp_lt_i16_e32 vcc_lo, 9, v6
	s_cbranch_vccz .LBB39_120
; %bb.119:
	v_cvt_f64_f32_e32 v[8:9], v1
	v_mov_b32_e32 v10, 0
	s_mov_b32 s26, 0
	s_delay_alu instid0(VALU_DEP_1)
	v_mov_b32_e32 v11, v10
	global_store_b128 v[3:4], v[8:11], off
.LBB39_120:
	s_and_not1_b32 vcc_lo, exec_lo, s26
	s_cbranch_vccnz .LBB39_122
; %bb.121:
	v_mov_b32_e32 v2, 0
	global_store_b64 v[3:4], v[1:2], off
.LBB39_122:
	s_mov_b32 s26, 0
.LBB39_123:
	s_delay_alu instid0(SALU_CYCLE_1)
	s_and_not1_b32 vcc_lo, exec_lo, s26
	s_cbranch_vccnz .LBB39_125
; %bb.124:
	v_cvt_f16_f32_e32 v0, v1
	s_delay_alu instid0(VALU_DEP_1)
	v_and_b32_e32 v0, 0xffff, v0
	global_store_b32 v[3:4], v0, off
.LBB39_125:
	s_mov_b32 s26, 0
.LBB39_126:
	s_delay_alu instid0(SALU_CYCLE_1)
	s_and_not1_b32 vcc_lo, exec_lo, s26
	s_cbranch_vccnz .LBB39_135
; %bb.127:
	v_cmp_gt_i16_e32 vcc_lo, 6, v6
	s_mov_b32 s26, -1
	s_cbranch_vccnz .LBB39_133
; %bb.128:
	v_cmp_lt_i16_e32 vcc_lo, 6, v6
	s_cbranch_vccz .LBB39_130
; %bb.129:
	v_cvt_f64_f32_e32 v[8:9], v1
	s_mov_b32 s26, 0
	global_store_b64 v[3:4], v[8:9], off
.LBB39_130:
	s_and_not1_b32 vcc_lo, exec_lo, s26
	s_cbranch_vccnz .LBB39_132
; %bb.131:
	global_store_b32 v[3:4], v1, off
.LBB39_132:
	s_mov_b32 s26, 0
.LBB39_133:
	s_delay_alu instid0(SALU_CYCLE_1)
	s_and_not1_b32 vcc_lo, exec_lo, s26
	s_cbranch_vccnz .LBB39_135
; %bb.134:
	v_cvt_f16_f32_e32 v0, v1
	global_store_b16 v[3:4], v0, off
.LBB39_135:
	s_mov_b32 s26, 0
.LBB39_136:
	s_delay_alu instid0(SALU_CYCLE_1)
	s_and_not1_b32 vcc_lo, exec_lo, s26
	s_cbranch_vccnz .LBB39_152
; %bb.137:
	v_cmp_gt_i16_e32 vcc_lo, 2, v6
	s_mov_b32 s26, -1
	s_cbranch_vccnz .LBB39_147
; %bb.138:
	v_cmp_gt_i16_e32 vcc_lo, 3, v6
	s_cbranch_vccnz .LBB39_144
; %bb.139:
	v_cmp_lt_i16_e32 vcc_lo, 3, v6
	s_cbranch_vccz .LBB39_141
; %bb.140:
	v_trunc_f32_e32 v0, v1
	s_mov_b32 s26, 0
	s_delay_alu instid0(VALU_DEP_1) | instskip(NEXT) | instid1(VALU_DEP_1)
	v_mul_f32_e64 v2, 0x2f800000, |v0|
	v_floor_f32_e32 v2, v2
	s_delay_alu instid0(VALU_DEP_1) | instskip(SKIP_2) | instid1(VALU_DEP_3)
	v_fma_f32 v8, 0xcf800000, v2, |v0|
	v_ashrrev_i32_e32 v0, 31, v0
	v_cvt_u32_f32_e32 v2, v2
	v_cvt_u32_f32_e32 v8, v8
	s_delay_alu instid0(VALU_DEP_2) | instskip(NEXT) | instid1(VALU_DEP_2)
	v_xor_b32_e32 v2, v2, v0
	v_xor_b32_e32 v8, v8, v0
	s_delay_alu instid0(VALU_DEP_1) | instskip(NEXT) | instid1(VALU_DEP_3)
	v_sub_co_u32 v8, vcc_lo, v8, v0
	v_sub_co_ci_u32_e32 v9, vcc_lo, v2, v0, vcc_lo
	global_store_b64 v[3:4], v[8:9], off
.LBB39_141:
	s_and_not1_b32 vcc_lo, exec_lo, s26
	s_cbranch_vccnz .LBB39_143
; %bb.142:
	v_cvt_i32_f32_e32 v0, v1
	global_store_b32 v[3:4], v0, off
.LBB39_143:
	s_mov_b32 s26, 0
.LBB39_144:
	s_delay_alu instid0(SALU_CYCLE_1)
	s_and_not1_b32 vcc_lo, exec_lo, s26
	s_cbranch_vccnz .LBB39_146
; %bb.145:
	v_cvt_i32_f32_e32 v0, v1
	global_store_b16 v[3:4], v0, off
.LBB39_146:
	s_mov_b32 s26, 0
.LBB39_147:
	s_delay_alu instid0(SALU_CYCLE_1)
	s_and_not1_b32 vcc_lo, exec_lo, s26
	s_cbranch_vccnz .LBB39_152
; %bb.148:
	v_cmp_lt_i16_e32 vcc_lo, 0, v6
	s_mov_b32 s26, -1
	s_cbranch_vccz .LBB39_150
; %bb.149:
	v_cvt_i32_f32_e32 v0, v1
	s_mov_b32 s26, 0
	global_store_b8 v[3:4], v0, off
.LBB39_150:
	s_and_not1_b32 vcc_lo, exec_lo, s26
	s_cbranch_vccnz .LBB39_152
; %bb.151:
	v_trunc_f32_e32 v0, v1
	s_delay_alu instid0(VALU_DEP_1) | instskip(NEXT) | instid1(VALU_DEP_1)
	v_mul_f32_e64 v1, 0x2f800000, |v0|
	v_floor_f32_e32 v1, v1
	s_delay_alu instid0(VALU_DEP_1) | instskip(SKIP_1) | instid1(VALU_DEP_2)
	v_fma_f32 v1, 0xcf800000, v1, |v0|
	v_ashrrev_i32_e32 v0, 31, v0
	v_cvt_u32_f32_e32 v1, v1
	s_delay_alu instid0(VALU_DEP_1) | instskip(NEXT) | instid1(VALU_DEP_1)
	v_xor_b32_e32 v1, v1, v0
	v_sub_nc_u32_e32 v0, v1, v0
	global_store_b8 v[3:4], v0, off
.LBB39_152:
.LBB39_153:
	v_add_nc_u32_e32 v7, 0x80, v7
	s_mov_b32 s26, -1
	s_branch .LBB39_272
.LBB39_154:
	s_mov_b32 s26, -1
	s_branch .LBB39_156
.LBB39_155:
	s_mov_b32 s28, -1
.LBB39_156:
	s_mov_b32 s2, 0
                                        ; implicit-def: $vgpr3
.LBB39_157:
	s_and_b32 vcc_lo, exec_lo, s26
	s_cbranch_vccz .LBB39_163
; %bb.158:
	v_cmp_eq_u16_e32 vcc_lo, 44, v5
	s_cbranch_vccz .LBB39_162
; %bb.159:
	global_load_u8 v3, v[1:2], off
	s_mov_b32 s28, 0
	s_mov_b32 s2, -1
	s_waitcnt vmcnt(0)
	v_lshlrev_b32_e32 v4, 23, v3
	v_cmp_ne_u32_e32 vcc_lo, 0xff, v3
	s_delay_alu instid0(VALU_DEP_2) | instskip(SKIP_1) | instid1(VALU_DEP_2)
	v_cndmask_b32_e32 v4, 0x7f800001, v4, vcc_lo
	v_cmp_ne_u32_e32 vcc_lo, 0, v3
	v_cndmask_b32_e32 v3, 0x400000, v4, vcc_lo
	s_branch .LBB39_163
.LBB39_160:
	s_or_saveexec_b32 s29, s29
                                        ; implicit-def: $sgpr42
	s_delay_alu instid0(SALU_CYCLE_1)
	s_xor_b32 exec_lo, exec_lo, s29
	s_cbranch_execz .LBB39_65
.LBB39_161:
	v_add_f32_e64 v0, 0x46000000, |v1|
	s_and_not1_b32 s27, s27, exec_lo
	s_mov_b32 s42, 0
	s_delay_alu instid0(VALU_DEP_1) | instskip(NEXT) | instid1(VALU_DEP_1)
	v_and_b32_e32 v0, 0xff, v0
	v_cmp_ne_u32_e32 vcc_lo, 0, v0
	s_and_b32 s43, vcc_lo, exec_lo
	s_delay_alu instid0(SALU_CYCLE_1)
	s_or_b32 s27, s27, s43
	s_or_b32 exec_lo, exec_lo, s29
	v_mov_b32_e32 v2, s42
	s_and_saveexec_b32 s29, s27
	s_cbranch_execnz .LBB39_66
	s_branch .LBB39_67
.LBB39_162:
	s_mov_b32 s28, -1
                                        ; implicit-def: $vgpr3
.LBB39_163:
	s_mov_b32 s26, 0
.LBB39_164:
	s_delay_alu instid0(SALU_CYCLE_1)
	s_and_b32 vcc_lo, exec_lo, s26
	s_cbranch_vccz .LBB39_168
; %bb.165:
	v_cmp_eq_u16_e32 vcc_lo, 29, v5
	s_cbranch_vccz .LBB39_167
; %bb.166:
	global_load_b64 v[3:4], v[1:2], off
	s_mov_b32 s2, -1
	s_mov_b32 s28, 0
	s_mov_b32 s26, 0
	s_waitcnt vmcnt(0)
	v_clz_i32_u32_e32 v6, v4
	s_delay_alu instid0(VALU_DEP_1) | instskip(NEXT) | instid1(VALU_DEP_1)
	v_min_u32_e32 v6, 32, v6
	v_lshlrev_b64 v[3:4], v6, v[3:4]
	s_delay_alu instid0(VALU_DEP_1) | instskip(NEXT) | instid1(VALU_DEP_1)
	v_min_u32_e32 v3, 1, v3
	v_or_b32_e32 v3, v4, v3
	v_sub_nc_u32_e32 v4, 32, v6
	s_delay_alu instid0(VALU_DEP_2) | instskip(NEXT) | instid1(VALU_DEP_1)
	v_cvt_f32_u32_e32 v3, v3
	v_ldexp_f32 v3, v3, v4
	s_branch .LBB39_169
.LBB39_167:
	s_mov_b32 s28, -1
                                        ; implicit-def: $vgpr3
.LBB39_168:
	s_mov_b32 s26, 0
.LBB39_169:
	s_delay_alu instid0(SALU_CYCLE_1)
	s_and_b32 vcc_lo, exec_lo, s26
	s_cbranch_vccz .LBB39_187
; %bb.170:
	v_cmp_gt_i16_e32 vcc_lo, 27, v5
	s_cbranch_vccnz .LBB39_173
; %bb.171:
	v_cmp_lt_i16_e32 vcc_lo, 27, v5
	s_cbranch_vccz .LBB39_174
; %bb.172:
	global_load_b32 v3, v[1:2], off
	s_mov_b32 s2, 0
	s_waitcnt vmcnt(0)
	v_cvt_f32_u32_e32 v3, v3
	s_branch .LBB39_175
.LBB39_173:
	s_mov_b32 s2, -1
                                        ; implicit-def: $vgpr3
	s_branch .LBB39_178
.LBB39_174:
	s_mov_b32 s2, -1
                                        ; implicit-def: $vgpr3
.LBB39_175:
	s_delay_alu instid0(SALU_CYCLE_1)
	s_and_not1_b32 vcc_lo, exec_lo, s2
	s_cbranch_vccnz .LBB39_177
; %bb.176:
	global_load_u16 v3, v[1:2], off
	s_waitcnt vmcnt(0)
	v_cvt_f32_u32_e32 v3, v3
.LBB39_177:
	s_mov_b32 s2, 0
.LBB39_178:
	s_delay_alu instid0(SALU_CYCLE_1)
	s_and_not1_b32 vcc_lo, exec_lo, s2
	s_cbranch_vccnz .LBB39_186
; %bb.179:
	global_load_u8 v4, v[1:2], off
	s_mov_b32 s2, 0
	s_mov_b32 s27, exec_lo
                                        ; implicit-def: $sgpr26
	s_waitcnt vmcnt(0)
	v_cmpx_lt_i16_e32 0x7f, v4
	s_xor_b32 s27, exec_lo, s27
	s_cbranch_execz .LBB39_199
; %bb.180:
	s_mov_b32 s2, -1
	s_mov_b32 s29, exec_lo
                                        ; implicit-def: $sgpr26
	v_cmpx_eq_u16_e32 0x80, v4
; %bb.181:
	s_mov_b32 s26, 0x7f800001
	s_xor_b32 s2, exec_lo, -1
; %bb.182:
	s_or_b32 exec_lo, exec_lo, s29
	s_delay_alu instid0(SALU_CYCLE_1)
	s_and_b32 s2, s2, exec_lo
	s_or_saveexec_b32 s27, s27
	v_mov_b32_e32 v3, s26
	s_xor_b32 exec_lo, exec_lo, s27
	s_cbranch_execnz .LBB39_200
.LBB39_183:
	s_or_b32 exec_lo, exec_lo, s27
	s_and_saveexec_b32 s26, s2
	s_cbranch_execz .LBB39_185
.LBB39_184:
	v_and_b32_e32 v3, 0xffff, v4
	v_lshlrev_b32_e32 v4, 24, v4
	s_delay_alu instid0(VALU_DEP_2) | instskip(NEXT) | instid1(VALU_DEP_2)
	v_and_b32_e32 v6, 7, v3
	v_and_b32_e32 v4, 0x80000000, v4
	s_delay_alu instid0(VALU_DEP_2) | instskip(NEXT) | instid1(VALU_DEP_1)
	v_clz_i32_u32_e32 v8, v6
	v_min_u32_e32 v8, 32, v8
	s_delay_alu instid0(VALU_DEP_1) | instskip(SKIP_1) | instid1(VALU_DEP_2)
	v_subrev_nc_u32_e32 v9, 28, v8
	v_sub_nc_u32_e32 v8, 29, v8
	v_lshlrev_b32_e32 v9, v9, v3
	v_bfe_u32 v3, v3, 3, 4
	s_delay_alu instid0(VALU_DEP_2) | instskip(NEXT) | instid1(VALU_DEP_2)
	v_and_b32_e32 v9, 7, v9
	v_cmp_eq_u32_e32 vcc_lo, 0, v3
	s_delay_alu instid0(VALU_DEP_2) | instskip(NEXT) | instid1(VALU_DEP_1)
	v_dual_cndmask_b32 v3, v3, v8 :: v_dual_cndmask_b32 v6, v6, v9
	v_lshl_add_u32 v3, v3, 23, 0x3b800000
	s_delay_alu instid0(VALU_DEP_2) | instskip(NEXT) | instid1(VALU_DEP_1)
	v_lshlrev_b32_e32 v6, 20, v6
	v_or3_b32 v3, v4, v3, v6
.LBB39_185:
	s_or_b32 exec_lo, exec_lo, s26
.LBB39_186:
	s_mov_b32 s2, -1
.LBB39_187:
	s_branch .LBB39_222
.LBB39_188:
	v_cmp_lt_i16_e32 vcc_lo, 22, v5
	s_cbranch_vccz .LBB39_198
; %bb.189:
	v_cmp_gt_i16_e32 vcc_lo, 24, v5
	s_cbranch_vccnz .LBB39_201
; %bb.190:
	v_cmp_lt_i16_e32 vcc_lo, 24, v5
	s_cbranch_vccz .LBB39_202
; %bb.191:
	global_load_u8 v4, v[1:2], off
	s_mov_b32 s2, 0
	s_mov_b32 s27, exec_lo
                                        ; implicit-def: $sgpr26
	s_waitcnt vmcnt(0)
	v_cmpx_lt_i16_e32 0x7f, v4
	s_xor_b32 s27, exec_lo, s27
	s_cbranch_execz .LBB39_214
; %bb.192:
	s_mov_b32 s2, -1
	s_mov_b32 s29, exec_lo
                                        ; implicit-def: $sgpr26
	v_cmpx_eq_u16_e32 0x80, v4
; %bb.193:
	s_mov_b32 s26, 0x7f800001
	s_xor_b32 s2, exec_lo, -1
; %bb.194:
	s_or_b32 exec_lo, exec_lo, s29
	s_delay_alu instid0(SALU_CYCLE_1)
	s_and_b32 s2, s2, exec_lo
	s_or_saveexec_b32 s27, s27
	v_mov_b32_e32 v3, s26
	s_xor_b32 exec_lo, exec_lo, s27
	s_cbranch_execnz .LBB39_215
.LBB39_195:
	s_or_b32 exec_lo, exec_lo, s27
	s_and_saveexec_b32 s26, s2
	s_cbranch_execz .LBB39_197
.LBB39_196:
	v_and_b32_e32 v3, 0xffff, v4
	v_lshlrev_b32_e32 v4, 24, v4
	s_delay_alu instid0(VALU_DEP_2) | instskip(NEXT) | instid1(VALU_DEP_2)
	v_and_b32_e32 v6, 3, v3
	v_and_b32_e32 v4, 0x80000000, v4
	s_delay_alu instid0(VALU_DEP_2) | instskip(NEXT) | instid1(VALU_DEP_1)
	v_clz_i32_u32_e32 v8, v6
	v_min_u32_e32 v8, 32, v8
	s_delay_alu instid0(VALU_DEP_1) | instskip(SKIP_1) | instid1(VALU_DEP_2)
	v_subrev_nc_u32_e32 v9, 29, v8
	v_sub_nc_u32_e32 v8, 30, v8
	v_lshlrev_b32_e32 v9, v9, v3
	v_bfe_u32 v3, v3, 2, 5
	s_delay_alu instid0(VALU_DEP_2) | instskip(NEXT) | instid1(VALU_DEP_2)
	v_and_b32_e32 v9, 3, v9
	v_cmp_eq_u32_e32 vcc_lo, 0, v3
	s_delay_alu instid0(VALU_DEP_2) | instskip(NEXT) | instid1(VALU_DEP_1)
	v_dual_cndmask_b32 v3, v3, v8 :: v_dual_cndmask_b32 v6, v6, v9
	v_lshl_add_u32 v3, v3, 23, 0x37800000
	s_delay_alu instid0(VALU_DEP_2) | instskip(NEXT) | instid1(VALU_DEP_1)
	v_lshlrev_b32_e32 v6, 21, v6
	v_or3_b32 v3, v4, v3, v6
.LBB39_197:
	s_or_b32 exec_lo, exec_lo, s26
	s_mov_b32 s2, 0
	s_branch .LBB39_203
.LBB39_198:
	s_mov_b32 s26, -1
                                        ; implicit-def: $vgpr3
	s_branch .LBB39_209
.LBB39_199:
	s_or_saveexec_b32 s27, s27
	v_mov_b32_e32 v3, s26
	s_xor_b32 exec_lo, exec_lo, s27
	s_cbranch_execz .LBB39_183
.LBB39_200:
	v_cmp_ne_u16_e32 vcc_lo, 0, v4
	v_mov_b32_e32 v3, 0
	s_and_not1_b32 s2, s2, exec_lo
	s_and_b32 s26, vcc_lo, exec_lo
	s_delay_alu instid0(SALU_CYCLE_1)
	s_or_b32 s2, s2, s26
	s_or_b32 exec_lo, exec_lo, s27
	s_and_saveexec_b32 s26, s2
	s_cbranch_execnz .LBB39_184
	s_branch .LBB39_185
.LBB39_201:
	s_mov_b32 s2, -1
                                        ; implicit-def: $vgpr3
	s_branch .LBB39_206
.LBB39_202:
	s_mov_b32 s2, -1
                                        ; implicit-def: $vgpr3
.LBB39_203:
	s_delay_alu instid0(SALU_CYCLE_1)
	s_and_b32 vcc_lo, exec_lo, s2
	s_cbranch_vccz .LBB39_205
; %bb.204:
	global_load_u8 v3, v[1:2], off
	s_waitcnt vmcnt(0)
	v_lshlrev_b32_e32 v3, 24, v3
	s_delay_alu instid0(VALU_DEP_1) | instskip(NEXT) | instid1(VALU_DEP_1)
	v_and_b32_e32 v4, 0x7f000000, v3
	v_clz_i32_u32_e32 v6, v4
	v_add_nc_u32_e32 v9, 0x1000000, v4
	v_cmp_ne_u32_e32 vcc_lo, 0, v4
	s_delay_alu instid0(VALU_DEP_3) | instskip(NEXT) | instid1(VALU_DEP_1)
	v_min_u32_e32 v6, 32, v6
	v_sub_nc_u32_e64 v6, v6, 4 clamp
	s_delay_alu instid0(VALU_DEP_1) | instskip(SKIP_1) | instid1(VALU_DEP_2)
	v_lshlrev_b32_e32 v8, v6, v4
	v_lshlrev_b32_e32 v6, 23, v6
	v_lshrrev_b32_e32 v8, 4, v8
	s_delay_alu instid0(VALU_DEP_1) | instskip(SKIP_1) | instid1(VALU_DEP_2)
	v_sub_nc_u32_e32 v6, v8, v6
	v_ashrrev_i32_e32 v8, 8, v9
	v_add_nc_u32_e32 v6, 0x3c000000, v6
	s_delay_alu instid0(VALU_DEP_1) | instskip(NEXT) | instid1(VALU_DEP_1)
	v_and_or_b32 v6, 0x7f800000, v8, v6
	v_cndmask_b32_e32 v4, 0, v6, vcc_lo
	s_delay_alu instid0(VALU_DEP_1)
	v_and_or_b32 v3, 0x80000000, v3, v4
.LBB39_205:
	s_mov_b32 s2, 0
.LBB39_206:
	s_delay_alu instid0(SALU_CYCLE_1)
	s_and_not1_b32 vcc_lo, exec_lo, s2
	s_cbranch_vccnz .LBB39_208
; %bb.207:
	global_load_u8 v3, v[1:2], off
	s_waitcnt vmcnt(0)
	v_lshlrev_b32_e32 v4, 25, v3
	v_lshlrev_b16 v3, 8, v3
	s_delay_alu instid0(VALU_DEP_2) | instskip(NEXT) | instid1(VALU_DEP_2)
	v_lshrrev_b32_e32 v6, 4, v4
	v_and_or_b32 v8, 0x7f00, v3, 0.5
	v_cmp_gt_u32_e32 vcc_lo, 0x8000000, v4
	v_bfe_i32 v3, v3, 0, 16
	s_delay_alu instid0(VALU_DEP_4) | instskip(NEXT) | instid1(VALU_DEP_4)
	v_or_b32_e32 v6, 0x70000000, v6
	v_add_f32_e32 v8, -0.5, v8
	s_delay_alu instid0(VALU_DEP_2) | instskip(NEXT) | instid1(VALU_DEP_1)
	v_mul_f32_e32 v6, 0x7800000, v6
	v_cndmask_b32_e32 v4, v6, v8, vcc_lo
	s_delay_alu instid0(VALU_DEP_1)
	v_and_or_b32 v3, 0x80000000, v3, v4
.LBB39_208:
	s_mov_b32 s26, 0
	s_mov_b32 s2, -1
.LBB39_209:
	s_and_not1_b32 vcc_lo, exec_lo, s26
	s_cbranch_vccnz .LBB39_222
; %bb.210:
	v_cmp_lt_i16_e32 vcc_lo, 14, v5
	s_cbranch_vccz .LBB39_213
; %bb.211:
	v_cmp_eq_u16_e32 vcc_lo, 15, v5
	s_cbranch_vccz .LBB39_216
; %bb.212:
	global_load_u16 v3, v[1:2], off
	s_mov_b32 s2, -1
	s_mov_b32 s28, 0
	s_waitcnt vmcnt(0)
	v_lshlrev_b32_e32 v3, 16, v3
	s_branch .LBB39_217
.LBB39_213:
	s_mov_b32 s26, -1
                                        ; implicit-def: $vgpr3
	s_branch .LBB39_218
.LBB39_214:
	s_or_saveexec_b32 s27, s27
	v_mov_b32_e32 v3, s26
	s_xor_b32 exec_lo, exec_lo, s27
	s_cbranch_execz .LBB39_195
.LBB39_215:
	v_cmp_ne_u16_e32 vcc_lo, 0, v4
	v_mov_b32_e32 v3, 0
	s_and_not1_b32 s2, s2, exec_lo
	s_and_b32 s26, vcc_lo, exec_lo
	s_delay_alu instid0(SALU_CYCLE_1)
	s_or_b32 s2, s2, s26
	s_or_b32 exec_lo, exec_lo, s27
	s_and_saveexec_b32 s26, s2
	s_cbranch_execnz .LBB39_196
	s_branch .LBB39_197
.LBB39_216:
	s_mov_b32 s28, -1
                                        ; implicit-def: $vgpr3
.LBB39_217:
	s_mov_b32 s26, 0
.LBB39_218:
	s_delay_alu instid0(SALU_CYCLE_1)
	s_and_b32 vcc_lo, exec_lo, s26
	s_cbranch_vccz .LBB39_222
; %bb.219:
	v_cmp_eq_u16_e32 vcc_lo, 11, v5
	s_cbranch_vccz .LBB39_221
; %bb.220:
	global_load_u8 v3, v[1:2], off
	s_mov_b32 s28, 0
	s_mov_b32 s2, -1
	s_waitcnt vmcnt(0)
	v_cmp_ne_u16_e32 vcc_lo, 0, v3
	v_cndmask_b32_e64 v3, 0, 1.0, vcc_lo
	s_branch .LBB39_222
.LBB39_221:
	s_mov_b32 s28, -1
                                        ; implicit-def: $vgpr3
.LBB39_222:
	s_branch .LBB39_23
.LBB39_223:
	v_cmp_gt_i16_e32 vcc_lo, 5, v5
	s_cbranch_vccnz .LBB39_228
; %bb.224:
	v_cmp_gt_i16_e32 vcc_lo, 8, v5
	s_cbranch_vccnz .LBB39_229
; %bb.225:
	;; [unrolled: 3-line block ×3, first 2 shown]
	v_cmp_lt_i16_e32 vcc_lo, 9, v5
	s_cbranch_vccz .LBB39_231
; %bb.227:
	global_load_b64 v[3:4], v[1:2], off
	s_mov_b32 s2, 0
	s_waitcnt vmcnt(0)
	v_cvt_f32_f64_e32 v3, v[3:4]
	s_branch .LBB39_232
.LBB39_228:
                                        ; implicit-def: $vgpr3
	s_branch .LBB39_250
.LBB39_229:
	s_mov_b32 s2, -1
                                        ; implicit-def: $vgpr3
	s_branch .LBB39_238
.LBB39_230:
	s_mov_b32 s2, -1
                                        ; implicit-def: $vgpr3
	s_branch .LBB39_235
.LBB39_231:
	s_mov_b32 s2, -1
                                        ; implicit-def: $vgpr3
.LBB39_232:
	s_delay_alu instid0(SALU_CYCLE_1)
	s_and_not1_b32 vcc_lo, exec_lo, s2
	s_cbranch_vccnz .LBB39_234
; %bb.233:
	global_load_b32 v3, v[1:2], off
.LBB39_234:
	s_mov_b32 s2, 0
.LBB39_235:
	s_delay_alu instid0(SALU_CYCLE_1)
	s_and_not1_b32 vcc_lo, exec_lo, s2
	s_cbranch_vccnz .LBB39_237
; %bb.236:
	global_load_b32 v3, v[1:2], off
	s_waitcnt vmcnt(0)
	v_cvt_f32_f16_e32 v3, v3
.LBB39_237:
	s_mov_b32 s2, 0
.LBB39_238:
	s_delay_alu instid0(SALU_CYCLE_1)
	s_and_not1_b32 vcc_lo, exec_lo, s2
	s_cbranch_vccnz .LBB39_249
; %bb.239:
	v_cmp_gt_i16_e32 vcc_lo, 6, v5
	s_cbranch_vccnz .LBB39_242
; %bb.240:
	v_cmp_lt_i16_e32 vcc_lo, 6, v5
	s_cbranch_vccz .LBB39_243
; %bb.241:
	global_load_b64 v[3:4], v[1:2], off
	s_mov_b32 s2, 0
	s_waitcnt vmcnt(0)
	v_cvt_f32_f64_e32 v3, v[3:4]
	s_branch .LBB39_244
.LBB39_242:
	s_mov_b32 s2, -1
                                        ; implicit-def: $vgpr3
	s_branch .LBB39_247
.LBB39_243:
	s_mov_b32 s2, -1
                                        ; implicit-def: $vgpr3
.LBB39_244:
	s_delay_alu instid0(SALU_CYCLE_1)
	s_and_not1_b32 vcc_lo, exec_lo, s2
	s_cbranch_vccnz .LBB39_246
; %bb.245:
	global_load_b32 v3, v[1:2], off
.LBB39_246:
	s_mov_b32 s2, 0
.LBB39_247:
	s_delay_alu instid0(SALU_CYCLE_1)
	s_and_not1_b32 vcc_lo, exec_lo, s2
	s_cbranch_vccnz .LBB39_249
; %bb.248:
	global_load_u16 v3, v[1:2], off
	s_waitcnt vmcnt(0)
	v_cvt_f32_f16_e32 v3, v3
.LBB39_249:
	s_cbranch_execnz .LBB39_269
.LBB39_250:
	v_cmp_gt_i16_e32 vcc_lo, 2, v5
	s_cbranch_vccnz .LBB39_254
; %bb.251:
	v_cmp_gt_i16_e32 vcc_lo, 3, v5
	s_cbranch_vccnz .LBB39_255
; %bb.252:
	v_cmp_lt_i16_e32 vcc_lo, 3, v5
	s_cbranch_vccz .LBB39_256
; %bb.253:
	global_load_b64 v[3:4], v[1:2], off
	s_mov_b32 s2, 0
	s_waitcnt vmcnt(0)
	v_xor_b32_e32 v6, v3, v4
	v_cls_i32_e32 v8, v4
	s_delay_alu instid0(VALU_DEP_2) | instskip(NEXT) | instid1(VALU_DEP_2)
	v_ashrrev_i32_e32 v6, 31, v6
	v_add_nc_u32_e32 v8, -1, v8
	s_delay_alu instid0(VALU_DEP_2) | instskip(NEXT) | instid1(VALU_DEP_1)
	v_add_nc_u32_e32 v6, 32, v6
	v_min_u32_e32 v6, v8, v6
	s_delay_alu instid0(VALU_DEP_1) | instskip(NEXT) | instid1(VALU_DEP_1)
	v_lshlrev_b64 v[3:4], v6, v[3:4]
	v_min_u32_e32 v3, 1, v3
	s_delay_alu instid0(VALU_DEP_1) | instskip(SKIP_1) | instid1(VALU_DEP_2)
	v_or_b32_e32 v3, v4, v3
	v_sub_nc_u32_e32 v4, 32, v6
	v_cvt_f32_i32_e32 v3, v3
	s_delay_alu instid0(VALU_DEP_1)
	v_ldexp_f32 v3, v3, v4
	s_branch .LBB39_257
.LBB39_254:
	s_mov_b32 s2, -1
                                        ; implicit-def: $vgpr3
	s_branch .LBB39_263
.LBB39_255:
	s_mov_b32 s2, -1
                                        ; implicit-def: $vgpr3
	s_branch .LBB39_260
.LBB39_256:
	s_mov_b32 s2, -1
                                        ; implicit-def: $vgpr3
.LBB39_257:
	s_delay_alu instid0(SALU_CYCLE_1)
	s_and_not1_b32 vcc_lo, exec_lo, s2
	s_cbranch_vccnz .LBB39_259
; %bb.258:
	global_load_b32 v3, v[1:2], off
	s_waitcnt vmcnt(0)
	v_cvt_f32_i32_e32 v3, v3
.LBB39_259:
	s_mov_b32 s2, 0
.LBB39_260:
	s_delay_alu instid0(SALU_CYCLE_1)
	s_and_not1_b32 vcc_lo, exec_lo, s2
	s_cbranch_vccnz .LBB39_262
; %bb.261:
	global_load_i16 v3, v[1:2], off
	s_waitcnt vmcnt(0)
	v_cvt_f32_i32_e32 v3, v3
.LBB39_262:
	s_mov_b32 s2, 0
.LBB39_263:
	s_delay_alu instid0(SALU_CYCLE_1)
	s_and_not1_b32 vcc_lo, exec_lo, s2
	s_cbranch_vccnz .LBB39_269
; %bb.264:
	v_cmp_lt_i16_e32 vcc_lo, 0, v5
	s_mov_b32 s2, 0
	s_cbranch_vccz .LBB39_266
; %bb.265:
	global_load_i8 v3, v[1:2], off
	s_waitcnt vmcnt(0)
	v_cvt_f32_i32_e32 v3, v3
	s_branch .LBB39_267
.LBB39_266:
	s_mov_b32 s2, -1
                                        ; implicit-def: $vgpr3
.LBB39_267:
	s_delay_alu instid0(SALU_CYCLE_1)
	s_and_not1_b32 vcc_lo, exec_lo, s2
	s_cbranch_vccnz .LBB39_269
; %bb.268:
	global_load_u8 v1, v[1:2], off
	s_waitcnt vmcnt(0)
	v_cvt_f32_ubyte0_e32 v3, v1
.LBB39_269:
	s_branch .LBB39_24
.LBB39_270:
	s_mov_b32 s2, 0
.LBB39_271:
	s_mov_b32 s26, 0
                                        ; implicit-def: $vgpr7
.LBB39_272:
	s_and_b32 s42, s2, exec_lo
	s_and_b32 s43, s28, exec_lo
	s_or_not1_b32 s26, s26, exec_lo
.LBB39_273:
	s_or_b32 exec_lo, exec_lo, s44
	s_mov_b32 s27, 0
	s_mov_b32 s2, 0
                                        ; implicit-def: $vgpr1_vgpr2
                                        ; implicit-def: $vgpr0
                                        ; implicit-def: $vgpr6
	s_and_saveexec_b32 s44, s26
	s_cbranch_execz .LBB39_936
; %bb.274:
	s_mov_b32 s2, -1
	s_mov_b32 s45, s43
	s_mov_b32 s46, s42
	s_mov_b32 s47, exec_lo
	v_cmpx_gt_i32_e64 s39, v7
	s_cbranch_execz .LBB39_553
; %bb.275:
	s_and_not1_b32 vcc_lo, exec_lo, s34
	s_cbranch_vccnz .LBB39_280
; %bb.276:
	v_dual_mov_b32 v0, 0 :: v_dual_mov_b32 v1, 0
	s_and_not1_b32 vcc_lo, exec_lo, s41
	s_mov_b32 s2, 0
	s_cbranch_vccnz .LBB39_285
; %bb.277:
	v_mov_b32_e32 v0, 0
	s_add_i32 s46, s40, 1
	s_cmp_eq_u32 s31, 2
	s_mov_b32 s45, 0
	s_cbranch_scc1 .LBB39_281
; %bb.278:
	v_dual_mov_b32 v1, 0 :: v_dual_mov_b32 v0, 0
	v_mov_b32_e32 v2, v7
	s_and_b32 s45, s46, 28
	s_mov_b32 s48, 0
	s_mov_b64 s[26:27], s[24:25]
	s_mov_b64 s[28:29], s[16:17]
.LBB39_279:                             ; =>This Inner Loop Header: Depth=1
	s_clause 0x1
	s_load_b256 s[52:59], s[28:29], 0x4
	s_load_b128 s[68:71], s[28:29], 0x24
	s_load_b256 s[60:67], s[26:27], 0x0
	s_add_u32 s28, s28, 48
	s_addc_u32 s29, s29, 0
	s_add_i32 s48, s48, 4
	s_add_u32 s26, s26, 32
	s_addc_u32 s27, s27, 0
	s_cmp_eq_u32 s45, s48
	s_waitcnt vmcnt(0) lgkmcnt(0)
	v_mul_hi_u32 v3, s53, v2
	s_delay_alu instid0(VALU_DEP_1) | instskip(NEXT) | instid1(VALU_DEP_1)
	v_add_nc_u32_e32 v3, v2, v3
	v_lshrrev_b32_e32 v3, s54, v3
	s_delay_alu instid0(VALU_DEP_1) | instskip(SKIP_1) | instid1(VALU_DEP_2)
	v_mul_hi_u32 v4, s56, v3
	v_mul_lo_u32 v8, v3, s52
	v_add_nc_u32_e32 v4, v3, v4
	s_delay_alu instid0(VALU_DEP_2) | instskip(NEXT) | instid1(VALU_DEP_2)
	v_sub_nc_u32_e32 v2, v2, v8
	v_lshrrev_b32_e32 v4, s57, v4
	s_delay_alu instid0(VALU_DEP_2) | instskip(SKIP_1) | instid1(VALU_DEP_3)
	v_mul_lo_u32 v8, v2, s60
	v_mul_lo_u32 v10, v2, s61
	v_mul_hi_u32 v6, s59, v4
	s_delay_alu instid0(VALU_DEP_1) | instskip(NEXT) | instid1(VALU_DEP_1)
	v_add_nc_u32_e32 v6, v4, v6
	v_lshrrev_b32_e32 v6, s68, v6
	s_delay_alu instid0(VALU_DEP_1) | instskip(SKIP_1) | instid1(VALU_DEP_2)
	v_mul_hi_u32 v9, s70, v6
	v_mul_lo_u32 v11, v6, s58
	v_add_nc_u32_e32 v2, v6, v9
	v_mul_lo_u32 v9, v4, s55
	s_delay_alu instid0(VALU_DEP_3) | instskip(NEXT) | instid1(VALU_DEP_3)
	v_sub_nc_u32_e32 v4, v4, v11
	v_lshrrev_b32_e32 v2, s71, v2
	s_delay_alu instid0(VALU_DEP_2) | instskip(SKIP_2) | instid1(VALU_DEP_4)
	v_mul_lo_u32 v11, v4, s64
	v_mul_lo_u32 v4, v4, s65
	v_sub_nc_u32_e32 v3, v3, v9
	v_mul_lo_u32 v12, v2, s69
	s_delay_alu instid0(VALU_DEP_2) | instskip(SKIP_1) | instid1(VALU_DEP_3)
	v_mul_lo_u32 v9, v3, s62
	v_mul_lo_u32 v3, v3, s63
	v_sub_nc_u32_e32 v6, v6, v12
	s_delay_alu instid0(VALU_DEP_3) | instskip(NEXT) | instid1(VALU_DEP_2)
	v_add3_u32 v0, v8, v0, v9
	v_mul_lo_u32 v12, v6, s66
	v_mul_lo_u32 v6, v6, s67
	v_add3_u32 v1, v10, v1, v3
	s_delay_alu instid0(VALU_DEP_3) | instskip(NEXT) | instid1(VALU_DEP_2)
	v_add3_u32 v0, v11, v0, v12
	v_add3_u32 v1, v4, v1, v6
	s_cbranch_scc0 .LBB39_279
	s_branch .LBB39_282
.LBB39_280:
                                        ; implicit-def: $vgpr0
                                        ; implicit-def: $vgpr1
	s_branch .LBB39_285
.LBB39_281:
	v_dual_mov_b32 v2, v7 :: v_dual_mov_b32 v1, 0
.LBB39_282:
	s_and_b32 s46, s46, 3
	s_delay_alu instid0(SALU_CYCLE_1)
	s_cmp_eq_u32 s46, 0
	s_cbranch_scc1 .LBB39_285
; %bb.283:
	s_lshl_b32 s26, s45, 3
	s_mul_i32 s28, s45, 12
	s_add_u32 s26, s26, s16
	s_addc_u32 s27, s17, 0
	s_add_u32 s26, s26, 0xc4
	s_addc_u32 s27, s27, 0
	;; [unrolled: 2-line block ×3, first 2 shown]
	.p2align	6
.LBB39_284:                             ; =>This Inner Loop Header: Depth=1
	s_clause 0x1
	s_load_b64 s[48:49], s[28:29], 0x4
	s_load_b32 s45, s[28:29], 0xc
	s_load_b64 s[50:51], s[26:27], 0x0
	s_add_u32 s28, s28, 12
	s_addc_u32 s29, s29, 0
	s_add_u32 s26, s26, 8
	s_addc_u32 s27, s27, 0
	s_add_i32 s46, s46, -1
	s_delay_alu instid0(SALU_CYCLE_1) | instskip(SKIP_2) | instid1(VALU_DEP_1)
	s_cmp_lg_u32 s46, 0
	s_waitcnt vmcnt(0) lgkmcnt(0)
	v_mul_hi_u32 v3, s49, v2
	v_add_nc_u32_e32 v3, v2, v3
	s_delay_alu instid0(VALU_DEP_1) | instskip(NEXT) | instid1(VALU_DEP_1)
	v_lshrrev_b32_e32 v6, s45, v3
	v_mul_lo_u32 v3, v6, s48
	s_delay_alu instid0(VALU_DEP_1) | instskip(NEXT) | instid1(VALU_DEP_1)
	v_sub_nc_u32_e32 v2, v2, v3
	v_mad_u64_u32 v[3:4], null, v2, s50, v[0:1]
	v_mad_u64_u32 v[8:9], null, v2, s51, v[1:2]
	v_mov_b32_e32 v2, v6
	s_delay_alu instid0(VALU_DEP_2)
	v_dual_mov_b32 v0, v3 :: v_dual_mov_b32 v1, v8
	s_cbranch_scc1 .LBB39_284
.LBB39_285:
	s_and_not1_b32 vcc_lo, exec_lo, s2
	s_cbranch_vccnz .LBB39_288
; %bb.286:
	v_mul_hi_u32 v0, s9, v7
	s_and_not1_b32 vcc_lo, exec_lo, s38
	s_delay_alu instid0(VALU_DEP_1) | instskip(NEXT) | instid1(VALU_DEP_1)
	v_add_nc_u32_e32 v0, v7, v0
	v_lshrrev_b32_e32 v2, s10, v0
	s_delay_alu instid0(VALU_DEP_1) | instskip(NEXT) | instid1(VALU_DEP_1)
	v_mul_lo_u32 v0, v2, s8
	v_sub_nc_u32_e32 v1, v7, v0
	s_delay_alu instid0(VALU_DEP_1)
	v_mul_lo_u32 v0, v1, s12
	v_mul_lo_u32 v1, v1, s13
	s_cbranch_vccnz .LBB39_288
; %bb.287:
	s_waitcnt vmcnt(0)
	v_mul_hi_u32 v3, s22, v2
	s_delay_alu instid0(VALU_DEP_1) | instskip(NEXT) | instid1(VALU_DEP_1)
	v_add_nc_u32_e32 v3, v2, v3
	v_lshrrev_b32_e32 v3, s23, v3
	s_delay_alu instid0(VALU_DEP_1) | instskip(NEXT) | instid1(VALU_DEP_1)
	v_mul_lo_u32 v3, v3, s11
	v_sub_nc_u32_e32 v6, v2, v3
	s_delay_alu instid0(VALU_DEP_1) | instskip(NEXT) | instid1(VALU_DEP_1)
	v_mad_u64_u32 v[2:3], null, v6, s14, v[0:1]
	v_mad_u64_u32 v[3:4], null, v6, s15, v[1:2]
	s_delay_alu instid0(VALU_DEP_1)
	v_dual_mov_b32 v0, v2 :: v_dual_mov_b32 v1, v3
.LBB39_288:
	v_cmp_gt_i16_e32 vcc_lo, 11, v5
	s_delay_alu instid0(VALU_DEP_2) | instskip(NEXT) | instid1(VALU_DEP_1)
	v_add_co_u32 v1, s2, s6, v1
	v_add_co_ci_u32_e64 v2, null, s7, 0, s2
	s_mov_b32 s2, 0
	s_cbranch_vccnz .LBB39_295
; %bb.289:
	v_cmp_lt_i16_e32 vcc_lo, 25, v5
	s_cbranch_vccz .LBB39_304
; %bb.290:
	v_cmp_lt_i16_e32 vcc_lo, 28, v5
	s_cbranch_vccz .LBB39_305
	;; [unrolled: 3-line block ×4, first 2 shown]
; %bb.293:
	v_cmp_eq_u16_e32 vcc_lo, 46, v5
	s_mov_b32 s26, 0
	s_cbranch_vccz .LBB39_363
; %bb.294:
	global_load_b32 v3, v[1:2], off
	s_mov_b32 s2, -1
	s_mov_b32 s28, 0
	s_waitcnt vmcnt(0)
	v_lshlrev_b32_e32 v3, 16, v3
	s_branch .LBB39_365
.LBB39_295:
	s_mov_b32 s28, s43
                                        ; implicit-def: $vgpr3
	s_cbranch_execnz .LBB39_502
.LBB39_296:
	s_and_not1_b32 vcc_lo, exec_lo, s2
	s_cbranch_vccnz .LBB39_550
.LBB39_297:
	v_mov_b32_e32 v1, 0
	s_and_not1_b32 vcc_lo, exec_lo, s37
	s_cbranch_vccnz .LBB39_310
; %bb.298:
	v_cmp_lt_i64_e64 s2, s[20:21], 1
	v_mov_b32_e32 v1, 1.0
	s_delay_alu instid0(VALU_DEP_2)
	s_and_b32 vcc_lo, exec_lo, s2
	s_cbranch_vccnz .LBB39_310
; %bb.299:
	s_cmp_lg_u64 s[20:21], 1
	s_cbranch_scc0 .LBB39_307
; %bb.300:
	v_mov_b32_e32 v1, 0x7fc00000
	s_and_not1_b32 vcc_lo, exec_lo, s36
	s_cbranch_vccnz .LBB39_303
; %bb.301:
	s_waitcnt vmcnt(0)
	v_add_f32_e32 v2, v3, v3
	v_mov_b32_e32 v4, 1.0
	s_mov_b64 s[26:27], 2
	s_delay_alu instid0(VALU_DEP_2)
	v_mov_b32_e32 v1, v2
.LBB39_302:                             ; =>This Inner Loop Header: Depth=1
	s_clz_i32_u32 s2, s27
	s_delay_alu instid0(SALU_CYCLE_1) | instskip(NEXT) | instid1(SALU_CYCLE_1)
	s_min_u32 s2, s2, 32
	s_lshl_b64 s[48:49], s[26:27], s2
	s_sub_i32 s2, 32, s2
	s_min_u32 s29, s48, 1
	s_delay_alu instid0(SALU_CYCLE_1) | instskip(SKIP_3) | instid1(VALU_DEP_1)
	s_or_b32 s29, s49, s29
	s_add_u32 s26, s26, 2
	v_cvt_f32_u32_e32 v6, s29
	s_addc_u32 s27, s27, 0
	v_ldexp_f32 v6, v6, s2
	v_cmp_lt_u64_e64 s2, s[26:27], s[18:19]
	s_delay_alu instid0(VALU_DEP_2) | instskip(SKIP_1) | instid1(VALU_DEP_3)
	v_mul_f32_e32 v6, v4, v6
	v_mov_b32_e32 v4, v1
	s_and_b32 vcc_lo, exec_lo, s2
	s_delay_alu instid0(VALU_DEP_2)
	v_fma_f32 v1, v2, v1, -v6
	s_cbranch_vccnz .LBB39_302
.LBB39_303:
	s_mov_b32 s2, 0
	s_branch .LBB39_308
.LBB39_304:
	s_mov_b32 s26, -1
	s_mov_b32 s28, s43
                                        ; implicit-def: $vgpr3
	s_branch .LBB39_466
.LBB39_305:
	s_mov_b32 s26, -1
	s_mov_b32 s28, s43
                                        ; implicit-def: $vgpr3
	s_branch .LBB39_447
.LBB39_306:
	s_mov_b32 s26, -1
	s_mov_b32 s28, s43
                                        ; implicit-def: $vgpr3
	s_branch .LBB39_442
.LBB39_307:
	s_mov_b32 s2, -1
                                        ; implicit-def: $vgpr1
.LBB39_308:
	s_delay_alu instid0(SALU_CYCLE_1)
	s_and_not1_b32 vcc_lo, exec_lo, s2
	s_cbranch_vccnz .LBB39_310
; %bb.309:
	s_waitcnt vmcnt(0)
	s_delay_alu instid0(VALU_DEP_4)
	v_add_f32_e32 v1, v3, v3
.LBB39_310:
	v_and_b32_e64 v6, 0xff, s3
	s_waitcnt vmcnt(0)
	v_add_co_u32 v3, s2, s4, v0
	s_delay_alu instid0(VALU_DEP_1) | instskip(NEXT) | instid1(VALU_DEP_3)
	v_add_co_ci_u32_e64 v4, null, s5, 0, s2
	v_cmp_gt_i16_e32 vcc_lo, 11, v6
	s_mov_b32 s26, 0
	s_mov_b32 s27, -1
	s_mov_b32 s2, s42
	s_cbranch_vccnz .LBB39_317
; %bb.311:
	v_cmp_lt_i16_e32 vcc_lo, 25, v6
	s_cbranch_vccz .LBB39_357
; %bb.312:
	v_cmp_lt_i16_e32 vcc_lo, 28, v6
	s_cbranch_vccz .LBB39_358
	;; [unrolled: 3-line block ×4, first 2 shown]
; %bb.315:
	v_cmp_eq_u16_e32 vcc_lo, 46, v6
	s_mov_b32 s27, 0
	s_mov_b32 s2, -1
	s_cbranch_vccz .LBB39_369
; %bb.316:
	v_bfe_u32 v0, v1, 16, 1
	v_cmp_o_f32_e32 vcc_lo, v1, v1
	s_mov_b32 s26, -1
	s_mov_b32 s2, 0
	s_delay_alu instid0(VALU_DEP_2) | instskip(NEXT) | instid1(VALU_DEP_1)
	v_add3_u32 v0, v1, v0, 0x7fff
	v_lshrrev_b32_e32 v0, 16, v0
	s_delay_alu instid0(VALU_DEP_1)
	v_cndmask_b32_e32 v0, 0x7fc0, v0, vcc_lo
	global_store_b32 v[3:4], v0, off
	s_branch .LBB39_369
.LBB39_317:
	s_and_b32 vcc_lo, exec_lo, s27
	s_cbranch_vccz .LBB39_438
; %bb.318:
	v_cmp_gt_i16_e32 vcc_lo, 5, v6
	s_mov_b32 s26, -1
	s_cbranch_vccnz .LBB39_339
; %bb.319:
	v_cmp_gt_i16_e32 vcc_lo, 8, v6
	s_cbranch_vccnz .LBB39_329
; %bb.320:
	v_cmp_gt_i16_e32 vcc_lo, 9, v6
	s_cbranch_vccnz .LBB39_326
; %bb.321:
	v_cmp_lt_i16_e32 vcc_lo, 9, v6
	s_cbranch_vccz .LBB39_323
; %bb.322:
	v_cvt_f64_f32_e32 v[8:9], v1
	v_mov_b32_e32 v10, 0
	s_mov_b32 s26, 0
	s_delay_alu instid0(VALU_DEP_1)
	v_mov_b32_e32 v11, v10
	global_store_b128 v[3:4], v[8:11], off
.LBB39_323:
	s_and_not1_b32 vcc_lo, exec_lo, s26
	s_cbranch_vccnz .LBB39_325
; %bb.324:
	v_mov_b32_e32 v2, 0
	global_store_b64 v[3:4], v[1:2], off
.LBB39_325:
	s_mov_b32 s26, 0
.LBB39_326:
	s_delay_alu instid0(SALU_CYCLE_1)
	s_and_not1_b32 vcc_lo, exec_lo, s26
	s_cbranch_vccnz .LBB39_328
; %bb.327:
	v_cvt_f16_f32_e32 v0, v1
	s_delay_alu instid0(VALU_DEP_1)
	v_and_b32_e32 v0, 0xffff, v0
	global_store_b32 v[3:4], v0, off
.LBB39_328:
	s_mov_b32 s26, 0
.LBB39_329:
	s_delay_alu instid0(SALU_CYCLE_1)
	s_and_not1_b32 vcc_lo, exec_lo, s26
	s_cbranch_vccnz .LBB39_338
; %bb.330:
	v_cmp_gt_i16_e32 vcc_lo, 6, v6
	s_mov_b32 s26, -1
	s_cbranch_vccnz .LBB39_336
; %bb.331:
	v_cmp_lt_i16_e32 vcc_lo, 6, v6
	s_cbranch_vccz .LBB39_333
; %bb.332:
	v_cvt_f64_f32_e32 v[8:9], v1
	s_mov_b32 s26, 0
	global_store_b64 v[3:4], v[8:9], off
.LBB39_333:
	s_and_not1_b32 vcc_lo, exec_lo, s26
	s_cbranch_vccnz .LBB39_335
; %bb.334:
	global_store_b32 v[3:4], v1, off
.LBB39_335:
	s_mov_b32 s26, 0
.LBB39_336:
	s_delay_alu instid0(SALU_CYCLE_1)
	s_and_not1_b32 vcc_lo, exec_lo, s26
	s_cbranch_vccnz .LBB39_338
; %bb.337:
	v_cvt_f16_f32_e32 v0, v1
	global_store_b16 v[3:4], v0, off
.LBB39_338:
	s_mov_b32 s26, 0
.LBB39_339:
	s_delay_alu instid0(SALU_CYCLE_1)
	s_and_not1_b32 vcc_lo, exec_lo, s26
	s_cbranch_vccnz .LBB39_355
; %bb.340:
	v_cmp_gt_i16_e32 vcc_lo, 2, v6
	s_mov_b32 s26, -1
	s_cbranch_vccnz .LBB39_350
; %bb.341:
	v_cmp_gt_i16_e32 vcc_lo, 3, v6
	s_cbranch_vccnz .LBB39_347
; %bb.342:
	v_cmp_lt_i16_e32 vcc_lo, 3, v6
	s_cbranch_vccz .LBB39_344
; %bb.343:
	v_trunc_f32_e32 v0, v1
	s_mov_b32 s26, 0
	s_delay_alu instid0(VALU_DEP_1) | instskip(NEXT) | instid1(VALU_DEP_1)
	v_mul_f32_e64 v2, 0x2f800000, |v0|
	v_floor_f32_e32 v2, v2
	s_delay_alu instid0(VALU_DEP_1) | instskip(SKIP_2) | instid1(VALU_DEP_3)
	v_fma_f32 v8, 0xcf800000, v2, |v0|
	v_ashrrev_i32_e32 v0, 31, v0
	v_cvt_u32_f32_e32 v2, v2
	v_cvt_u32_f32_e32 v8, v8
	s_delay_alu instid0(VALU_DEP_2) | instskip(NEXT) | instid1(VALU_DEP_2)
	v_xor_b32_e32 v2, v2, v0
	v_xor_b32_e32 v8, v8, v0
	s_delay_alu instid0(VALU_DEP_1) | instskip(NEXT) | instid1(VALU_DEP_3)
	v_sub_co_u32 v8, vcc_lo, v8, v0
	v_sub_co_ci_u32_e32 v9, vcc_lo, v2, v0, vcc_lo
	global_store_b64 v[3:4], v[8:9], off
.LBB39_344:
	s_and_not1_b32 vcc_lo, exec_lo, s26
	s_cbranch_vccnz .LBB39_346
; %bb.345:
	v_cvt_i32_f32_e32 v0, v1
	global_store_b32 v[3:4], v0, off
.LBB39_346:
	s_mov_b32 s26, 0
.LBB39_347:
	s_delay_alu instid0(SALU_CYCLE_1)
	s_and_not1_b32 vcc_lo, exec_lo, s26
	s_cbranch_vccnz .LBB39_349
; %bb.348:
	v_cvt_i32_f32_e32 v0, v1
	global_store_b16 v[3:4], v0, off
.LBB39_349:
	s_mov_b32 s26, 0
.LBB39_350:
	s_delay_alu instid0(SALU_CYCLE_1)
	s_and_not1_b32 vcc_lo, exec_lo, s26
	s_cbranch_vccnz .LBB39_355
; %bb.351:
	v_cmp_lt_i16_e32 vcc_lo, 0, v6
	s_mov_b32 s26, -1
	s_cbranch_vccz .LBB39_353
; %bb.352:
	v_cvt_i32_f32_e32 v0, v1
	s_mov_b32 s26, 0
	global_store_b8 v[3:4], v0, off
.LBB39_353:
	s_and_not1_b32 vcc_lo, exec_lo, s26
	s_cbranch_vccnz .LBB39_355
; %bb.354:
	v_trunc_f32_e32 v0, v1
	s_delay_alu instid0(VALU_DEP_1) | instskip(NEXT) | instid1(VALU_DEP_1)
	v_mul_f32_e64 v1, 0x2f800000, |v0|
	v_floor_f32_e32 v1, v1
	s_delay_alu instid0(VALU_DEP_1) | instskip(SKIP_1) | instid1(VALU_DEP_2)
	v_fma_f32 v1, 0xcf800000, v1, |v0|
	v_ashrrev_i32_e32 v0, 31, v0
	v_cvt_u32_f32_e32 v1, v1
	s_delay_alu instid0(VALU_DEP_1) | instskip(NEXT) | instid1(VALU_DEP_1)
	v_xor_b32_e32 v1, v1, v0
	v_sub_nc_u32_e32 v0, v1, v0
	global_store_b8 v[3:4], v0, off
.LBB39_355:
	s_branch .LBB39_439
.LBB39_356:
	s_mov_b32 s26, 0
	s_branch .LBB39_551
.LBB39_357:
	s_mov_b32 s2, s42
	s_branch .LBB39_396
.LBB39_358:
	s_mov_b32 s2, s42
	s_branch .LBB39_379
.LBB39_359:
	s_mov_b32 s26, -1
	s_mov_b32 s28, s43
	s_branch .LBB39_364
.LBB39_360:
	s_mov_b32 s2, s42
	s_branch .LBB39_375
.LBB39_361:
	s_or_saveexec_b32 s29, s29
                                        ; implicit-def: $sgpr42
	s_delay_alu instid0(SALU_CYCLE_1)
	s_xor_b32 exec_lo, exec_lo, s29
	s_cbranch_execz .LBB39_78
.LBB39_362:
	v_add_f32_e64 v0, 0x42800000, |v1|
	s_and_not1_b32 s27, s27, exec_lo
	s_mov_b32 s42, 0
	s_delay_alu instid0(VALU_DEP_1) | instskip(NEXT) | instid1(VALU_DEP_1)
	v_and_b32_e32 v0, 0xff, v0
	v_cmp_ne_u32_e32 vcc_lo, 0, v0
	s_and_b32 s43, vcc_lo, exec_lo
	s_delay_alu instid0(SALU_CYCLE_1)
	s_or_b32 s27, s27, s43
	s_or_b32 exec_lo, exec_lo, s29
	v_mov_b32_e32 v2, s42
	s_and_saveexec_b32 s29, s27
	s_cbranch_execnz .LBB39_79
	s_branch .LBB39_80
.LBB39_363:
	s_mov_b32 s28, -1
.LBB39_364:
                                        ; implicit-def: $vgpr3
.LBB39_365:
	s_and_b32 vcc_lo, exec_lo, s26
	s_cbranch_vccz .LBB39_441
; %bb.366:
	v_cmp_eq_u16_e32 vcc_lo, 44, v5
	s_cbranch_vccz .LBB39_440
; %bb.367:
	global_load_u8 v3, v[1:2], off
	s_mov_b32 s28, 0
	s_mov_b32 s2, -1
	s_waitcnt vmcnt(0)
	v_lshlrev_b32_e32 v4, 23, v3
	v_cmp_ne_u32_e32 vcc_lo, 0xff, v3
	s_delay_alu instid0(VALU_DEP_2) | instskip(SKIP_1) | instid1(VALU_DEP_2)
	v_cndmask_b32_e32 v4, 0x7f800001, v4, vcc_lo
	v_cmp_ne_u32_e32 vcc_lo, 0, v3
	v_cndmask_b32_e32 v3, 0x400000, v4, vcc_lo
	s_branch .LBB39_441
.LBB39_368:
	s_mov_b32 s2, s42
.LBB39_369:
	s_and_b32 vcc_lo, exec_lo, s27
	s_cbranch_vccz .LBB39_374
; %bb.370:
	v_cmp_eq_u16_e32 vcc_lo, 44, v6
	s_mov_b32 s2, -1
	s_cbranch_vccz .LBB39_374
; %bb.371:
	v_bfe_u32 v2, v1, 23, 8
	v_mov_b32_e32 v0, 0xff
	s_mov_b32 s26, exec_lo
	s_delay_alu instid0(VALU_DEP_2)
	v_cmpx_ne_u32_e32 0xff, v2
; %bb.372:
	v_and_b32_e32 v0, 0x400000, v1
	v_and_or_b32 v2, 0x3fffff, v1, v2
	s_delay_alu instid0(VALU_DEP_2) | instskip(NEXT) | instid1(VALU_DEP_2)
	v_cmp_ne_u32_e32 vcc_lo, 0, v0
	v_cmp_ne_u32_e64 s2, 0, v2
	v_lshrrev_b32_e32 v0, 23, v1
	s_delay_alu instid0(VALU_DEP_2) | instskip(NEXT) | instid1(SALU_CYCLE_1)
	s_and_b32 s2, vcc_lo, s2
	v_cndmask_b32_e64 v2, 0, 1, s2
	s_delay_alu instid0(VALU_DEP_1)
	v_add_nc_u32_e32 v0, v0, v2
; %bb.373:
	s_or_b32 exec_lo, exec_lo, s26
	s_mov_b32 s26, -1
	s_mov_b32 s2, 0
	global_store_b8 v[3:4], v0, off
.LBB39_374:
	s_mov_b32 s27, 0
.LBB39_375:
	s_delay_alu instid0(SALU_CYCLE_1)
	s_and_b32 vcc_lo, exec_lo, s27
	s_cbranch_vccz .LBB39_378
; %bb.376:
	v_cmp_eq_u16_e32 vcc_lo, 29, v6
	s_mov_b32 s2, -1
	s_cbranch_vccz .LBB39_378
; %bb.377:
	v_trunc_f32_e32 v0, v1
	s_mov_b32 s26, -1
	s_mov_b32 s2, 0
	s_mov_b32 s27, 0
	s_delay_alu instid0(VALU_DEP_1) | instskip(NEXT) | instid1(VALU_DEP_1)
	v_mul_f32_e32 v2, 0x2f800000, v0
	v_floor_f32_e32 v2, v2
	s_delay_alu instid0(VALU_DEP_1) | instskip(SKIP_1) | instid1(VALU_DEP_2)
	v_fmamk_f32 v0, v2, 0xcf800000, v0
	v_cvt_u32_f32_e32 v9, v2
	v_cvt_u32_f32_e32 v8, v0
	global_store_b64 v[3:4], v[8:9], off
	s_branch .LBB39_379
.LBB39_378:
	s_mov_b32 s27, 0
.LBB39_379:
	s_delay_alu instid0(SALU_CYCLE_1)
	s_and_b32 vcc_lo, exec_lo, s27
	s_cbranch_vccz .LBB39_395
; %bb.380:
	v_cmp_gt_i16_e32 vcc_lo, 27, v6
	s_mov_b32 s26, -1
	s_cbranch_vccnz .LBB39_386
; %bb.381:
	v_cmp_lt_i16_e32 vcc_lo, 27, v6
	s_cbranch_vccz .LBB39_383
; %bb.382:
	v_cvt_u32_f32_e32 v0, v1
	s_mov_b32 s26, 0
	global_store_b32 v[3:4], v0, off
.LBB39_383:
	s_and_not1_b32 vcc_lo, exec_lo, s26
	s_cbranch_vccnz .LBB39_385
; %bb.384:
	v_cvt_u32_f32_e32 v0, v1
	global_store_b16 v[3:4], v0, off
.LBB39_385:
	s_mov_b32 s26, 0
.LBB39_386:
	s_delay_alu instid0(SALU_CYCLE_1)
	s_and_not1_b32 vcc_lo, exec_lo, s26
	s_cbranch_vccnz .LBB39_394
; %bb.387:
	v_and_b32_e32 v0, 0x7fffffff, v1
	v_mov_b32_e32 v2, 0x80
	s_mov_b32 s26, exec_lo
	s_delay_alu instid0(VALU_DEP_2)
	v_cmpx_gt_u32_e32 0x43800000, v0
	s_cbranch_execz .LBB39_393
; %bb.388:
	v_cmp_lt_u32_e32 vcc_lo, 0x3bffffff, v0
	s_mov_b32 s27, 0
                                        ; implicit-def: $vgpr0
	s_and_saveexec_b32 s29, vcc_lo
	s_delay_alu instid0(SALU_CYCLE_1)
	s_xor_b32 s29, exec_lo, s29
	s_cbranch_execz .LBB39_579
; %bb.389:
	v_bfe_u32 v0, v1, 20, 1
	s_mov_b32 s27, exec_lo
	s_delay_alu instid0(VALU_DEP_1) | instskip(NEXT) | instid1(VALU_DEP_1)
	v_add3_u32 v0, v1, v0, 0x487ffff
	v_lshrrev_b32_e32 v0, 20, v0
	s_or_saveexec_b32 s29, s29
                                        ; implicit-def: $sgpr45
	s_delay_alu instid0(SALU_CYCLE_1)
	s_xor_b32 exec_lo, exec_lo, s29
	s_cbranch_execnz .LBB39_580
.LBB39_390:
	s_or_b32 exec_lo, exec_lo, s29
	v_mov_b32_e32 v2, s45
	s_and_saveexec_b32 s29, s27
.LBB39_391:
	v_lshrrev_b32_e32 v2, 24, v1
	s_delay_alu instid0(VALU_DEP_1)
	v_and_or_b32 v2, 0x80, v2, v0
.LBB39_392:
	s_or_b32 exec_lo, exec_lo, s29
.LBB39_393:
	s_delay_alu instid0(SALU_CYCLE_1)
	s_or_b32 exec_lo, exec_lo, s26
	global_store_b8 v[3:4], v2, off
.LBB39_394:
	s_mov_b32 s26, -1
.LBB39_395:
	s_mov_b32 s27, 0
.LBB39_396:
	s_delay_alu instid0(SALU_CYCLE_1)
	s_and_b32 vcc_lo, exec_lo, s27
	s_cbranch_vccz .LBB39_437
; %bb.397:
	v_cmp_lt_i16_e32 vcc_lo, 22, v6
	s_mov_b32 s27, -1
	s_cbranch_vccz .LBB39_429
; %bb.398:
	v_cmp_gt_i16_e32 vcc_lo, 24, v6
	s_mov_b32 s26, -1
	s_cbranch_vccnz .LBB39_418
; %bb.399:
	v_cmp_lt_i16_e32 vcc_lo, 24, v6
	s_cbranch_vccz .LBB39_407
; %bb.400:
	v_and_b32_e32 v0, 0x7fffffff, v1
	v_mov_b32_e32 v2, 0x80
	s_mov_b32 s26, exec_lo
	s_delay_alu instid0(VALU_DEP_2)
	v_cmpx_gt_u32_e32 0x47800000, v0
	s_cbranch_execz .LBB39_406
; %bb.401:
	v_cmp_lt_u32_e32 vcc_lo, 0x37ffffff, v0
	s_mov_b32 s27, 0
                                        ; implicit-def: $vgpr0
	s_and_saveexec_b32 s29, vcc_lo
	s_delay_alu instid0(SALU_CYCLE_1)
	s_xor_b32 s29, exec_lo, s29
	s_cbranch_execz .LBB39_582
; %bb.402:
	v_bfe_u32 v0, v1, 21, 1
	s_mov_b32 s27, exec_lo
	s_delay_alu instid0(VALU_DEP_1) | instskip(NEXT) | instid1(VALU_DEP_1)
	v_add3_u32 v0, v1, v0, 0x88fffff
	v_lshrrev_b32_e32 v0, 21, v0
	s_or_saveexec_b32 s29, s29
                                        ; implicit-def: $sgpr45
	s_delay_alu instid0(SALU_CYCLE_1)
	s_xor_b32 exec_lo, exec_lo, s29
	s_cbranch_execnz .LBB39_583
.LBB39_403:
	s_or_b32 exec_lo, exec_lo, s29
	v_mov_b32_e32 v2, s45
	s_and_saveexec_b32 s29, s27
.LBB39_404:
	v_lshrrev_b32_e32 v2, 24, v1
	s_delay_alu instid0(VALU_DEP_1)
	v_and_or_b32 v2, 0x80, v2, v0
.LBB39_405:
	s_or_b32 exec_lo, exec_lo, s29
.LBB39_406:
	s_delay_alu instid0(SALU_CYCLE_1)
	s_or_b32 exec_lo, exec_lo, s26
	s_mov_b32 s26, 0
	global_store_b8 v[3:4], v2, off
.LBB39_407:
	s_and_b32 vcc_lo, exec_lo, s26
	s_cbranch_vccz .LBB39_417
; %bb.408:
	v_and_b32_e32 v2, 0x7fffffff, v1
	s_mov_b32 s26, exec_lo
                                        ; implicit-def: $vgpr0
	s_delay_alu instid0(VALU_DEP_1)
	v_cmpx_gt_u32_e32 0x43f00000, v2
	s_xor_b32 s26, exec_lo, s26
	s_cbranch_execz .LBB39_414
; %bb.409:
	s_mov_b32 s27, exec_lo
                                        ; implicit-def: $vgpr0
	v_cmpx_lt_u32_e32 0x3c7fffff, v2
	s_xor_b32 s27, exec_lo, s27
; %bb.410:
	v_bfe_u32 v0, v1, 20, 1
	s_delay_alu instid0(VALU_DEP_1) | instskip(NEXT) | instid1(VALU_DEP_1)
	v_add3_u32 v0, v1, v0, 0x407ffff
	v_and_b32_e32 v2, 0xff00000, v0
	v_lshrrev_b32_e32 v0, 20, v0
	s_delay_alu instid0(VALU_DEP_2) | instskip(NEXT) | instid1(VALU_DEP_2)
	v_cmp_ne_u32_e32 vcc_lo, 0x7f00000, v2
	v_cndmask_b32_e32 v0, 0x7e, v0, vcc_lo
; %bb.411:
	s_and_not1_saveexec_b32 s27, s27
; %bb.412:
	v_add_f32_e64 v0, 0x46800000, |v1|
; %bb.413:
	s_or_b32 exec_lo, exec_lo, s27
                                        ; implicit-def: $vgpr2
.LBB39_414:
	s_and_not1_saveexec_b32 s26, s26
; %bb.415:
	v_mov_b32_e32 v0, 0x7f
	v_cmp_lt_u32_e32 vcc_lo, 0x7f800000, v2
	s_delay_alu instid0(VALU_DEP_2)
	v_cndmask_b32_e32 v0, 0x7e, v0, vcc_lo
; %bb.416:
	s_or_b32 exec_lo, exec_lo, s26
	v_lshrrev_b32_e32 v2, 24, v1
	s_delay_alu instid0(VALU_DEP_1)
	v_and_or_b32 v0, 0x80, v2, v0
	global_store_b8 v[3:4], v0, off
.LBB39_417:
	s_mov_b32 s26, 0
.LBB39_418:
	s_delay_alu instid0(SALU_CYCLE_1)
	s_and_not1_b32 vcc_lo, exec_lo, s26
	s_cbranch_vccnz .LBB39_428
; %bb.419:
	v_and_b32_e32 v2, 0x7fffffff, v1
	s_mov_b32 s26, exec_lo
                                        ; implicit-def: $vgpr0
	s_delay_alu instid0(VALU_DEP_1)
	v_cmpx_gt_u32_e32 0x47800000, v2
	s_xor_b32 s26, exec_lo, s26
	s_cbranch_execz .LBB39_425
; %bb.420:
	s_mov_b32 s27, exec_lo
                                        ; implicit-def: $vgpr0
	v_cmpx_lt_u32_e32 0x387fffff, v2
	s_xor_b32 s27, exec_lo, s27
; %bb.421:
	v_bfe_u32 v0, v1, 21, 1
	s_delay_alu instid0(VALU_DEP_1) | instskip(NEXT) | instid1(VALU_DEP_1)
	v_add3_u32 v0, v1, v0, 0x80fffff
	v_lshrrev_b32_e32 v0, 21, v0
; %bb.422:
	s_and_not1_saveexec_b32 s27, s27
; %bb.423:
	v_add_f32_e64 v0, 0x43000000, |v1|
; %bb.424:
	s_or_b32 exec_lo, exec_lo, s27
                                        ; implicit-def: $vgpr2
.LBB39_425:
	s_and_not1_saveexec_b32 s26, s26
; %bb.426:
	v_mov_b32_e32 v0, 0x7f
	v_cmp_lt_u32_e32 vcc_lo, 0x7f800000, v2
	s_delay_alu instid0(VALU_DEP_2)
	v_cndmask_b32_e32 v0, 0x7c, v0, vcc_lo
; %bb.427:
	s_or_b32 exec_lo, exec_lo, s26
	v_lshrrev_b32_e32 v2, 24, v1
	s_delay_alu instid0(VALU_DEP_1)
	v_and_or_b32 v0, 0x80, v2, v0
	global_store_b8 v[3:4], v0, off
.LBB39_428:
	s_mov_b32 s27, 0
	s_mov_b32 s26, -1
.LBB39_429:
	s_and_not1_b32 vcc_lo, exec_lo, s27
	s_cbranch_vccnz .LBB39_437
; %bb.430:
	v_cmp_lt_i16_e32 vcc_lo, 14, v6
	s_mov_b32 s27, -1
	s_cbranch_vccz .LBB39_434
; %bb.431:
	v_cmp_eq_u16_e32 vcc_lo, 15, v6
	s_mov_b32 s2, -1
	s_cbranch_vccz .LBB39_433
; %bb.432:
	v_bfe_u32 v0, v1, 16, 1
	v_cmp_o_f32_e32 vcc_lo, v1, v1
	s_mov_b32 s26, -1
	s_mov_b32 s2, 0
	s_delay_alu instid0(VALU_DEP_2) | instskip(NEXT) | instid1(VALU_DEP_1)
	v_add3_u32 v0, v1, v0, 0x7fff
	v_lshrrev_b32_e32 v0, 16, v0
	s_delay_alu instid0(VALU_DEP_1)
	v_cndmask_b32_e32 v0, 0x7fc0, v0, vcc_lo
	global_store_b16 v[3:4], v0, off
.LBB39_433:
	s_mov_b32 s27, 0
.LBB39_434:
	s_delay_alu instid0(SALU_CYCLE_1)
	s_and_b32 vcc_lo, exec_lo, s27
	s_cbranch_vccz .LBB39_437
; %bb.435:
	v_cmp_eq_u16_e32 vcc_lo, 11, v6
	s_mov_b32 s2, -1
	s_cbranch_vccz .LBB39_437
; %bb.436:
	v_cmp_neq_f32_e32 vcc_lo, 0, v1
	s_mov_b32 s2, 0
	s_mov_b32 s26, -1
	v_cndmask_b32_e64 v0, 0, 1, vcc_lo
	global_store_b8 v[3:4], v0, off
.LBB39_437:
.LBB39_438:
	s_and_not1_b32 vcc_lo, exec_lo, s26
	s_cbranch_vccnz .LBB39_356
.LBB39_439:
	v_add_nc_u32_e32 v7, 0x80, v7
	s_mov_b32 s26, -1
	s_branch .LBB39_552
.LBB39_440:
	s_mov_b32 s28, -1
                                        ; implicit-def: $vgpr3
.LBB39_441:
	s_mov_b32 s26, 0
.LBB39_442:
	s_delay_alu instid0(SALU_CYCLE_1)
	s_and_b32 vcc_lo, exec_lo, s26
	s_cbranch_vccz .LBB39_446
; %bb.443:
	v_cmp_eq_u16_e32 vcc_lo, 29, v5
	s_cbranch_vccz .LBB39_445
; %bb.444:
	global_load_b64 v[3:4], v[1:2], off
	s_mov_b32 s2, -1
	s_mov_b32 s28, 0
	s_mov_b32 s26, 0
	s_waitcnt vmcnt(0)
	v_clz_i32_u32_e32 v6, v4
	s_delay_alu instid0(VALU_DEP_1) | instskip(NEXT) | instid1(VALU_DEP_1)
	v_min_u32_e32 v6, 32, v6
	v_lshlrev_b64 v[3:4], v6, v[3:4]
	s_delay_alu instid0(VALU_DEP_1) | instskip(NEXT) | instid1(VALU_DEP_1)
	v_min_u32_e32 v3, 1, v3
	v_or_b32_e32 v3, v4, v3
	v_sub_nc_u32_e32 v4, 32, v6
	s_delay_alu instid0(VALU_DEP_2) | instskip(NEXT) | instid1(VALU_DEP_1)
	v_cvt_f32_u32_e32 v3, v3
	v_ldexp_f32 v3, v3, v4
	s_branch .LBB39_447
.LBB39_445:
	s_mov_b32 s28, -1
                                        ; implicit-def: $vgpr3
.LBB39_446:
	s_mov_b32 s26, 0
.LBB39_447:
	s_delay_alu instid0(SALU_CYCLE_1)
	s_and_b32 vcc_lo, exec_lo, s26
	s_cbranch_vccz .LBB39_465
; %bb.448:
	v_cmp_gt_i16_e32 vcc_lo, 27, v5
	s_cbranch_vccnz .LBB39_451
; %bb.449:
	v_cmp_lt_i16_e32 vcc_lo, 27, v5
	s_cbranch_vccz .LBB39_452
; %bb.450:
	global_load_b32 v3, v[1:2], off
	s_mov_b32 s2, 0
	s_waitcnt vmcnt(0)
	v_cvt_f32_u32_e32 v3, v3
	s_branch .LBB39_453
.LBB39_451:
	s_mov_b32 s2, -1
                                        ; implicit-def: $vgpr3
	s_branch .LBB39_456
.LBB39_452:
	s_mov_b32 s2, -1
                                        ; implicit-def: $vgpr3
.LBB39_453:
	s_delay_alu instid0(SALU_CYCLE_1)
	s_and_not1_b32 vcc_lo, exec_lo, s2
	s_cbranch_vccnz .LBB39_455
; %bb.454:
	global_load_u16 v3, v[1:2], off
	s_waitcnt vmcnt(0)
	v_cvt_f32_u32_e32 v3, v3
.LBB39_455:
	s_mov_b32 s2, 0
.LBB39_456:
	s_delay_alu instid0(SALU_CYCLE_1)
	s_and_not1_b32 vcc_lo, exec_lo, s2
	s_cbranch_vccnz .LBB39_464
; %bb.457:
	global_load_u8 v4, v[1:2], off
	s_mov_b32 s2, 0
	s_mov_b32 s27, exec_lo
                                        ; implicit-def: $sgpr26
	s_waitcnt vmcnt(0)
	v_cmpx_lt_i16_e32 0x7f, v4
	s_xor_b32 s27, exec_lo, s27
	s_cbranch_execz .LBB39_478
; %bb.458:
	s_mov_b32 s2, -1
	s_mov_b32 s29, exec_lo
                                        ; implicit-def: $sgpr26
	v_cmpx_eq_u16_e32 0x80, v4
; %bb.459:
	s_mov_b32 s26, 0x7f800001
	s_xor_b32 s2, exec_lo, -1
; %bb.460:
	s_or_b32 exec_lo, exec_lo, s29
	s_delay_alu instid0(SALU_CYCLE_1)
	s_and_b32 s2, s2, exec_lo
	s_or_saveexec_b32 s27, s27
	v_mov_b32_e32 v3, s26
	s_xor_b32 exec_lo, exec_lo, s27
	s_cbranch_execnz .LBB39_479
.LBB39_461:
	s_or_b32 exec_lo, exec_lo, s27
	s_and_saveexec_b32 s26, s2
	s_cbranch_execz .LBB39_463
.LBB39_462:
	v_and_b32_e32 v3, 0xffff, v4
	v_lshlrev_b32_e32 v4, 24, v4
	s_delay_alu instid0(VALU_DEP_2) | instskip(NEXT) | instid1(VALU_DEP_2)
	v_and_b32_e32 v6, 7, v3
	v_and_b32_e32 v4, 0x80000000, v4
	s_delay_alu instid0(VALU_DEP_2) | instskip(NEXT) | instid1(VALU_DEP_1)
	v_clz_i32_u32_e32 v8, v6
	v_min_u32_e32 v8, 32, v8
	s_delay_alu instid0(VALU_DEP_1) | instskip(SKIP_1) | instid1(VALU_DEP_2)
	v_subrev_nc_u32_e32 v9, 28, v8
	v_sub_nc_u32_e32 v8, 29, v8
	v_lshlrev_b32_e32 v9, v9, v3
	v_bfe_u32 v3, v3, 3, 4
	s_delay_alu instid0(VALU_DEP_2) | instskip(NEXT) | instid1(VALU_DEP_2)
	v_and_b32_e32 v9, 7, v9
	v_cmp_eq_u32_e32 vcc_lo, 0, v3
	s_delay_alu instid0(VALU_DEP_2) | instskip(NEXT) | instid1(VALU_DEP_1)
	v_dual_cndmask_b32 v3, v3, v8 :: v_dual_cndmask_b32 v6, v6, v9
	v_lshl_add_u32 v3, v3, 23, 0x3b800000
	s_delay_alu instid0(VALU_DEP_2) | instskip(NEXT) | instid1(VALU_DEP_1)
	v_lshlrev_b32_e32 v6, 20, v6
	v_or3_b32 v3, v4, v3, v6
.LBB39_463:
	s_or_b32 exec_lo, exec_lo, s26
.LBB39_464:
	s_mov_b32 s2, -1
.LBB39_465:
	s_mov_b32 s26, 0
.LBB39_466:
	s_delay_alu instid0(SALU_CYCLE_1)
	s_and_b32 vcc_lo, exec_lo, s26
	s_cbranch_vccz .LBB39_501
; %bb.467:
	v_cmp_lt_i16_e32 vcc_lo, 22, v5
	s_cbranch_vccz .LBB39_477
; %bb.468:
	v_cmp_gt_i16_e32 vcc_lo, 24, v5
	s_cbranch_vccnz .LBB39_480
; %bb.469:
	v_cmp_lt_i16_e32 vcc_lo, 24, v5
	s_cbranch_vccz .LBB39_481
; %bb.470:
	global_load_u8 v4, v[1:2], off
	s_mov_b32 s2, 0
	s_mov_b32 s27, exec_lo
                                        ; implicit-def: $sgpr26
	s_waitcnt vmcnt(0)
	v_cmpx_lt_i16_e32 0x7f, v4
	s_xor_b32 s27, exec_lo, s27
	s_cbranch_execz .LBB39_493
; %bb.471:
	s_mov_b32 s2, -1
	s_mov_b32 s29, exec_lo
                                        ; implicit-def: $sgpr26
	v_cmpx_eq_u16_e32 0x80, v4
; %bb.472:
	s_mov_b32 s26, 0x7f800001
	s_xor_b32 s2, exec_lo, -1
; %bb.473:
	s_or_b32 exec_lo, exec_lo, s29
	s_delay_alu instid0(SALU_CYCLE_1)
	s_and_b32 s2, s2, exec_lo
	s_or_saveexec_b32 s27, s27
	v_mov_b32_e32 v3, s26
	s_xor_b32 exec_lo, exec_lo, s27
	s_cbranch_execnz .LBB39_494
.LBB39_474:
	s_or_b32 exec_lo, exec_lo, s27
	s_and_saveexec_b32 s26, s2
	s_cbranch_execz .LBB39_476
.LBB39_475:
	v_and_b32_e32 v3, 0xffff, v4
	v_lshlrev_b32_e32 v4, 24, v4
	s_delay_alu instid0(VALU_DEP_2) | instskip(NEXT) | instid1(VALU_DEP_2)
	v_and_b32_e32 v6, 3, v3
	v_and_b32_e32 v4, 0x80000000, v4
	s_delay_alu instid0(VALU_DEP_2) | instskip(NEXT) | instid1(VALU_DEP_1)
	v_clz_i32_u32_e32 v8, v6
	v_min_u32_e32 v8, 32, v8
	s_delay_alu instid0(VALU_DEP_1) | instskip(SKIP_1) | instid1(VALU_DEP_2)
	v_subrev_nc_u32_e32 v9, 29, v8
	v_sub_nc_u32_e32 v8, 30, v8
	v_lshlrev_b32_e32 v9, v9, v3
	v_bfe_u32 v3, v3, 2, 5
	s_delay_alu instid0(VALU_DEP_2) | instskip(NEXT) | instid1(VALU_DEP_2)
	v_and_b32_e32 v9, 3, v9
	v_cmp_eq_u32_e32 vcc_lo, 0, v3
	s_delay_alu instid0(VALU_DEP_2) | instskip(NEXT) | instid1(VALU_DEP_1)
	v_dual_cndmask_b32 v3, v3, v8 :: v_dual_cndmask_b32 v6, v6, v9
	v_lshl_add_u32 v3, v3, 23, 0x37800000
	s_delay_alu instid0(VALU_DEP_2) | instskip(NEXT) | instid1(VALU_DEP_1)
	v_lshlrev_b32_e32 v6, 21, v6
	v_or3_b32 v3, v4, v3, v6
.LBB39_476:
	s_or_b32 exec_lo, exec_lo, s26
	s_mov_b32 s2, 0
	s_branch .LBB39_482
.LBB39_477:
	s_mov_b32 s26, -1
                                        ; implicit-def: $vgpr3
	s_branch .LBB39_488
.LBB39_478:
	s_or_saveexec_b32 s27, s27
	v_mov_b32_e32 v3, s26
	s_xor_b32 exec_lo, exec_lo, s27
	s_cbranch_execz .LBB39_461
.LBB39_479:
	v_cmp_ne_u16_e32 vcc_lo, 0, v4
	v_mov_b32_e32 v3, 0
	s_and_not1_b32 s2, s2, exec_lo
	s_and_b32 s26, vcc_lo, exec_lo
	s_delay_alu instid0(SALU_CYCLE_1)
	s_or_b32 s2, s2, s26
	s_or_b32 exec_lo, exec_lo, s27
	s_and_saveexec_b32 s26, s2
	s_cbranch_execnz .LBB39_462
	s_branch .LBB39_463
.LBB39_480:
	s_mov_b32 s2, -1
                                        ; implicit-def: $vgpr3
	s_branch .LBB39_485
.LBB39_481:
	s_mov_b32 s2, -1
                                        ; implicit-def: $vgpr3
.LBB39_482:
	s_delay_alu instid0(SALU_CYCLE_1)
	s_and_b32 vcc_lo, exec_lo, s2
	s_cbranch_vccz .LBB39_484
; %bb.483:
	global_load_u8 v3, v[1:2], off
	s_waitcnt vmcnt(0)
	v_lshlrev_b32_e32 v3, 24, v3
	s_delay_alu instid0(VALU_DEP_1) | instskip(NEXT) | instid1(VALU_DEP_1)
	v_and_b32_e32 v4, 0x7f000000, v3
	v_clz_i32_u32_e32 v6, v4
	v_add_nc_u32_e32 v9, 0x1000000, v4
	v_cmp_ne_u32_e32 vcc_lo, 0, v4
	s_delay_alu instid0(VALU_DEP_3) | instskip(NEXT) | instid1(VALU_DEP_1)
	v_min_u32_e32 v6, 32, v6
	v_sub_nc_u32_e64 v6, v6, 4 clamp
	s_delay_alu instid0(VALU_DEP_1) | instskip(SKIP_1) | instid1(VALU_DEP_2)
	v_lshlrev_b32_e32 v8, v6, v4
	v_lshlrev_b32_e32 v6, 23, v6
	v_lshrrev_b32_e32 v8, 4, v8
	s_delay_alu instid0(VALU_DEP_1) | instskip(SKIP_1) | instid1(VALU_DEP_2)
	v_sub_nc_u32_e32 v6, v8, v6
	v_ashrrev_i32_e32 v8, 8, v9
	v_add_nc_u32_e32 v6, 0x3c000000, v6
	s_delay_alu instid0(VALU_DEP_1) | instskip(NEXT) | instid1(VALU_DEP_1)
	v_and_or_b32 v6, 0x7f800000, v8, v6
	v_cndmask_b32_e32 v4, 0, v6, vcc_lo
	s_delay_alu instid0(VALU_DEP_1)
	v_and_or_b32 v3, 0x80000000, v3, v4
.LBB39_484:
	s_mov_b32 s2, 0
.LBB39_485:
	s_delay_alu instid0(SALU_CYCLE_1)
	s_and_not1_b32 vcc_lo, exec_lo, s2
	s_cbranch_vccnz .LBB39_487
; %bb.486:
	global_load_u8 v3, v[1:2], off
	s_waitcnt vmcnt(0)
	v_lshlrev_b32_e32 v4, 25, v3
	v_lshlrev_b16 v3, 8, v3
	s_delay_alu instid0(VALU_DEP_2) | instskip(NEXT) | instid1(VALU_DEP_2)
	v_lshrrev_b32_e32 v6, 4, v4
	v_and_or_b32 v8, 0x7f00, v3, 0.5
	v_cmp_gt_u32_e32 vcc_lo, 0x8000000, v4
	v_bfe_i32 v3, v3, 0, 16
	s_delay_alu instid0(VALU_DEP_4) | instskip(NEXT) | instid1(VALU_DEP_4)
	v_or_b32_e32 v6, 0x70000000, v6
	v_add_f32_e32 v8, -0.5, v8
	s_delay_alu instid0(VALU_DEP_2) | instskip(NEXT) | instid1(VALU_DEP_1)
	v_mul_f32_e32 v6, 0x7800000, v6
	v_cndmask_b32_e32 v4, v6, v8, vcc_lo
	s_delay_alu instid0(VALU_DEP_1)
	v_and_or_b32 v3, 0x80000000, v3, v4
.LBB39_487:
	s_mov_b32 s26, 0
	s_mov_b32 s2, -1
.LBB39_488:
	s_and_not1_b32 vcc_lo, exec_lo, s26
	s_cbranch_vccnz .LBB39_501
; %bb.489:
	v_cmp_lt_i16_e32 vcc_lo, 14, v5
	s_cbranch_vccz .LBB39_492
; %bb.490:
	v_cmp_eq_u16_e32 vcc_lo, 15, v5
	s_cbranch_vccz .LBB39_495
; %bb.491:
	global_load_u16 v3, v[1:2], off
	s_mov_b32 s2, -1
	s_mov_b32 s28, 0
	s_waitcnt vmcnt(0)
	v_lshlrev_b32_e32 v3, 16, v3
	s_branch .LBB39_496
.LBB39_492:
	s_mov_b32 s26, -1
                                        ; implicit-def: $vgpr3
	s_branch .LBB39_497
.LBB39_493:
	s_or_saveexec_b32 s27, s27
	v_mov_b32_e32 v3, s26
	s_xor_b32 exec_lo, exec_lo, s27
	s_cbranch_execz .LBB39_474
.LBB39_494:
	v_cmp_ne_u16_e32 vcc_lo, 0, v4
	v_mov_b32_e32 v3, 0
	s_and_not1_b32 s2, s2, exec_lo
	s_and_b32 s26, vcc_lo, exec_lo
	s_delay_alu instid0(SALU_CYCLE_1)
	s_or_b32 s2, s2, s26
	s_or_b32 exec_lo, exec_lo, s27
	s_and_saveexec_b32 s26, s2
	s_cbranch_execnz .LBB39_475
	s_branch .LBB39_476
.LBB39_495:
	s_mov_b32 s28, -1
                                        ; implicit-def: $vgpr3
.LBB39_496:
	s_mov_b32 s26, 0
.LBB39_497:
	s_delay_alu instid0(SALU_CYCLE_1)
	s_and_b32 vcc_lo, exec_lo, s26
	s_cbranch_vccz .LBB39_501
; %bb.498:
	v_cmp_eq_u16_e32 vcc_lo, 11, v5
	s_cbranch_vccz .LBB39_500
; %bb.499:
	global_load_u8 v3, v[1:2], off
	s_mov_b32 s28, 0
	s_mov_b32 s2, -1
	s_waitcnt vmcnt(0)
	v_cmp_ne_u16_e32 vcc_lo, 0, v3
	v_cndmask_b32_e64 v3, 0, 1.0, vcc_lo
	s_branch .LBB39_501
.LBB39_500:
	s_mov_b32 s28, -1
                                        ; implicit-def: $vgpr3
.LBB39_501:
	s_branch .LBB39_296
.LBB39_502:
	v_cmp_gt_i16_e32 vcc_lo, 5, v5
	s_cbranch_vccnz .LBB39_507
; %bb.503:
	v_cmp_gt_i16_e32 vcc_lo, 8, v5
	s_cbranch_vccnz .LBB39_508
; %bb.504:
	;; [unrolled: 3-line block ×3, first 2 shown]
	v_cmp_lt_i16_e32 vcc_lo, 9, v5
	s_cbranch_vccz .LBB39_510
; %bb.506:
	global_load_b64 v[3:4], v[1:2], off
	s_mov_b32 s2, 0
	s_waitcnt vmcnt(0)
	v_cvt_f32_f64_e32 v3, v[3:4]
	s_branch .LBB39_511
.LBB39_507:
	s_mov_b32 s2, -1
                                        ; implicit-def: $vgpr3
	s_branch .LBB39_529
.LBB39_508:
	s_mov_b32 s2, -1
                                        ; implicit-def: $vgpr3
	s_branch .LBB39_517
.LBB39_509:
	s_mov_b32 s2, -1
                                        ; implicit-def: $vgpr3
	s_branch .LBB39_514
.LBB39_510:
	s_mov_b32 s2, -1
                                        ; implicit-def: $vgpr3
.LBB39_511:
	s_delay_alu instid0(SALU_CYCLE_1)
	s_and_not1_b32 vcc_lo, exec_lo, s2
	s_cbranch_vccnz .LBB39_513
; %bb.512:
	global_load_b32 v3, v[1:2], off
.LBB39_513:
	s_mov_b32 s2, 0
.LBB39_514:
	s_delay_alu instid0(SALU_CYCLE_1)
	s_and_not1_b32 vcc_lo, exec_lo, s2
	s_cbranch_vccnz .LBB39_516
; %bb.515:
	global_load_b32 v3, v[1:2], off
	s_waitcnt vmcnt(0)
	v_cvt_f32_f16_e32 v3, v3
.LBB39_516:
	s_mov_b32 s2, 0
.LBB39_517:
	s_delay_alu instid0(SALU_CYCLE_1)
	s_and_not1_b32 vcc_lo, exec_lo, s2
	s_cbranch_vccnz .LBB39_528
; %bb.518:
	v_cmp_gt_i16_e32 vcc_lo, 6, v5
	s_cbranch_vccnz .LBB39_521
; %bb.519:
	v_cmp_lt_i16_e32 vcc_lo, 6, v5
	s_cbranch_vccz .LBB39_522
; %bb.520:
	global_load_b64 v[3:4], v[1:2], off
	s_mov_b32 s2, 0
	s_waitcnt vmcnt(0)
	v_cvt_f32_f64_e32 v3, v[3:4]
	s_branch .LBB39_523
.LBB39_521:
	s_mov_b32 s2, -1
                                        ; implicit-def: $vgpr3
	s_branch .LBB39_526
.LBB39_522:
	s_mov_b32 s2, -1
                                        ; implicit-def: $vgpr3
.LBB39_523:
	s_delay_alu instid0(SALU_CYCLE_1)
	s_and_not1_b32 vcc_lo, exec_lo, s2
	s_cbranch_vccnz .LBB39_525
; %bb.524:
	global_load_b32 v3, v[1:2], off
.LBB39_525:
	s_mov_b32 s2, 0
.LBB39_526:
	s_delay_alu instid0(SALU_CYCLE_1)
	s_and_not1_b32 vcc_lo, exec_lo, s2
	s_cbranch_vccnz .LBB39_528
; %bb.527:
	global_load_u16 v3, v[1:2], off
	s_waitcnt vmcnt(0)
	v_cvt_f32_f16_e32 v3, v3
.LBB39_528:
	s_mov_b32 s2, 0
.LBB39_529:
	s_delay_alu instid0(SALU_CYCLE_1)
	s_and_not1_b32 vcc_lo, exec_lo, s2
	s_cbranch_vccnz .LBB39_549
; %bb.530:
	v_cmp_gt_i16_e32 vcc_lo, 2, v5
	s_cbranch_vccnz .LBB39_534
; %bb.531:
	v_cmp_gt_i16_e32 vcc_lo, 3, v5
	s_cbranch_vccnz .LBB39_535
; %bb.532:
	v_cmp_lt_i16_e32 vcc_lo, 3, v5
	s_cbranch_vccz .LBB39_536
; %bb.533:
	global_load_b64 v[3:4], v[1:2], off
	s_mov_b32 s2, 0
	s_waitcnt vmcnt(0)
	v_xor_b32_e32 v6, v3, v4
	v_cls_i32_e32 v8, v4
	s_delay_alu instid0(VALU_DEP_2) | instskip(NEXT) | instid1(VALU_DEP_2)
	v_ashrrev_i32_e32 v6, 31, v6
	v_add_nc_u32_e32 v8, -1, v8
	s_delay_alu instid0(VALU_DEP_2) | instskip(NEXT) | instid1(VALU_DEP_1)
	v_add_nc_u32_e32 v6, 32, v6
	v_min_u32_e32 v6, v8, v6
	s_delay_alu instid0(VALU_DEP_1) | instskip(NEXT) | instid1(VALU_DEP_1)
	v_lshlrev_b64 v[3:4], v6, v[3:4]
	v_min_u32_e32 v3, 1, v3
	s_delay_alu instid0(VALU_DEP_1) | instskip(SKIP_1) | instid1(VALU_DEP_2)
	v_or_b32_e32 v3, v4, v3
	v_sub_nc_u32_e32 v4, 32, v6
	v_cvt_f32_i32_e32 v3, v3
	s_delay_alu instid0(VALU_DEP_1)
	v_ldexp_f32 v3, v3, v4
	s_branch .LBB39_537
.LBB39_534:
	s_mov_b32 s2, -1
                                        ; implicit-def: $vgpr3
	s_branch .LBB39_543
.LBB39_535:
	s_mov_b32 s2, -1
                                        ; implicit-def: $vgpr3
	s_branch .LBB39_540
.LBB39_536:
	s_mov_b32 s2, -1
                                        ; implicit-def: $vgpr3
.LBB39_537:
	s_delay_alu instid0(SALU_CYCLE_1)
	s_and_not1_b32 vcc_lo, exec_lo, s2
	s_cbranch_vccnz .LBB39_539
; %bb.538:
	global_load_b32 v3, v[1:2], off
	s_waitcnt vmcnt(0)
	v_cvt_f32_i32_e32 v3, v3
.LBB39_539:
	s_mov_b32 s2, 0
.LBB39_540:
	s_delay_alu instid0(SALU_CYCLE_1)
	s_and_not1_b32 vcc_lo, exec_lo, s2
	s_cbranch_vccnz .LBB39_542
; %bb.541:
	global_load_i16 v3, v[1:2], off
	s_waitcnt vmcnt(0)
	v_cvt_f32_i32_e32 v3, v3
.LBB39_542:
	s_mov_b32 s2, 0
.LBB39_543:
	s_delay_alu instid0(SALU_CYCLE_1)
	s_and_not1_b32 vcc_lo, exec_lo, s2
	s_cbranch_vccnz .LBB39_549
; %bb.544:
	v_cmp_lt_i16_e32 vcc_lo, 0, v5
	s_mov_b32 s2, 0
	s_cbranch_vccz .LBB39_546
; %bb.545:
	global_load_i8 v3, v[1:2], off
	s_waitcnt vmcnt(0)
	v_cvt_f32_i32_e32 v3, v3
	s_branch .LBB39_547
.LBB39_546:
	s_mov_b32 s2, -1
                                        ; implicit-def: $vgpr3
.LBB39_547:
	s_delay_alu instid0(SALU_CYCLE_1)
	s_and_not1_b32 vcc_lo, exec_lo, s2
	s_cbranch_vccnz .LBB39_549
; %bb.548:
	global_load_u8 v1, v[1:2], off
	s_waitcnt vmcnt(0)
	v_cvt_f32_ubyte0_e32 v3, v1
.LBB39_549:
	s_branch .LBB39_297
.LBB39_550:
	s_mov_b32 s26, 0
	s_mov_b32 s2, s42
.LBB39_551:
                                        ; implicit-def: $vgpr7
.LBB39_552:
	s_and_not1_b32 s27, s42, exec_lo
	s_and_b32 s2, s2, exec_lo
	s_and_not1_b32 s29, s43, exec_lo
	s_and_b32 s28, s28, exec_lo
	s_or_b32 s46, s27, s2
	s_or_b32 s45, s29, s28
	s_or_not1_b32 s2, s26, exec_lo
.LBB39_553:
	s_or_b32 exec_lo, exec_lo, s47
	s_mov_b32 s26, 0
	s_mov_b32 s27, 0
	;; [unrolled: 1-line block ×3, first 2 shown]
                                        ; implicit-def: $vgpr1_vgpr2
                                        ; implicit-def: $vgpr0
                                        ; implicit-def: $vgpr6
	s_and_saveexec_b32 s47, s2
	s_cbranch_execz .LBB39_935
; %bb.554:
	s_mov_b32 s49, -1
	s_mov_b32 s2, s45
	s_mov_b32 s28, s46
	s_mov_b32 s48, exec_lo
	v_cmpx_gt_i32_e64 s39, v7
	s_cbranch_execz .LBB39_836
; %bb.555:
	s_and_not1_b32 vcc_lo, exec_lo, s34
	s_cbranch_vccnz .LBB39_560
; %bb.556:
	v_dual_mov_b32 v0, 0 :: v_dual_mov_b32 v1, 0
	s_and_not1_b32 vcc_lo, exec_lo, s41
	s_mov_b32 s2, 0
	s_cbranch_vccnz .LBB39_565
; %bb.557:
	v_mov_b32_e32 v0, 0
	s_add_i32 s50, s40, 1
	s_cmp_eq_u32 s31, 2
	s_mov_b32 s49, 0
	s_cbranch_scc1 .LBB39_561
; %bb.558:
	v_dual_mov_b32 v1, 0 :: v_dual_mov_b32 v0, 0
	v_mov_b32_e32 v2, v7
	s_and_b32 s49, s50, 28
	s_mov_b32 s51, 0
	s_mov_b64 s[26:27], s[24:25]
	s_mov_b64 s[28:29], s[16:17]
.LBB39_559:                             ; =>This Inner Loop Header: Depth=1
	s_clause 0x1
	s_load_b256 s[52:59], s[28:29], 0x4
	s_load_b128 s[68:71], s[28:29], 0x24
	s_load_b256 s[60:67], s[26:27], 0x0
	s_add_u32 s28, s28, 48
	s_addc_u32 s29, s29, 0
	s_add_i32 s51, s51, 4
	s_add_u32 s26, s26, 32
	s_addc_u32 s27, s27, 0
	s_cmp_eq_u32 s49, s51
	s_waitcnt vmcnt(0) lgkmcnt(0)
	v_mul_hi_u32 v3, s53, v2
	s_delay_alu instid0(VALU_DEP_1) | instskip(NEXT) | instid1(VALU_DEP_1)
	v_add_nc_u32_e32 v3, v2, v3
	v_lshrrev_b32_e32 v3, s54, v3
	s_delay_alu instid0(VALU_DEP_1) | instskip(SKIP_1) | instid1(VALU_DEP_2)
	v_mul_hi_u32 v4, s56, v3
	v_mul_lo_u32 v8, v3, s52
	v_add_nc_u32_e32 v4, v3, v4
	s_delay_alu instid0(VALU_DEP_2) | instskip(NEXT) | instid1(VALU_DEP_2)
	v_sub_nc_u32_e32 v2, v2, v8
	v_lshrrev_b32_e32 v4, s57, v4
	s_delay_alu instid0(VALU_DEP_2) | instskip(SKIP_1) | instid1(VALU_DEP_3)
	v_mul_lo_u32 v8, v2, s60
	v_mul_lo_u32 v10, v2, s61
	v_mul_hi_u32 v6, s59, v4
	s_delay_alu instid0(VALU_DEP_1) | instskip(NEXT) | instid1(VALU_DEP_1)
	v_add_nc_u32_e32 v6, v4, v6
	v_lshrrev_b32_e32 v6, s68, v6
	s_delay_alu instid0(VALU_DEP_1) | instskip(SKIP_1) | instid1(VALU_DEP_2)
	v_mul_hi_u32 v9, s70, v6
	v_mul_lo_u32 v11, v6, s58
	v_add_nc_u32_e32 v2, v6, v9
	v_mul_lo_u32 v9, v4, s55
	s_delay_alu instid0(VALU_DEP_3) | instskip(NEXT) | instid1(VALU_DEP_3)
	v_sub_nc_u32_e32 v4, v4, v11
	v_lshrrev_b32_e32 v2, s71, v2
	s_delay_alu instid0(VALU_DEP_2) | instskip(SKIP_2) | instid1(VALU_DEP_4)
	v_mul_lo_u32 v11, v4, s64
	v_mul_lo_u32 v4, v4, s65
	v_sub_nc_u32_e32 v3, v3, v9
	v_mul_lo_u32 v12, v2, s69
	s_delay_alu instid0(VALU_DEP_2) | instskip(SKIP_1) | instid1(VALU_DEP_3)
	v_mul_lo_u32 v9, v3, s62
	v_mul_lo_u32 v3, v3, s63
	v_sub_nc_u32_e32 v6, v6, v12
	s_delay_alu instid0(VALU_DEP_3) | instskip(NEXT) | instid1(VALU_DEP_2)
	v_add3_u32 v0, v8, v0, v9
	v_mul_lo_u32 v12, v6, s66
	v_mul_lo_u32 v6, v6, s67
	v_add3_u32 v1, v10, v1, v3
	s_delay_alu instid0(VALU_DEP_3) | instskip(NEXT) | instid1(VALU_DEP_2)
	v_add3_u32 v0, v11, v0, v12
	v_add3_u32 v1, v4, v1, v6
	s_cbranch_scc0 .LBB39_559
	s_branch .LBB39_562
.LBB39_560:
	s_mov_b32 s2, -1
                                        ; implicit-def: $vgpr0
                                        ; implicit-def: $vgpr1
	s_branch .LBB39_565
.LBB39_561:
	v_dual_mov_b32 v2, v7 :: v_dual_mov_b32 v1, 0
.LBB39_562:
	s_and_b32 s50, s50, 3
	s_delay_alu instid0(SALU_CYCLE_1)
	s_cmp_eq_u32 s50, 0
	s_cbranch_scc1 .LBB39_565
; %bb.563:
	s_lshl_b32 s26, s49, 3
	s_mul_i32 s28, s49, 12
	s_add_u32 s26, s26, s16
	s_addc_u32 s27, s17, 0
	s_add_u32 s26, s26, 0xc4
	s_addc_u32 s27, s27, 0
	;; [unrolled: 2-line block ×3, first 2 shown]
	.p2align	6
.LBB39_564:                             ; =>This Inner Loop Header: Depth=1
	s_clause 0x1
	s_load_b64 s[52:53], s[28:29], 0x4
	s_load_b32 s49, s[28:29], 0xc
	s_load_b64 s[54:55], s[26:27], 0x0
	s_add_u32 s28, s28, 12
	s_addc_u32 s29, s29, 0
	s_add_u32 s26, s26, 8
	s_addc_u32 s27, s27, 0
	s_add_i32 s50, s50, -1
	s_delay_alu instid0(SALU_CYCLE_1) | instskip(SKIP_2) | instid1(VALU_DEP_1)
	s_cmp_lg_u32 s50, 0
	s_waitcnt vmcnt(0) lgkmcnt(0)
	v_mul_hi_u32 v3, s53, v2
	v_add_nc_u32_e32 v3, v2, v3
	s_delay_alu instid0(VALU_DEP_1) | instskip(NEXT) | instid1(VALU_DEP_1)
	v_lshrrev_b32_e32 v6, s49, v3
	v_mul_lo_u32 v3, v6, s52
	s_delay_alu instid0(VALU_DEP_1) | instskip(NEXT) | instid1(VALU_DEP_1)
	v_sub_nc_u32_e32 v2, v2, v3
	v_mad_u64_u32 v[3:4], null, v2, s54, v[0:1]
	v_mad_u64_u32 v[8:9], null, v2, s55, v[1:2]
	v_mov_b32_e32 v2, v6
	s_delay_alu instid0(VALU_DEP_2)
	v_dual_mov_b32 v0, v3 :: v_dual_mov_b32 v1, v8
	s_cbranch_scc1 .LBB39_564
.LBB39_565:
	s_and_not1_b32 vcc_lo, exec_lo, s2
	s_cbranch_vccnz .LBB39_568
; %bb.566:
	v_mul_hi_u32 v0, s9, v7
	s_and_not1_b32 vcc_lo, exec_lo, s38
	s_delay_alu instid0(VALU_DEP_1) | instskip(NEXT) | instid1(VALU_DEP_1)
	v_add_nc_u32_e32 v0, v7, v0
	v_lshrrev_b32_e32 v2, s10, v0
	s_delay_alu instid0(VALU_DEP_1) | instskip(NEXT) | instid1(VALU_DEP_1)
	v_mul_lo_u32 v0, v2, s8
	v_sub_nc_u32_e32 v1, v7, v0
	s_delay_alu instid0(VALU_DEP_1)
	v_mul_lo_u32 v0, v1, s12
	v_mul_lo_u32 v1, v1, s13
	s_cbranch_vccnz .LBB39_568
; %bb.567:
	s_waitcnt vmcnt(0)
	v_mul_hi_u32 v3, s22, v2
	s_delay_alu instid0(VALU_DEP_1) | instskip(NEXT) | instid1(VALU_DEP_1)
	v_add_nc_u32_e32 v3, v2, v3
	v_lshrrev_b32_e32 v3, s23, v3
	s_delay_alu instid0(VALU_DEP_1) | instskip(NEXT) | instid1(VALU_DEP_1)
	v_mul_lo_u32 v3, v3, s11
	v_sub_nc_u32_e32 v6, v2, v3
	s_delay_alu instid0(VALU_DEP_1) | instskip(NEXT) | instid1(VALU_DEP_1)
	v_mad_u64_u32 v[2:3], null, v6, s14, v[0:1]
	v_mad_u64_u32 v[3:4], null, v6, s15, v[1:2]
	s_delay_alu instid0(VALU_DEP_1)
	v_dual_mov_b32 v0, v2 :: v_dual_mov_b32 v1, v3
.LBB39_568:
	v_cmp_gt_i16_e32 vcc_lo, 11, v5
	s_delay_alu instid0(VALU_DEP_2) | instskip(NEXT) | instid1(VALU_DEP_1)
	v_add_co_u32 v1, s2, s6, v1
	v_add_co_ci_u32_e64 v2, null, s7, 0, s2
	s_mov_b32 s2, 0
	s_cbranch_vccnz .LBB39_575
; %bb.569:
	v_cmp_lt_i16_e32 vcc_lo, 25, v5
	s_cbranch_vccz .LBB39_576
; %bb.570:
	v_cmp_lt_i16_e32 vcc_lo, 28, v5
	s_cbranch_vccz .LBB39_577
	;; [unrolled: 3-line block ×4, first 2 shown]
; %bb.573:
	v_cmp_eq_u16_e32 vcc_lo, 46, v5
	s_mov_b32 s26, 0
	s_cbranch_vccz .LBB39_584
; %bb.574:
	global_load_b32 v3, v[1:2], off
	s_mov_b32 s2, -1
	s_mov_b32 s28, 0
	s_waitcnt vmcnt(0)
	v_lshlrev_b32_e32 v3, 16, v3
	s_branch .LBB39_586
.LBB39_575:
	s_mov_b32 s26, -1
	s_mov_b32 s28, s45
                                        ; implicit-def: $vgpr3
	s_branch .LBB39_651
.LBB39_576:
	s_mov_b32 s26, -1
	s_mov_b32 s28, s45
                                        ; implicit-def: $vgpr3
	s_branch .LBB39_615
.LBB39_577:
	s_mov_b32 s26, -1
	s_mov_b32 s28, s45
                                        ; implicit-def: $vgpr3
	s_branch .LBB39_596
.LBB39_578:
	s_mov_b32 s26, -1
	s_mov_b32 s28, s45
                                        ; implicit-def: $vgpr3
	s_branch .LBB39_591
.LBB39_579:
	s_or_saveexec_b32 s29, s29
                                        ; implicit-def: $sgpr45
	s_delay_alu instid0(SALU_CYCLE_1)
	s_xor_b32 exec_lo, exec_lo, s29
	s_cbranch_execz .LBB39_390
.LBB39_580:
	v_add_f32_e64 v0, 0x46000000, |v1|
	s_and_not1_b32 s27, s27, exec_lo
	s_mov_b32 s45, 0
	s_delay_alu instid0(VALU_DEP_1) | instskip(NEXT) | instid1(VALU_DEP_1)
	v_and_b32_e32 v0, 0xff, v0
	v_cmp_ne_u32_e32 vcc_lo, 0, v0
	s_and_b32 s46, vcc_lo, exec_lo
	s_delay_alu instid0(SALU_CYCLE_1)
	s_or_b32 s27, s27, s46
	s_or_b32 exec_lo, exec_lo, s29
	v_mov_b32_e32 v2, s45
	s_and_saveexec_b32 s29, s27
	s_cbranch_execnz .LBB39_391
	s_branch .LBB39_392
.LBB39_581:
	s_mov_b32 s26, -1
	s_mov_b32 s28, s45
	s_branch .LBB39_585
.LBB39_582:
	s_or_saveexec_b32 s29, s29
                                        ; implicit-def: $sgpr45
	s_delay_alu instid0(SALU_CYCLE_1)
	s_xor_b32 exec_lo, exec_lo, s29
	s_cbranch_execz .LBB39_403
.LBB39_583:
	v_add_f32_e64 v0, 0x42800000, |v1|
	s_and_not1_b32 s27, s27, exec_lo
	s_mov_b32 s45, 0
	s_delay_alu instid0(VALU_DEP_1) | instskip(NEXT) | instid1(VALU_DEP_1)
	v_and_b32_e32 v0, 0xff, v0
	v_cmp_ne_u32_e32 vcc_lo, 0, v0
	s_and_b32 s46, vcc_lo, exec_lo
	s_delay_alu instid0(SALU_CYCLE_1)
	s_or_b32 s27, s27, s46
	s_or_b32 exec_lo, exec_lo, s29
	v_mov_b32_e32 v2, s45
	s_and_saveexec_b32 s29, s27
	s_cbranch_execnz .LBB39_404
	s_branch .LBB39_405
.LBB39_584:
	s_mov_b32 s28, -1
.LBB39_585:
                                        ; implicit-def: $vgpr3
.LBB39_586:
	s_and_b32 vcc_lo, exec_lo, s26
	s_cbranch_vccz .LBB39_590
; %bb.587:
	v_cmp_eq_u16_e32 vcc_lo, 44, v5
	s_cbranch_vccz .LBB39_589
; %bb.588:
	global_load_u8 v3, v[1:2], off
	s_mov_b32 s28, 0
	s_mov_b32 s2, -1
	s_waitcnt vmcnt(0)
	v_lshlrev_b32_e32 v4, 23, v3
	v_cmp_ne_u32_e32 vcc_lo, 0xff, v3
	s_delay_alu instid0(VALU_DEP_2) | instskip(SKIP_1) | instid1(VALU_DEP_2)
	v_cndmask_b32_e32 v4, 0x7f800001, v4, vcc_lo
	v_cmp_ne_u32_e32 vcc_lo, 0, v3
	v_cndmask_b32_e32 v3, 0x400000, v4, vcc_lo
	s_branch .LBB39_590
.LBB39_589:
	s_mov_b32 s28, -1
                                        ; implicit-def: $vgpr3
.LBB39_590:
	s_mov_b32 s26, 0
.LBB39_591:
	s_delay_alu instid0(SALU_CYCLE_1)
	s_and_b32 vcc_lo, exec_lo, s26
	s_cbranch_vccz .LBB39_595
; %bb.592:
	v_cmp_eq_u16_e32 vcc_lo, 29, v5
	s_cbranch_vccz .LBB39_594
; %bb.593:
	global_load_b64 v[3:4], v[1:2], off
	s_mov_b32 s2, -1
	s_mov_b32 s28, 0
	s_mov_b32 s26, 0
	s_waitcnt vmcnt(0)
	v_clz_i32_u32_e32 v6, v4
	s_delay_alu instid0(VALU_DEP_1) | instskip(NEXT) | instid1(VALU_DEP_1)
	v_min_u32_e32 v6, 32, v6
	v_lshlrev_b64 v[3:4], v6, v[3:4]
	s_delay_alu instid0(VALU_DEP_1) | instskip(NEXT) | instid1(VALU_DEP_1)
	v_min_u32_e32 v3, 1, v3
	v_or_b32_e32 v3, v4, v3
	v_sub_nc_u32_e32 v4, 32, v6
	s_delay_alu instid0(VALU_DEP_2) | instskip(NEXT) | instid1(VALU_DEP_1)
	v_cvt_f32_u32_e32 v3, v3
	v_ldexp_f32 v3, v3, v4
	s_branch .LBB39_596
.LBB39_594:
	s_mov_b32 s28, -1
                                        ; implicit-def: $vgpr3
.LBB39_595:
	s_mov_b32 s26, 0
.LBB39_596:
	s_delay_alu instid0(SALU_CYCLE_1)
	s_and_b32 vcc_lo, exec_lo, s26
	s_cbranch_vccz .LBB39_614
; %bb.597:
	v_cmp_gt_i16_e32 vcc_lo, 27, v5
	s_cbranch_vccnz .LBB39_600
; %bb.598:
	v_cmp_lt_i16_e32 vcc_lo, 27, v5
	s_cbranch_vccz .LBB39_601
; %bb.599:
	global_load_b32 v3, v[1:2], off
	s_mov_b32 s2, 0
	s_waitcnt vmcnt(0)
	v_cvt_f32_u32_e32 v3, v3
	s_branch .LBB39_602
.LBB39_600:
	s_mov_b32 s2, -1
                                        ; implicit-def: $vgpr3
	s_branch .LBB39_605
.LBB39_601:
	s_mov_b32 s2, -1
                                        ; implicit-def: $vgpr3
.LBB39_602:
	s_delay_alu instid0(SALU_CYCLE_1)
	s_and_not1_b32 vcc_lo, exec_lo, s2
	s_cbranch_vccnz .LBB39_604
; %bb.603:
	global_load_u16 v3, v[1:2], off
	s_waitcnt vmcnt(0)
	v_cvt_f32_u32_e32 v3, v3
.LBB39_604:
	s_mov_b32 s2, 0
.LBB39_605:
	s_delay_alu instid0(SALU_CYCLE_1)
	s_and_not1_b32 vcc_lo, exec_lo, s2
	s_cbranch_vccnz .LBB39_613
; %bb.606:
	global_load_u8 v4, v[1:2], off
	s_mov_b32 s2, 0
	s_mov_b32 s27, exec_lo
                                        ; implicit-def: $sgpr26
	s_waitcnt vmcnt(0)
	v_cmpx_lt_i16_e32 0x7f, v4
	s_xor_b32 s27, exec_lo, s27
	s_cbranch_execz .LBB39_627
; %bb.607:
	s_mov_b32 s2, -1
	s_mov_b32 s29, exec_lo
                                        ; implicit-def: $sgpr26
	v_cmpx_eq_u16_e32 0x80, v4
; %bb.608:
	s_mov_b32 s26, 0x7f800001
	s_xor_b32 s2, exec_lo, -1
; %bb.609:
	s_or_b32 exec_lo, exec_lo, s29
	s_delay_alu instid0(SALU_CYCLE_1)
	s_and_b32 s2, s2, exec_lo
	s_or_saveexec_b32 s27, s27
	v_mov_b32_e32 v3, s26
	s_xor_b32 exec_lo, exec_lo, s27
	s_cbranch_execnz .LBB39_628
.LBB39_610:
	s_or_b32 exec_lo, exec_lo, s27
	s_and_saveexec_b32 s26, s2
	s_cbranch_execz .LBB39_612
.LBB39_611:
	v_and_b32_e32 v3, 0xffff, v4
	v_lshlrev_b32_e32 v4, 24, v4
	s_delay_alu instid0(VALU_DEP_2) | instskip(NEXT) | instid1(VALU_DEP_2)
	v_and_b32_e32 v6, 7, v3
	v_and_b32_e32 v4, 0x80000000, v4
	s_delay_alu instid0(VALU_DEP_2) | instskip(NEXT) | instid1(VALU_DEP_1)
	v_clz_i32_u32_e32 v8, v6
	v_min_u32_e32 v8, 32, v8
	s_delay_alu instid0(VALU_DEP_1) | instskip(SKIP_1) | instid1(VALU_DEP_2)
	v_subrev_nc_u32_e32 v9, 28, v8
	v_sub_nc_u32_e32 v8, 29, v8
	v_lshlrev_b32_e32 v9, v9, v3
	v_bfe_u32 v3, v3, 3, 4
	s_delay_alu instid0(VALU_DEP_2) | instskip(NEXT) | instid1(VALU_DEP_2)
	v_and_b32_e32 v9, 7, v9
	v_cmp_eq_u32_e32 vcc_lo, 0, v3
	s_delay_alu instid0(VALU_DEP_2) | instskip(NEXT) | instid1(VALU_DEP_1)
	v_dual_cndmask_b32 v3, v3, v8 :: v_dual_cndmask_b32 v6, v6, v9
	v_lshl_add_u32 v3, v3, 23, 0x3b800000
	s_delay_alu instid0(VALU_DEP_2) | instskip(NEXT) | instid1(VALU_DEP_1)
	v_lshlrev_b32_e32 v6, 20, v6
	v_or3_b32 v3, v4, v3, v6
.LBB39_612:
	s_or_b32 exec_lo, exec_lo, s26
.LBB39_613:
	s_mov_b32 s2, -1
.LBB39_614:
	s_mov_b32 s26, 0
.LBB39_615:
	s_delay_alu instid0(SALU_CYCLE_1)
	s_and_b32 vcc_lo, exec_lo, s26
	s_cbranch_vccz .LBB39_650
; %bb.616:
	v_cmp_lt_i16_e32 vcc_lo, 22, v5
	s_cbranch_vccz .LBB39_626
; %bb.617:
	v_cmp_gt_i16_e32 vcc_lo, 24, v5
	s_cbranch_vccnz .LBB39_629
; %bb.618:
	v_cmp_lt_i16_e32 vcc_lo, 24, v5
	s_cbranch_vccz .LBB39_630
; %bb.619:
	global_load_u8 v4, v[1:2], off
	s_mov_b32 s2, 0
	s_mov_b32 s27, exec_lo
                                        ; implicit-def: $sgpr26
	s_waitcnt vmcnt(0)
	v_cmpx_lt_i16_e32 0x7f, v4
	s_xor_b32 s27, exec_lo, s27
	s_cbranch_execz .LBB39_642
; %bb.620:
	s_mov_b32 s2, -1
	s_mov_b32 s29, exec_lo
                                        ; implicit-def: $sgpr26
	v_cmpx_eq_u16_e32 0x80, v4
; %bb.621:
	s_mov_b32 s26, 0x7f800001
	s_xor_b32 s2, exec_lo, -1
; %bb.622:
	s_or_b32 exec_lo, exec_lo, s29
	s_delay_alu instid0(SALU_CYCLE_1)
	s_and_b32 s2, s2, exec_lo
	s_or_saveexec_b32 s27, s27
	v_mov_b32_e32 v3, s26
	s_xor_b32 exec_lo, exec_lo, s27
	s_cbranch_execnz .LBB39_643
.LBB39_623:
	s_or_b32 exec_lo, exec_lo, s27
	s_and_saveexec_b32 s26, s2
	s_cbranch_execz .LBB39_625
.LBB39_624:
	v_and_b32_e32 v3, 0xffff, v4
	v_lshlrev_b32_e32 v4, 24, v4
	s_delay_alu instid0(VALU_DEP_2) | instskip(NEXT) | instid1(VALU_DEP_2)
	v_and_b32_e32 v6, 3, v3
	v_and_b32_e32 v4, 0x80000000, v4
	s_delay_alu instid0(VALU_DEP_2) | instskip(NEXT) | instid1(VALU_DEP_1)
	v_clz_i32_u32_e32 v8, v6
	v_min_u32_e32 v8, 32, v8
	s_delay_alu instid0(VALU_DEP_1) | instskip(SKIP_1) | instid1(VALU_DEP_2)
	v_subrev_nc_u32_e32 v9, 29, v8
	v_sub_nc_u32_e32 v8, 30, v8
	v_lshlrev_b32_e32 v9, v9, v3
	v_bfe_u32 v3, v3, 2, 5
	s_delay_alu instid0(VALU_DEP_2) | instskip(NEXT) | instid1(VALU_DEP_2)
	v_and_b32_e32 v9, 3, v9
	v_cmp_eq_u32_e32 vcc_lo, 0, v3
	s_delay_alu instid0(VALU_DEP_2) | instskip(NEXT) | instid1(VALU_DEP_1)
	v_dual_cndmask_b32 v3, v3, v8 :: v_dual_cndmask_b32 v6, v6, v9
	v_lshl_add_u32 v3, v3, 23, 0x37800000
	s_delay_alu instid0(VALU_DEP_2) | instskip(NEXT) | instid1(VALU_DEP_1)
	v_lshlrev_b32_e32 v6, 21, v6
	v_or3_b32 v3, v4, v3, v6
.LBB39_625:
	s_or_b32 exec_lo, exec_lo, s26
	s_mov_b32 s2, 0
	s_branch .LBB39_631
.LBB39_626:
	s_mov_b32 s26, -1
                                        ; implicit-def: $vgpr3
	s_branch .LBB39_637
.LBB39_627:
	s_or_saveexec_b32 s27, s27
	v_mov_b32_e32 v3, s26
	s_xor_b32 exec_lo, exec_lo, s27
	s_cbranch_execz .LBB39_610
.LBB39_628:
	v_cmp_ne_u16_e32 vcc_lo, 0, v4
	v_mov_b32_e32 v3, 0
	s_and_not1_b32 s2, s2, exec_lo
	s_and_b32 s26, vcc_lo, exec_lo
	s_delay_alu instid0(SALU_CYCLE_1)
	s_or_b32 s2, s2, s26
	s_or_b32 exec_lo, exec_lo, s27
	s_and_saveexec_b32 s26, s2
	s_cbranch_execnz .LBB39_611
	s_branch .LBB39_612
.LBB39_629:
	s_mov_b32 s2, -1
                                        ; implicit-def: $vgpr3
	s_branch .LBB39_634
.LBB39_630:
	s_mov_b32 s2, -1
                                        ; implicit-def: $vgpr3
.LBB39_631:
	s_delay_alu instid0(SALU_CYCLE_1)
	s_and_b32 vcc_lo, exec_lo, s2
	s_cbranch_vccz .LBB39_633
; %bb.632:
	global_load_u8 v3, v[1:2], off
	s_waitcnt vmcnt(0)
	v_lshlrev_b32_e32 v3, 24, v3
	s_delay_alu instid0(VALU_DEP_1) | instskip(NEXT) | instid1(VALU_DEP_1)
	v_and_b32_e32 v4, 0x7f000000, v3
	v_clz_i32_u32_e32 v6, v4
	v_add_nc_u32_e32 v9, 0x1000000, v4
	v_cmp_ne_u32_e32 vcc_lo, 0, v4
	s_delay_alu instid0(VALU_DEP_3) | instskip(NEXT) | instid1(VALU_DEP_1)
	v_min_u32_e32 v6, 32, v6
	v_sub_nc_u32_e64 v6, v6, 4 clamp
	s_delay_alu instid0(VALU_DEP_1) | instskip(SKIP_1) | instid1(VALU_DEP_2)
	v_lshlrev_b32_e32 v8, v6, v4
	v_lshlrev_b32_e32 v6, 23, v6
	v_lshrrev_b32_e32 v8, 4, v8
	s_delay_alu instid0(VALU_DEP_1) | instskip(SKIP_1) | instid1(VALU_DEP_2)
	v_sub_nc_u32_e32 v6, v8, v6
	v_ashrrev_i32_e32 v8, 8, v9
	v_add_nc_u32_e32 v6, 0x3c000000, v6
	s_delay_alu instid0(VALU_DEP_1) | instskip(NEXT) | instid1(VALU_DEP_1)
	v_and_or_b32 v6, 0x7f800000, v8, v6
	v_cndmask_b32_e32 v4, 0, v6, vcc_lo
	s_delay_alu instid0(VALU_DEP_1)
	v_and_or_b32 v3, 0x80000000, v3, v4
.LBB39_633:
	s_mov_b32 s2, 0
.LBB39_634:
	s_delay_alu instid0(SALU_CYCLE_1)
	s_and_not1_b32 vcc_lo, exec_lo, s2
	s_cbranch_vccnz .LBB39_636
; %bb.635:
	global_load_u8 v3, v[1:2], off
	s_waitcnt vmcnt(0)
	v_lshlrev_b32_e32 v4, 25, v3
	v_lshlrev_b16 v3, 8, v3
	s_delay_alu instid0(VALU_DEP_2) | instskip(NEXT) | instid1(VALU_DEP_2)
	v_lshrrev_b32_e32 v6, 4, v4
	v_and_or_b32 v8, 0x7f00, v3, 0.5
	v_cmp_gt_u32_e32 vcc_lo, 0x8000000, v4
	v_bfe_i32 v3, v3, 0, 16
	s_delay_alu instid0(VALU_DEP_4) | instskip(NEXT) | instid1(VALU_DEP_4)
	v_or_b32_e32 v6, 0x70000000, v6
	v_add_f32_e32 v8, -0.5, v8
	s_delay_alu instid0(VALU_DEP_2) | instskip(NEXT) | instid1(VALU_DEP_1)
	v_mul_f32_e32 v6, 0x7800000, v6
	v_cndmask_b32_e32 v4, v6, v8, vcc_lo
	s_delay_alu instid0(VALU_DEP_1)
	v_and_or_b32 v3, 0x80000000, v3, v4
.LBB39_636:
	s_mov_b32 s26, 0
	s_mov_b32 s2, -1
.LBB39_637:
	s_and_not1_b32 vcc_lo, exec_lo, s26
	s_cbranch_vccnz .LBB39_650
; %bb.638:
	v_cmp_lt_i16_e32 vcc_lo, 14, v5
	s_cbranch_vccz .LBB39_641
; %bb.639:
	v_cmp_eq_u16_e32 vcc_lo, 15, v5
	s_cbranch_vccz .LBB39_644
; %bb.640:
	global_load_u16 v3, v[1:2], off
	s_mov_b32 s2, -1
	s_mov_b32 s28, 0
	s_waitcnt vmcnt(0)
	v_lshlrev_b32_e32 v3, 16, v3
	s_branch .LBB39_645
.LBB39_641:
	s_mov_b32 s26, -1
                                        ; implicit-def: $vgpr3
	s_branch .LBB39_646
.LBB39_642:
	s_or_saveexec_b32 s27, s27
	v_mov_b32_e32 v3, s26
	s_xor_b32 exec_lo, exec_lo, s27
	s_cbranch_execz .LBB39_623
.LBB39_643:
	v_cmp_ne_u16_e32 vcc_lo, 0, v4
	v_mov_b32_e32 v3, 0
	s_and_not1_b32 s2, s2, exec_lo
	s_and_b32 s26, vcc_lo, exec_lo
	s_delay_alu instid0(SALU_CYCLE_1)
	s_or_b32 s2, s2, s26
	s_or_b32 exec_lo, exec_lo, s27
	s_and_saveexec_b32 s26, s2
	s_cbranch_execnz .LBB39_624
	s_branch .LBB39_625
.LBB39_644:
	s_mov_b32 s28, -1
                                        ; implicit-def: $vgpr3
.LBB39_645:
	s_mov_b32 s26, 0
.LBB39_646:
	s_delay_alu instid0(SALU_CYCLE_1)
	s_and_b32 vcc_lo, exec_lo, s26
	s_cbranch_vccz .LBB39_650
; %bb.647:
	v_cmp_eq_u16_e32 vcc_lo, 11, v5
	s_cbranch_vccz .LBB39_649
; %bb.648:
	global_load_u8 v3, v[1:2], off
	s_mov_b32 s28, 0
	s_mov_b32 s2, -1
	s_waitcnt vmcnt(0)
	v_cmp_ne_u16_e32 vcc_lo, 0, v3
	v_cndmask_b32_e64 v3, 0, 1.0, vcc_lo
	s_branch .LBB39_650
.LBB39_649:
	s_mov_b32 s28, -1
                                        ; implicit-def: $vgpr3
.LBB39_650:
	s_mov_b32 s26, 0
.LBB39_651:
	s_delay_alu instid0(SALU_CYCLE_1)
	s_and_b32 vcc_lo, exec_lo, s26
	s_cbranch_vccz .LBB39_700
; %bb.652:
	v_cmp_gt_i16_e32 vcc_lo, 5, v5
	s_cbranch_vccnz .LBB39_657
; %bb.653:
	v_cmp_gt_i16_e32 vcc_lo, 8, v5
	s_cbranch_vccnz .LBB39_658
	;; [unrolled: 3-line block ×3, first 2 shown]
; %bb.655:
	v_cmp_lt_i16_e32 vcc_lo, 9, v5
	s_cbranch_vccz .LBB39_660
; %bb.656:
	global_load_b64 v[3:4], v[1:2], off
	s_mov_b32 s2, 0
	s_waitcnt vmcnt(0)
	v_cvt_f32_f64_e32 v3, v[3:4]
	s_branch .LBB39_661
.LBB39_657:
	s_mov_b32 s2, -1
                                        ; implicit-def: $vgpr3
	s_branch .LBB39_679
.LBB39_658:
	s_mov_b32 s2, -1
                                        ; implicit-def: $vgpr3
	s_branch .LBB39_667
.LBB39_659:
	s_mov_b32 s2, -1
                                        ; implicit-def: $vgpr3
	s_branch .LBB39_664
.LBB39_660:
	s_mov_b32 s2, -1
                                        ; implicit-def: $vgpr3
.LBB39_661:
	s_delay_alu instid0(SALU_CYCLE_1)
	s_and_not1_b32 vcc_lo, exec_lo, s2
	s_cbranch_vccnz .LBB39_663
; %bb.662:
	global_load_b32 v3, v[1:2], off
.LBB39_663:
	s_mov_b32 s2, 0
.LBB39_664:
	s_delay_alu instid0(SALU_CYCLE_1)
	s_and_not1_b32 vcc_lo, exec_lo, s2
	s_cbranch_vccnz .LBB39_666
; %bb.665:
	global_load_b32 v3, v[1:2], off
	s_waitcnt vmcnt(0)
	v_cvt_f32_f16_e32 v3, v3
.LBB39_666:
	s_mov_b32 s2, 0
.LBB39_667:
	s_delay_alu instid0(SALU_CYCLE_1)
	s_and_not1_b32 vcc_lo, exec_lo, s2
	s_cbranch_vccnz .LBB39_678
; %bb.668:
	v_cmp_gt_i16_e32 vcc_lo, 6, v5
	s_cbranch_vccnz .LBB39_671
; %bb.669:
	v_cmp_lt_i16_e32 vcc_lo, 6, v5
	s_cbranch_vccz .LBB39_672
; %bb.670:
	global_load_b64 v[3:4], v[1:2], off
	s_mov_b32 s2, 0
	s_waitcnt vmcnt(0)
	v_cvt_f32_f64_e32 v3, v[3:4]
	s_branch .LBB39_673
.LBB39_671:
	s_mov_b32 s2, -1
                                        ; implicit-def: $vgpr3
	s_branch .LBB39_676
.LBB39_672:
	s_mov_b32 s2, -1
                                        ; implicit-def: $vgpr3
.LBB39_673:
	s_delay_alu instid0(SALU_CYCLE_1)
	s_and_not1_b32 vcc_lo, exec_lo, s2
	s_cbranch_vccnz .LBB39_675
; %bb.674:
	global_load_b32 v3, v[1:2], off
.LBB39_675:
	s_mov_b32 s2, 0
.LBB39_676:
	s_delay_alu instid0(SALU_CYCLE_1)
	s_and_not1_b32 vcc_lo, exec_lo, s2
	s_cbranch_vccnz .LBB39_678
; %bb.677:
	global_load_u16 v3, v[1:2], off
	s_waitcnt vmcnt(0)
	v_cvt_f32_f16_e32 v3, v3
.LBB39_678:
	s_mov_b32 s2, 0
.LBB39_679:
	s_delay_alu instid0(SALU_CYCLE_1)
	s_and_not1_b32 vcc_lo, exec_lo, s2
	s_cbranch_vccnz .LBB39_699
; %bb.680:
	v_cmp_gt_i16_e32 vcc_lo, 2, v5
	s_cbranch_vccnz .LBB39_684
; %bb.681:
	v_cmp_gt_i16_e32 vcc_lo, 3, v5
	s_cbranch_vccnz .LBB39_685
; %bb.682:
	v_cmp_lt_i16_e32 vcc_lo, 3, v5
	s_cbranch_vccz .LBB39_686
; %bb.683:
	global_load_b64 v[3:4], v[1:2], off
	s_mov_b32 s2, 0
	s_waitcnt vmcnt(0)
	v_xor_b32_e32 v6, v3, v4
	v_cls_i32_e32 v8, v4
	s_delay_alu instid0(VALU_DEP_2) | instskip(NEXT) | instid1(VALU_DEP_2)
	v_ashrrev_i32_e32 v6, 31, v6
	v_add_nc_u32_e32 v8, -1, v8
	s_delay_alu instid0(VALU_DEP_2) | instskip(NEXT) | instid1(VALU_DEP_1)
	v_add_nc_u32_e32 v6, 32, v6
	v_min_u32_e32 v6, v8, v6
	s_delay_alu instid0(VALU_DEP_1) | instskip(NEXT) | instid1(VALU_DEP_1)
	v_lshlrev_b64 v[3:4], v6, v[3:4]
	v_min_u32_e32 v3, 1, v3
	s_delay_alu instid0(VALU_DEP_1) | instskip(SKIP_1) | instid1(VALU_DEP_2)
	v_or_b32_e32 v3, v4, v3
	v_sub_nc_u32_e32 v4, 32, v6
	v_cvt_f32_i32_e32 v3, v3
	s_delay_alu instid0(VALU_DEP_1)
	v_ldexp_f32 v3, v3, v4
	s_branch .LBB39_687
.LBB39_684:
	s_mov_b32 s2, -1
                                        ; implicit-def: $vgpr3
	s_branch .LBB39_693
.LBB39_685:
	s_mov_b32 s2, -1
                                        ; implicit-def: $vgpr3
	s_branch .LBB39_690
.LBB39_686:
	s_mov_b32 s2, -1
                                        ; implicit-def: $vgpr3
.LBB39_687:
	s_delay_alu instid0(SALU_CYCLE_1)
	s_and_not1_b32 vcc_lo, exec_lo, s2
	s_cbranch_vccnz .LBB39_689
; %bb.688:
	global_load_b32 v3, v[1:2], off
	s_waitcnt vmcnt(0)
	v_cvt_f32_i32_e32 v3, v3
.LBB39_689:
	s_mov_b32 s2, 0
.LBB39_690:
	s_delay_alu instid0(SALU_CYCLE_1)
	s_and_not1_b32 vcc_lo, exec_lo, s2
	s_cbranch_vccnz .LBB39_692
; %bb.691:
	global_load_i16 v3, v[1:2], off
	s_waitcnt vmcnt(0)
	v_cvt_f32_i32_e32 v3, v3
.LBB39_692:
	s_mov_b32 s2, 0
.LBB39_693:
	s_delay_alu instid0(SALU_CYCLE_1)
	s_and_not1_b32 vcc_lo, exec_lo, s2
	s_cbranch_vccnz .LBB39_699
; %bb.694:
	v_cmp_lt_i16_e32 vcc_lo, 0, v5
	s_mov_b32 s2, 0
	s_cbranch_vccz .LBB39_696
; %bb.695:
	global_load_i8 v3, v[1:2], off
	s_waitcnt vmcnt(0)
	v_cvt_f32_i32_e32 v3, v3
	s_branch .LBB39_697
.LBB39_696:
	s_mov_b32 s2, -1
                                        ; implicit-def: $vgpr3
.LBB39_697:
	s_delay_alu instid0(SALU_CYCLE_1)
	s_and_not1_b32 vcc_lo, exec_lo, s2
	s_cbranch_vccnz .LBB39_699
; %bb.698:
	global_load_u8 v1, v[1:2], off
	s_waitcnt vmcnt(0)
	v_cvt_f32_ubyte0_e32 v3, v1
.LBB39_699:
	s_mov_b32 s2, -1
.LBB39_700:
	s_delay_alu instid0(SALU_CYCLE_1)
	s_and_not1_b32 vcc_lo, exec_lo, s2
	s_cbranch_vccnz .LBB39_708
; %bb.701:
	v_mov_b32_e32 v1, 0
	s_and_not1_b32 vcc_lo, exec_lo, s37
	s_cbranch_vccnz .LBB39_712
; %bb.702:
	v_cmp_lt_i64_e64 s2, s[20:21], 1
	v_mov_b32_e32 v1, 1.0
	s_delay_alu instid0(VALU_DEP_2)
	s_and_b32 vcc_lo, exec_lo, s2
	s_cbranch_vccnz .LBB39_712
; %bb.703:
	s_cmp_lg_u64 s[20:21], 1
	s_cbranch_scc0 .LBB39_709
; %bb.704:
	v_mov_b32_e32 v1, 0x7fc00000
	s_and_not1_b32 vcc_lo, exec_lo, s36
	s_cbranch_vccnz .LBB39_707
; %bb.705:
	s_waitcnt vmcnt(0)
	v_add_f32_e32 v2, v3, v3
	v_mov_b32_e32 v4, 1.0
	s_mov_b64 s[26:27], 2
	s_delay_alu instid0(VALU_DEP_2)
	v_mov_b32_e32 v1, v2
.LBB39_706:                             ; =>This Inner Loop Header: Depth=1
	s_clz_i32_u32 s2, s27
	s_delay_alu instid0(SALU_CYCLE_1) | instskip(NEXT) | instid1(SALU_CYCLE_1)
	s_min_u32 s2, s2, 32
	s_lshl_b64 s[50:51], s[26:27], s2
	s_sub_i32 s2, 32, s2
	s_min_u32 s29, s50, 1
	s_delay_alu instid0(SALU_CYCLE_1) | instskip(SKIP_3) | instid1(VALU_DEP_1)
	s_or_b32 s29, s51, s29
	s_add_u32 s26, s26, 2
	v_cvt_f32_u32_e32 v6, s29
	s_addc_u32 s27, s27, 0
	v_ldexp_f32 v6, v6, s2
	v_cmp_lt_u64_e64 s2, s[26:27], s[18:19]
	s_delay_alu instid0(VALU_DEP_2) | instskip(SKIP_1) | instid1(VALU_DEP_3)
	v_mul_f32_e32 v6, v4, v6
	v_mov_b32_e32 v4, v1
	s_and_b32 vcc_lo, exec_lo, s2
	s_delay_alu instid0(VALU_DEP_2)
	v_fma_f32 v1, v2, v1, -v6
	s_cbranch_vccnz .LBB39_706
.LBB39_707:
	s_mov_b32 s2, 0
	s_branch .LBB39_710
.LBB39_708:
	s_mov_b32 s26, 0
	s_mov_b32 s2, s46
	s_branch .LBB39_759
.LBB39_709:
	s_mov_b32 s2, -1
                                        ; implicit-def: $vgpr1
.LBB39_710:
	s_delay_alu instid0(SALU_CYCLE_1)
	s_and_not1_b32 vcc_lo, exec_lo, s2
	s_cbranch_vccnz .LBB39_712
; %bb.711:
	s_waitcnt vmcnt(0)
	s_delay_alu instid0(VALU_DEP_4)
	v_add_f32_e32 v1, v3, v3
.LBB39_712:
	v_and_b32_e64 v6, 0xff, s3
	s_waitcnt vmcnt(0)
	v_add_co_u32 v3, s2, s4, v0
	s_delay_alu instid0(VALU_DEP_1) | instskip(NEXT) | instid1(VALU_DEP_3)
	v_add_co_ci_u32_e64 v4, null, s5, 0, s2
	v_cmp_gt_i16_e32 vcc_lo, 11, v6
	s_mov_b32 s26, 0
	s_mov_b32 s27, -1
	s_mov_b32 s2, s46
	s_cbranch_vccnz .LBB39_719
; %bb.713:
	v_cmp_lt_i16_e32 vcc_lo, 25, v6
	s_cbranch_vccz .LBB39_760
; %bb.714:
	v_cmp_lt_i16_e32 vcc_lo, 28, v6
	s_cbranch_vccz .LBB39_761
	;; [unrolled: 3-line block ×4, first 2 shown]
; %bb.717:
	v_cmp_eq_u16_e32 vcc_lo, 46, v6
	s_mov_b32 s27, 0
	s_mov_b32 s2, -1
	s_cbranch_vccz .LBB39_764
; %bb.718:
	v_bfe_u32 v0, v1, 16, 1
	v_cmp_o_f32_e32 vcc_lo, v1, v1
	s_mov_b32 s26, -1
	s_mov_b32 s2, 0
	s_delay_alu instid0(VALU_DEP_2) | instskip(NEXT) | instid1(VALU_DEP_1)
	v_add3_u32 v0, v1, v0, 0x7fff
	v_lshrrev_b32_e32 v0, 16, v0
	s_delay_alu instid0(VALU_DEP_1)
	v_cndmask_b32_e32 v0, 0x7fc0, v0, vcc_lo
	global_store_b32 v[3:4], v0, off
	s_branch .LBB39_764
.LBB39_719:
	s_and_b32 vcc_lo, exec_lo, s27
	s_cbranch_vccz .LBB39_833
; %bb.720:
	v_cmp_gt_i16_e32 vcc_lo, 5, v6
	s_mov_b32 s26, -1
	s_cbranch_vccnz .LBB39_741
; %bb.721:
	v_cmp_gt_i16_e32 vcc_lo, 8, v6
	s_cbranch_vccnz .LBB39_731
; %bb.722:
	v_cmp_gt_i16_e32 vcc_lo, 9, v6
	s_cbranch_vccnz .LBB39_728
; %bb.723:
	v_cmp_lt_i16_e32 vcc_lo, 9, v6
	s_cbranch_vccz .LBB39_725
; %bb.724:
	v_cvt_f64_f32_e32 v[8:9], v1
	v_mov_b32_e32 v10, 0
	s_mov_b32 s26, 0
	s_delay_alu instid0(VALU_DEP_1)
	v_mov_b32_e32 v11, v10
	global_store_b128 v[3:4], v[8:11], off
.LBB39_725:
	s_and_not1_b32 vcc_lo, exec_lo, s26
	s_cbranch_vccnz .LBB39_727
; %bb.726:
	v_mov_b32_e32 v2, 0
	global_store_b64 v[3:4], v[1:2], off
.LBB39_727:
	s_mov_b32 s26, 0
.LBB39_728:
	s_delay_alu instid0(SALU_CYCLE_1)
	s_and_not1_b32 vcc_lo, exec_lo, s26
	s_cbranch_vccnz .LBB39_730
; %bb.729:
	v_cvt_f16_f32_e32 v0, v1
	s_delay_alu instid0(VALU_DEP_1)
	v_and_b32_e32 v0, 0xffff, v0
	global_store_b32 v[3:4], v0, off
.LBB39_730:
	s_mov_b32 s26, 0
.LBB39_731:
	s_delay_alu instid0(SALU_CYCLE_1)
	s_and_not1_b32 vcc_lo, exec_lo, s26
	s_cbranch_vccnz .LBB39_740
; %bb.732:
	v_cmp_gt_i16_e32 vcc_lo, 6, v6
	s_mov_b32 s26, -1
	s_cbranch_vccnz .LBB39_738
; %bb.733:
	v_cmp_lt_i16_e32 vcc_lo, 6, v6
	s_cbranch_vccz .LBB39_735
; %bb.734:
	v_cvt_f64_f32_e32 v[8:9], v1
	s_mov_b32 s26, 0
	global_store_b64 v[3:4], v[8:9], off
.LBB39_735:
	s_and_not1_b32 vcc_lo, exec_lo, s26
	s_cbranch_vccnz .LBB39_737
; %bb.736:
	global_store_b32 v[3:4], v1, off
.LBB39_737:
	s_mov_b32 s26, 0
.LBB39_738:
	s_delay_alu instid0(SALU_CYCLE_1)
	s_and_not1_b32 vcc_lo, exec_lo, s26
	s_cbranch_vccnz .LBB39_740
; %bb.739:
	v_cvt_f16_f32_e32 v0, v1
	global_store_b16 v[3:4], v0, off
.LBB39_740:
	s_mov_b32 s26, 0
.LBB39_741:
	s_delay_alu instid0(SALU_CYCLE_1)
	s_and_not1_b32 vcc_lo, exec_lo, s26
	s_cbranch_vccnz .LBB39_757
; %bb.742:
	v_cmp_gt_i16_e32 vcc_lo, 2, v6
	s_mov_b32 s26, -1
	s_cbranch_vccnz .LBB39_752
; %bb.743:
	v_cmp_gt_i16_e32 vcc_lo, 3, v6
	s_cbranch_vccnz .LBB39_749
; %bb.744:
	v_cmp_lt_i16_e32 vcc_lo, 3, v6
	s_cbranch_vccz .LBB39_746
; %bb.745:
	v_trunc_f32_e32 v0, v1
	s_mov_b32 s26, 0
	s_delay_alu instid0(VALU_DEP_1) | instskip(NEXT) | instid1(VALU_DEP_1)
	v_mul_f32_e64 v2, 0x2f800000, |v0|
	v_floor_f32_e32 v2, v2
	s_delay_alu instid0(VALU_DEP_1) | instskip(SKIP_2) | instid1(VALU_DEP_3)
	v_fma_f32 v8, 0xcf800000, v2, |v0|
	v_ashrrev_i32_e32 v0, 31, v0
	v_cvt_u32_f32_e32 v2, v2
	v_cvt_u32_f32_e32 v8, v8
	s_delay_alu instid0(VALU_DEP_2) | instskip(NEXT) | instid1(VALU_DEP_2)
	v_xor_b32_e32 v2, v2, v0
	v_xor_b32_e32 v8, v8, v0
	s_delay_alu instid0(VALU_DEP_1) | instskip(NEXT) | instid1(VALU_DEP_3)
	v_sub_co_u32 v8, vcc_lo, v8, v0
	v_sub_co_ci_u32_e32 v9, vcc_lo, v2, v0, vcc_lo
	global_store_b64 v[3:4], v[8:9], off
.LBB39_746:
	s_and_not1_b32 vcc_lo, exec_lo, s26
	s_cbranch_vccnz .LBB39_748
; %bb.747:
	v_cvt_i32_f32_e32 v0, v1
	global_store_b32 v[3:4], v0, off
.LBB39_748:
	s_mov_b32 s26, 0
.LBB39_749:
	s_delay_alu instid0(SALU_CYCLE_1)
	s_and_not1_b32 vcc_lo, exec_lo, s26
	s_cbranch_vccnz .LBB39_751
; %bb.750:
	v_cvt_i32_f32_e32 v0, v1
	global_store_b16 v[3:4], v0, off
.LBB39_751:
	s_mov_b32 s26, 0
.LBB39_752:
	s_delay_alu instid0(SALU_CYCLE_1)
	s_and_not1_b32 vcc_lo, exec_lo, s26
	s_cbranch_vccnz .LBB39_757
; %bb.753:
	v_cmp_lt_i16_e32 vcc_lo, 0, v6
	s_mov_b32 s26, -1
	s_cbranch_vccz .LBB39_755
; %bb.754:
	v_cvt_i32_f32_e32 v0, v1
	s_mov_b32 s26, 0
	global_store_b8 v[3:4], v0, off
.LBB39_755:
	s_and_not1_b32 vcc_lo, exec_lo, s26
	s_cbranch_vccnz .LBB39_757
; %bb.756:
	v_trunc_f32_e32 v0, v1
	s_delay_alu instid0(VALU_DEP_1) | instskip(NEXT) | instid1(VALU_DEP_1)
	v_mul_f32_e64 v1, 0x2f800000, |v0|
	v_floor_f32_e32 v1, v1
	s_delay_alu instid0(VALU_DEP_1) | instskip(SKIP_1) | instid1(VALU_DEP_2)
	v_fma_f32 v1, 0xcf800000, v1, |v0|
	v_ashrrev_i32_e32 v0, 31, v0
	v_cvt_u32_f32_e32 v1, v1
	s_delay_alu instid0(VALU_DEP_1) | instskip(NEXT) | instid1(VALU_DEP_1)
	v_xor_b32_e32 v1, v1, v0
	v_sub_nc_u32_e32 v0, v1, v0
	global_store_b8 v[3:4], v0, off
.LBB39_757:
	s_branch .LBB39_834
.LBB39_758:
	s_mov_b32 s26, 0
.LBB39_759:
                                        ; implicit-def: $vgpr7
	s_branch .LBB39_835
.LBB39_760:
	s_mov_b32 s2, s46
	s_branch .LBB39_791
.LBB39_761:
	s_mov_b32 s2, s46
	s_branch .LBB39_774
.LBB39_762:
	s_mov_b32 s2, s46
	s_branch .LBB39_770
.LBB39_763:
	s_mov_b32 s2, s46
.LBB39_764:
	s_and_b32 vcc_lo, exec_lo, s27
	s_cbranch_vccz .LBB39_769
; %bb.765:
	v_cmp_eq_u16_e32 vcc_lo, 44, v6
	s_mov_b32 s2, -1
	s_cbranch_vccz .LBB39_769
; %bb.766:
	v_bfe_u32 v2, v1, 23, 8
	v_mov_b32_e32 v0, 0xff
	s_mov_b32 s26, exec_lo
	s_delay_alu instid0(VALU_DEP_2)
	v_cmpx_ne_u32_e32 0xff, v2
; %bb.767:
	v_and_b32_e32 v0, 0x400000, v1
	v_and_or_b32 v2, 0x3fffff, v1, v2
	s_delay_alu instid0(VALU_DEP_2) | instskip(NEXT) | instid1(VALU_DEP_2)
	v_cmp_ne_u32_e32 vcc_lo, 0, v0
	v_cmp_ne_u32_e64 s2, 0, v2
	v_lshrrev_b32_e32 v0, 23, v1
	s_delay_alu instid0(VALU_DEP_2) | instskip(NEXT) | instid1(SALU_CYCLE_1)
	s_and_b32 s2, vcc_lo, s2
	v_cndmask_b32_e64 v2, 0, 1, s2
	s_delay_alu instid0(VALU_DEP_1)
	v_add_nc_u32_e32 v0, v0, v2
; %bb.768:
	s_or_b32 exec_lo, exec_lo, s26
	s_mov_b32 s26, -1
	s_mov_b32 s2, 0
	global_store_b8 v[3:4], v0, off
.LBB39_769:
	s_mov_b32 s27, 0
.LBB39_770:
	s_delay_alu instid0(SALU_CYCLE_1)
	s_and_b32 vcc_lo, exec_lo, s27
	s_cbranch_vccz .LBB39_773
; %bb.771:
	v_cmp_eq_u16_e32 vcc_lo, 29, v6
	s_mov_b32 s2, -1
	s_cbranch_vccz .LBB39_773
; %bb.772:
	v_trunc_f32_e32 v0, v1
	s_mov_b32 s26, -1
	s_mov_b32 s2, 0
	s_mov_b32 s27, 0
	s_delay_alu instid0(VALU_DEP_1) | instskip(NEXT) | instid1(VALU_DEP_1)
	v_mul_f32_e32 v2, 0x2f800000, v0
	v_floor_f32_e32 v2, v2
	s_delay_alu instid0(VALU_DEP_1) | instskip(SKIP_1) | instid1(VALU_DEP_2)
	v_fmamk_f32 v0, v2, 0xcf800000, v0
	v_cvt_u32_f32_e32 v9, v2
	v_cvt_u32_f32_e32 v8, v0
	global_store_b64 v[3:4], v[8:9], off
	s_branch .LBB39_774
.LBB39_773:
	s_mov_b32 s27, 0
.LBB39_774:
	s_delay_alu instid0(SALU_CYCLE_1)
	s_and_b32 vcc_lo, exec_lo, s27
	s_cbranch_vccz .LBB39_790
; %bb.775:
	v_cmp_gt_i16_e32 vcc_lo, 27, v6
	s_mov_b32 s26, -1
	s_cbranch_vccnz .LBB39_781
; %bb.776:
	v_cmp_lt_i16_e32 vcc_lo, 27, v6
	s_cbranch_vccz .LBB39_778
; %bb.777:
	v_cvt_u32_f32_e32 v0, v1
	s_mov_b32 s26, 0
	global_store_b32 v[3:4], v0, off
.LBB39_778:
	s_and_not1_b32 vcc_lo, exec_lo, s26
	s_cbranch_vccnz .LBB39_780
; %bb.779:
	v_cvt_u32_f32_e32 v0, v1
	global_store_b16 v[3:4], v0, off
.LBB39_780:
	s_mov_b32 s26, 0
.LBB39_781:
	s_delay_alu instid0(SALU_CYCLE_1)
	s_and_not1_b32 vcc_lo, exec_lo, s26
	s_cbranch_vccnz .LBB39_789
; %bb.782:
	v_and_b32_e32 v0, 0x7fffffff, v1
	v_mov_b32_e32 v2, 0x80
	s_mov_b32 s26, exec_lo
	s_delay_alu instid0(VALU_DEP_2)
	v_cmpx_gt_u32_e32 0x43800000, v0
	s_cbranch_execz .LBB39_788
; %bb.783:
	v_cmp_lt_u32_e32 vcc_lo, 0x3bffffff, v0
	s_mov_b32 s27, 0
                                        ; implicit-def: $vgpr0
	s_and_saveexec_b32 s29, vcc_lo
	s_delay_alu instid0(SALU_CYCLE_1)
	s_xor_b32 s29, exec_lo, s29
	s_cbranch_execz .LBB39_862
; %bb.784:
	v_bfe_u32 v0, v1, 20, 1
	s_mov_b32 s27, exec_lo
	s_delay_alu instid0(VALU_DEP_1) | instskip(NEXT) | instid1(VALU_DEP_1)
	v_add3_u32 v0, v1, v0, 0x487ffff
	v_lshrrev_b32_e32 v0, 20, v0
	s_or_saveexec_b32 s29, s29
                                        ; implicit-def: $sgpr49
	s_delay_alu instid0(SALU_CYCLE_1)
	s_xor_b32 exec_lo, exec_lo, s29
	s_cbranch_execnz .LBB39_863
.LBB39_785:
	s_or_b32 exec_lo, exec_lo, s29
	v_mov_b32_e32 v2, s49
	s_and_saveexec_b32 s29, s27
.LBB39_786:
	v_lshrrev_b32_e32 v2, 24, v1
	s_delay_alu instid0(VALU_DEP_1)
	v_and_or_b32 v2, 0x80, v2, v0
.LBB39_787:
	s_or_b32 exec_lo, exec_lo, s29
.LBB39_788:
	s_delay_alu instid0(SALU_CYCLE_1)
	s_or_b32 exec_lo, exec_lo, s26
	global_store_b8 v[3:4], v2, off
.LBB39_789:
	s_mov_b32 s26, -1
.LBB39_790:
	s_mov_b32 s27, 0
.LBB39_791:
	s_delay_alu instid0(SALU_CYCLE_1)
	s_and_b32 vcc_lo, exec_lo, s27
	s_cbranch_vccz .LBB39_832
; %bb.792:
	v_cmp_lt_i16_e32 vcc_lo, 22, v6
	s_mov_b32 s27, -1
	s_cbranch_vccz .LBB39_824
; %bb.793:
	v_cmp_gt_i16_e32 vcc_lo, 24, v6
	s_mov_b32 s26, -1
	s_cbranch_vccnz .LBB39_813
; %bb.794:
	v_cmp_lt_i16_e32 vcc_lo, 24, v6
	s_cbranch_vccz .LBB39_802
; %bb.795:
	v_and_b32_e32 v0, 0x7fffffff, v1
	v_mov_b32_e32 v2, 0x80
	s_mov_b32 s26, exec_lo
	s_delay_alu instid0(VALU_DEP_2)
	v_cmpx_gt_u32_e32 0x47800000, v0
	s_cbranch_execz .LBB39_801
; %bb.796:
	v_cmp_lt_u32_e32 vcc_lo, 0x37ffffff, v0
	s_mov_b32 s27, 0
                                        ; implicit-def: $vgpr0
	s_and_saveexec_b32 s29, vcc_lo
	s_delay_alu instid0(SALU_CYCLE_1)
	s_xor_b32 s29, exec_lo, s29
	s_cbranch_execz .LBB39_865
; %bb.797:
	v_bfe_u32 v0, v1, 21, 1
	s_mov_b32 s27, exec_lo
	s_delay_alu instid0(VALU_DEP_1) | instskip(NEXT) | instid1(VALU_DEP_1)
	v_add3_u32 v0, v1, v0, 0x88fffff
	v_lshrrev_b32_e32 v0, 21, v0
	s_or_saveexec_b32 s29, s29
                                        ; implicit-def: $sgpr49
	s_delay_alu instid0(SALU_CYCLE_1)
	s_xor_b32 exec_lo, exec_lo, s29
	s_cbranch_execnz .LBB39_866
.LBB39_798:
	s_or_b32 exec_lo, exec_lo, s29
	v_mov_b32_e32 v2, s49
	s_and_saveexec_b32 s29, s27
.LBB39_799:
	v_lshrrev_b32_e32 v2, 24, v1
	s_delay_alu instid0(VALU_DEP_1)
	v_and_or_b32 v2, 0x80, v2, v0
.LBB39_800:
	s_or_b32 exec_lo, exec_lo, s29
.LBB39_801:
	s_delay_alu instid0(SALU_CYCLE_1)
	s_or_b32 exec_lo, exec_lo, s26
	s_mov_b32 s26, 0
	global_store_b8 v[3:4], v2, off
.LBB39_802:
	s_and_b32 vcc_lo, exec_lo, s26
	s_cbranch_vccz .LBB39_812
; %bb.803:
	v_and_b32_e32 v2, 0x7fffffff, v1
	s_mov_b32 s26, exec_lo
                                        ; implicit-def: $vgpr0
	s_delay_alu instid0(VALU_DEP_1)
	v_cmpx_gt_u32_e32 0x43f00000, v2
	s_xor_b32 s26, exec_lo, s26
	s_cbranch_execz .LBB39_809
; %bb.804:
	s_mov_b32 s27, exec_lo
                                        ; implicit-def: $vgpr0
	v_cmpx_lt_u32_e32 0x3c7fffff, v2
	s_xor_b32 s27, exec_lo, s27
; %bb.805:
	v_bfe_u32 v0, v1, 20, 1
	s_delay_alu instid0(VALU_DEP_1) | instskip(NEXT) | instid1(VALU_DEP_1)
	v_add3_u32 v0, v1, v0, 0x407ffff
	v_and_b32_e32 v2, 0xff00000, v0
	v_lshrrev_b32_e32 v0, 20, v0
	s_delay_alu instid0(VALU_DEP_2) | instskip(NEXT) | instid1(VALU_DEP_2)
	v_cmp_ne_u32_e32 vcc_lo, 0x7f00000, v2
	v_cndmask_b32_e32 v0, 0x7e, v0, vcc_lo
; %bb.806:
	s_and_not1_saveexec_b32 s27, s27
; %bb.807:
	v_add_f32_e64 v0, 0x46800000, |v1|
; %bb.808:
	s_or_b32 exec_lo, exec_lo, s27
                                        ; implicit-def: $vgpr2
.LBB39_809:
	s_and_not1_saveexec_b32 s26, s26
; %bb.810:
	v_mov_b32_e32 v0, 0x7f
	v_cmp_lt_u32_e32 vcc_lo, 0x7f800000, v2
	s_delay_alu instid0(VALU_DEP_2)
	v_cndmask_b32_e32 v0, 0x7e, v0, vcc_lo
; %bb.811:
	s_or_b32 exec_lo, exec_lo, s26
	v_lshrrev_b32_e32 v2, 24, v1
	s_delay_alu instid0(VALU_DEP_1)
	v_and_or_b32 v0, 0x80, v2, v0
	global_store_b8 v[3:4], v0, off
.LBB39_812:
	s_mov_b32 s26, 0
.LBB39_813:
	s_delay_alu instid0(SALU_CYCLE_1)
	s_and_not1_b32 vcc_lo, exec_lo, s26
	s_cbranch_vccnz .LBB39_823
; %bb.814:
	v_and_b32_e32 v2, 0x7fffffff, v1
	s_mov_b32 s26, exec_lo
                                        ; implicit-def: $vgpr0
	s_delay_alu instid0(VALU_DEP_1)
	v_cmpx_gt_u32_e32 0x47800000, v2
	s_xor_b32 s26, exec_lo, s26
	s_cbranch_execz .LBB39_820
; %bb.815:
	s_mov_b32 s27, exec_lo
                                        ; implicit-def: $vgpr0
	v_cmpx_lt_u32_e32 0x387fffff, v2
	s_xor_b32 s27, exec_lo, s27
; %bb.816:
	v_bfe_u32 v0, v1, 21, 1
	s_delay_alu instid0(VALU_DEP_1) | instskip(NEXT) | instid1(VALU_DEP_1)
	v_add3_u32 v0, v1, v0, 0x80fffff
	v_lshrrev_b32_e32 v0, 21, v0
; %bb.817:
	s_and_not1_saveexec_b32 s27, s27
; %bb.818:
	v_add_f32_e64 v0, 0x43000000, |v1|
; %bb.819:
	s_or_b32 exec_lo, exec_lo, s27
                                        ; implicit-def: $vgpr2
.LBB39_820:
	s_and_not1_saveexec_b32 s26, s26
; %bb.821:
	v_mov_b32_e32 v0, 0x7f
	v_cmp_lt_u32_e32 vcc_lo, 0x7f800000, v2
	s_delay_alu instid0(VALU_DEP_2)
	v_cndmask_b32_e32 v0, 0x7c, v0, vcc_lo
; %bb.822:
	s_or_b32 exec_lo, exec_lo, s26
	v_lshrrev_b32_e32 v2, 24, v1
	s_delay_alu instid0(VALU_DEP_1)
	v_and_or_b32 v0, 0x80, v2, v0
	global_store_b8 v[3:4], v0, off
.LBB39_823:
	s_mov_b32 s27, 0
	s_mov_b32 s26, -1
.LBB39_824:
	s_and_not1_b32 vcc_lo, exec_lo, s27
	s_cbranch_vccnz .LBB39_832
; %bb.825:
	v_cmp_lt_i16_e32 vcc_lo, 14, v6
	s_mov_b32 s27, -1
	s_cbranch_vccz .LBB39_829
; %bb.826:
	v_cmp_eq_u16_e32 vcc_lo, 15, v6
	s_mov_b32 s2, -1
	s_cbranch_vccz .LBB39_828
; %bb.827:
	v_bfe_u32 v0, v1, 16, 1
	v_cmp_o_f32_e32 vcc_lo, v1, v1
	s_mov_b32 s26, -1
	s_mov_b32 s2, 0
	s_delay_alu instid0(VALU_DEP_2) | instskip(NEXT) | instid1(VALU_DEP_1)
	v_add3_u32 v0, v1, v0, 0x7fff
	v_lshrrev_b32_e32 v0, 16, v0
	s_delay_alu instid0(VALU_DEP_1)
	v_cndmask_b32_e32 v0, 0x7fc0, v0, vcc_lo
	global_store_b16 v[3:4], v0, off
.LBB39_828:
	s_mov_b32 s27, 0
.LBB39_829:
	s_delay_alu instid0(SALU_CYCLE_1)
	s_and_b32 vcc_lo, exec_lo, s27
	s_cbranch_vccz .LBB39_832
; %bb.830:
	v_cmp_eq_u16_e32 vcc_lo, 11, v6
	s_mov_b32 s2, -1
	s_cbranch_vccz .LBB39_832
; %bb.831:
	v_cmp_neq_f32_e32 vcc_lo, 0, v1
	s_mov_b32 s2, 0
	s_mov_b32 s26, -1
	v_cndmask_b32_e64 v0, 0, 1, vcc_lo
	global_store_b8 v[3:4], v0, off
.LBB39_832:
.LBB39_833:
	s_and_not1_b32 vcc_lo, exec_lo, s26
	s_cbranch_vccnz .LBB39_758
.LBB39_834:
	v_add_nc_u32_e32 v7, 0x80, v7
	s_mov_b32 s26, -1
.LBB39_835:
	s_and_not1_b32 s27, s46, exec_lo
	s_and_b32 s2, s2, exec_lo
	s_and_not1_b32 s29, s45, exec_lo
	s_and_b32 s49, s28, exec_lo
	s_or_b32 s28, s27, s2
	s_or_b32 s2, s29, s49
	s_or_not1_b32 s49, s26, exec_lo
.LBB39_836:
	s_or_b32 exec_lo, exec_lo, s48
	s_mov_b32 s26, 0
	s_mov_b32 s27, 0
	;; [unrolled: 1-line block ×3, first 2 shown]
                                        ; implicit-def: $vgpr1_vgpr2
                                        ; implicit-def: $vgpr0
                                        ; implicit-def: $vgpr6
	s_and_saveexec_b32 s29, s49
	s_cbranch_execz .LBB39_934
; %bb.837:
	v_cmp_gt_i32_e32 vcc_lo, s39, v7
	s_mov_b32 s49, s2
                                        ; implicit-def: $vgpr1_vgpr2
                                        ; implicit-def: $vgpr0
                                        ; implicit-def: $vgpr6
	s_and_saveexec_b32 s39, vcc_lo
	s_cbranch_execz .LBB39_933
; %bb.838:
	s_and_not1_b32 vcc_lo, exec_lo, s34
	s_cbranch_vccnz .LBB39_843
; %bb.839:
	v_dual_mov_b32 v0, 0 :: v_dual_mov_b32 v1, 0
	s_and_not1_b32 vcc_lo, exec_lo, s41
	s_mov_b32 s41, 0
	s_cbranch_vccnz .LBB39_848
; %bb.840:
	v_mov_b32_e32 v0, 0
	s_add_i32 s48, s40, 1
	s_cmp_eq_u32 s31, 2
	s_mov_b32 s40, 0
	s_cbranch_scc1 .LBB39_844
; %bb.841:
	v_dual_mov_b32 v1, 0 :: v_dual_mov_b32 v0, 0
	v_mov_b32_e32 v2, v7
	s_and_b32 s40, s48, 28
	s_mov_b32 s49, 0
	s_mov_b64 s[26:27], s[16:17]
.LBB39_842:                             ; =>This Inner Loop Header: Depth=1
	s_clause 0x1
	s_load_b256 s[52:59], s[26:27], 0x4
	s_load_b128 s[68:71], s[26:27], 0x24
	s_load_b256 s[60:67], s[24:25], 0x0
	s_add_u32 s26, s26, 48
	s_addc_u32 s27, s27, 0
	s_add_i32 s49, s49, 4
	s_add_u32 s24, s24, 32
	s_addc_u32 s25, s25, 0
	s_cmp_eq_u32 s40, s49
	s_waitcnt vmcnt(0) lgkmcnt(0)
	v_mul_hi_u32 v3, s53, v2
	s_delay_alu instid0(VALU_DEP_1) | instskip(NEXT) | instid1(VALU_DEP_1)
	v_add_nc_u32_e32 v3, v2, v3
	v_lshrrev_b32_e32 v3, s54, v3
	s_delay_alu instid0(VALU_DEP_1) | instskip(SKIP_1) | instid1(VALU_DEP_2)
	v_mul_hi_u32 v4, s56, v3
	v_mul_lo_u32 v8, v3, s52
	v_add_nc_u32_e32 v4, v3, v4
	s_delay_alu instid0(VALU_DEP_2) | instskip(NEXT) | instid1(VALU_DEP_2)
	v_sub_nc_u32_e32 v2, v2, v8
	v_lshrrev_b32_e32 v4, s57, v4
	s_delay_alu instid0(VALU_DEP_2) | instskip(SKIP_1) | instid1(VALU_DEP_3)
	v_mul_lo_u32 v8, v2, s60
	v_mul_lo_u32 v10, v2, s61
	v_mul_hi_u32 v6, s59, v4
	s_delay_alu instid0(VALU_DEP_1) | instskip(NEXT) | instid1(VALU_DEP_1)
	v_add_nc_u32_e32 v6, v4, v6
	v_lshrrev_b32_e32 v6, s68, v6
	s_delay_alu instid0(VALU_DEP_1) | instskip(SKIP_1) | instid1(VALU_DEP_2)
	v_mul_hi_u32 v9, s70, v6
	v_mul_lo_u32 v11, v6, s58
	v_add_nc_u32_e32 v2, v6, v9
	v_mul_lo_u32 v9, v4, s55
	s_delay_alu instid0(VALU_DEP_3) | instskip(NEXT) | instid1(VALU_DEP_3)
	v_sub_nc_u32_e32 v4, v4, v11
	v_lshrrev_b32_e32 v2, s71, v2
	s_delay_alu instid0(VALU_DEP_2) | instskip(SKIP_2) | instid1(VALU_DEP_4)
	v_mul_lo_u32 v11, v4, s64
	v_mul_lo_u32 v4, v4, s65
	v_sub_nc_u32_e32 v3, v3, v9
	v_mul_lo_u32 v12, v2, s69
	s_delay_alu instid0(VALU_DEP_2) | instskip(SKIP_1) | instid1(VALU_DEP_3)
	v_mul_lo_u32 v9, v3, s62
	v_mul_lo_u32 v3, v3, s63
	v_sub_nc_u32_e32 v6, v6, v12
	s_delay_alu instid0(VALU_DEP_3) | instskip(NEXT) | instid1(VALU_DEP_2)
	v_add3_u32 v0, v8, v0, v9
	v_mul_lo_u32 v12, v6, s66
	v_mul_lo_u32 v6, v6, s67
	v_add3_u32 v1, v10, v1, v3
	s_delay_alu instid0(VALU_DEP_3) | instskip(NEXT) | instid1(VALU_DEP_2)
	v_add3_u32 v0, v11, v0, v12
	v_add3_u32 v1, v4, v1, v6
	s_cbranch_scc0 .LBB39_842
	s_branch .LBB39_845
.LBB39_843:
	s_mov_b32 s41, -1
                                        ; implicit-def: $vgpr0
                                        ; implicit-def: $vgpr1
	s_branch .LBB39_848
.LBB39_844:
	v_dual_mov_b32 v2, v7 :: v_dual_mov_b32 v1, 0
.LBB39_845:
	s_and_b32 s48, s48, 3
	s_delay_alu instid0(SALU_CYCLE_1)
	s_cmp_eq_u32 s48, 0
	s_cbranch_scc1 .LBB39_848
; %bb.846:
	s_lshl_b32 s24, s40, 3
	s_mul_i32 s26, s40, 12
	s_add_u32 s24, s24, s16
	s_addc_u32 s25, s17, 0
	s_add_u32 s24, s24, 0xc4
	s_addc_u32 s25, s25, 0
	;; [unrolled: 2-line block ×3, first 2 shown]
.LBB39_847:                             ; =>This Inner Loop Header: Depth=1
	s_clause 0x1
	s_load_b64 s[50:51], s[26:27], 0x4
	s_load_b32 s40, s[26:27], 0xc
	s_load_b64 s[52:53], s[24:25], 0x0
	s_add_u32 s26, s26, 12
	s_addc_u32 s27, s27, 0
	s_add_u32 s24, s24, 8
	s_addc_u32 s25, s25, 0
	s_add_i32 s48, s48, -1
	s_delay_alu instid0(SALU_CYCLE_1) | instskip(SKIP_2) | instid1(VALU_DEP_1)
	s_cmp_lg_u32 s48, 0
	s_waitcnt vmcnt(0) lgkmcnt(0)
	v_mul_hi_u32 v3, s51, v2
	v_add_nc_u32_e32 v3, v2, v3
	s_delay_alu instid0(VALU_DEP_1) | instskip(NEXT) | instid1(VALU_DEP_1)
	v_lshrrev_b32_e32 v6, s40, v3
	v_mul_lo_u32 v3, v6, s50
	s_delay_alu instid0(VALU_DEP_1) | instskip(NEXT) | instid1(VALU_DEP_1)
	v_sub_nc_u32_e32 v2, v2, v3
	v_mad_u64_u32 v[3:4], null, v2, s52, v[0:1]
	v_mad_u64_u32 v[8:9], null, v2, s53, v[1:2]
	v_mov_b32_e32 v2, v6
	s_delay_alu instid0(VALU_DEP_2)
	v_dual_mov_b32 v0, v3 :: v_dual_mov_b32 v1, v8
	s_cbranch_scc1 .LBB39_847
.LBB39_848:
	s_and_not1_b32 vcc_lo, exec_lo, s41
	s_cbranch_vccnz .LBB39_851
; %bb.849:
	v_mul_hi_u32 v0, s9, v7
	s_and_not1_b32 vcc_lo, exec_lo, s38
	s_delay_alu instid0(VALU_DEP_1) | instskip(NEXT) | instid1(VALU_DEP_1)
	v_add_nc_u32_e32 v0, v7, v0
	v_lshrrev_b32_e32 v2, s10, v0
	s_delay_alu instid0(VALU_DEP_1) | instskip(NEXT) | instid1(VALU_DEP_1)
	v_mul_lo_u32 v0, v2, s8
	v_sub_nc_u32_e32 v1, v7, v0
	s_delay_alu instid0(VALU_DEP_1)
	v_mul_lo_u32 v0, v1, s12
	v_mul_lo_u32 v1, v1, s13
	s_cbranch_vccnz .LBB39_851
; %bb.850:
	s_waitcnt vmcnt(0)
	v_mul_hi_u32 v3, s22, v2
	s_delay_alu instid0(VALU_DEP_1) | instskip(NEXT) | instid1(VALU_DEP_1)
	v_add_nc_u32_e32 v3, v2, v3
	v_lshrrev_b32_e32 v3, s23, v3
	s_delay_alu instid0(VALU_DEP_1) | instskip(NEXT) | instid1(VALU_DEP_1)
	v_mul_lo_u32 v3, v3, s11
	v_sub_nc_u32_e32 v6, v2, v3
	s_delay_alu instid0(VALU_DEP_1) | instskip(NEXT) | instid1(VALU_DEP_1)
	v_mad_u64_u32 v[2:3], null, v6, s14, v[0:1]
	v_mad_u64_u32 v[3:4], null, v6, s15, v[1:2]
	s_delay_alu instid0(VALU_DEP_1)
	v_dual_mov_b32 v0, v2 :: v_dual_mov_b32 v1, v3
.LBB39_851:
	v_cmp_gt_i16_e32 vcc_lo, 11, v5
	s_delay_alu instid0(VALU_DEP_2) | instskip(NEXT) | instid1(VALU_DEP_1)
	v_add_co_u32 v1, s6, s6, v1
	v_add_co_ci_u32_e64 v2, null, s7, 0, s6
	s_mov_b32 s8, 0
	s_cbranch_vccnz .LBB39_858
; %bb.852:
	v_cmp_lt_i16_e32 vcc_lo, 25, v5
	s_mov_b32 s7, 0
	s_cbranch_vccz .LBB39_859
; %bb.853:
	v_cmp_lt_i16_e32 vcc_lo, 28, v5
	s_cbranch_vccz .LBB39_860
; %bb.854:
	v_cmp_lt_i16_e32 vcc_lo, 43, v5
	;; [unrolled: 3-line block ×3, first 2 shown]
	s_cbranch_vccz .LBB39_864
; %bb.856:
	v_cmp_eq_u16_e32 vcc_lo, 46, v5
	s_mov_b32 s9, 0
	s_cbranch_vccz .LBB39_867
; %bb.857:
	global_load_b32 v3, v[1:2], off
	s_mov_b32 s6, 0
	s_mov_b32 s8, -1
	s_waitcnt vmcnt(0)
	v_lshlrev_b32_e32 v6, 16, v3
	s_branch .LBB39_869
.LBB39_858:
	s_mov_b32 s9, -1
	s_mov_b32 s7, 0
	s_mov_b32 s6, s2
                                        ; implicit-def: $vgpr6
	s_branch .LBB39_932
.LBB39_859:
	s_mov_b32 s9, -1
	s_mov_b32 s6, s2
                                        ; implicit-def: $vgpr6
	s_branch .LBB39_898
.LBB39_860:
	s_mov_b32 s9, -1
	s_mov_b32 s6, s2
                                        ; implicit-def: $vgpr6
	s_branch .LBB39_879
.LBB39_861:
	s_mov_b32 s9, -1
	s_mov_b32 s6, s2
                                        ; implicit-def: $vgpr6
	s_branch .LBB39_874
.LBB39_862:
	s_or_saveexec_b32 s29, s29
                                        ; implicit-def: $sgpr49
	s_delay_alu instid0(SALU_CYCLE_1)
	s_xor_b32 exec_lo, exec_lo, s29
	s_cbranch_execz .LBB39_785
.LBB39_863:
	v_add_f32_e64 v0, 0x46000000, |v1|
	s_and_not1_b32 s27, s27, exec_lo
	s_mov_b32 s49, 0
	s_delay_alu instid0(VALU_DEP_1) | instskip(NEXT) | instid1(VALU_DEP_1)
	v_and_b32_e32 v0, 0xff, v0
	v_cmp_ne_u32_e32 vcc_lo, 0, v0
	s_and_b32 s50, vcc_lo, exec_lo
	s_delay_alu instid0(SALU_CYCLE_1)
	s_or_b32 s27, s27, s50
	s_or_b32 exec_lo, exec_lo, s29
	v_mov_b32_e32 v2, s49
	s_and_saveexec_b32 s29, s27
	s_cbranch_execnz .LBB39_786
	s_branch .LBB39_787
.LBB39_864:
	s_mov_b32 s9, -1
	s_mov_b32 s6, s2
	s_branch .LBB39_868
.LBB39_865:
	s_or_saveexec_b32 s29, s29
                                        ; implicit-def: $sgpr49
	s_delay_alu instid0(SALU_CYCLE_1)
	s_xor_b32 exec_lo, exec_lo, s29
	s_cbranch_execz .LBB39_798
.LBB39_866:
	v_add_f32_e64 v0, 0x42800000, |v1|
	s_and_not1_b32 s27, s27, exec_lo
	s_mov_b32 s49, 0
	s_delay_alu instid0(VALU_DEP_1) | instskip(NEXT) | instid1(VALU_DEP_1)
	v_and_b32_e32 v0, 0xff, v0
	v_cmp_ne_u32_e32 vcc_lo, 0, v0
	s_and_b32 s50, vcc_lo, exec_lo
	s_delay_alu instid0(SALU_CYCLE_1)
	s_or_b32 s27, s27, s50
	s_or_b32 exec_lo, exec_lo, s29
	v_mov_b32_e32 v2, s49
	s_and_saveexec_b32 s29, s27
	s_cbranch_execnz .LBB39_799
	s_branch .LBB39_800
.LBB39_867:
	s_mov_b32 s6, -1
.LBB39_868:
                                        ; implicit-def: $vgpr6
.LBB39_869:
	s_and_b32 vcc_lo, exec_lo, s9
	s_cbranch_vccz .LBB39_873
; %bb.870:
	v_cmp_eq_u16_e32 vcc_lo, 44, v5
	s_cbranch_vccz .LBB39_872
; %bb.871:
	global_load_u8 v3, v[1:2], off
	s_mov_b32 s6, 0
	s_mov_b32 s8, -1
	s_waitcnt vmcnt(0)
	v_lshlrev_b32_e32 v4, 23, v3
	v_cmp_ne_u32_e32 vcc_lo, 0xff, v3
	s_delay_alu instid0(VALU_DEP_2) | instskip(SKIP_1) | instid1(VALU_DEP_2)
	v_cndmask_b32_e32 v4, 0x7f800001, v4, vcc_lo
	v_cmp_ne_u32_e32 vcc_lo, 0, v3
	v_cndmask_b32_e32 v6, 0x400000, v4, vcc_lo
	s_branch .LBB39_873
.LBB39_872:
	s_mov_b32 s6, -1
                                        ; implicit-def: $vgpr6
.LBB39_873:
	s_mov_b32 s9, 0
.LBB39_874:
	s_delay_alu instid0(SALU_CYCLE_1)
	s_and_b32 vcc_lo, exec_lo, s9
	s_cbranch_vccz .LBB39_878
; %bb.875:
	v_cmp_eq_u16_e32 vcc_lo, 29, v5
	s_cbranch_vccz .LBB39_877
; %bb.876:
	global_load_b64 v[3:4], v[1:2], off
	s_mov_b32 s6, 0
	s_mov_b32 s8, -1
	s_mov_b32 s9, 0
	s_waitcnt vmcnt(0)
	v_clz_i32_u32_e32 v6, v4
	s_delay_alu instid0(VALU_DEP_1) | instskip(NEXT) | instid1(VALU_DEP_1)
	v_min_u32_e32 v6, 32, v6
	v_lshlrev_b64 v[3:4], v6, v[3:4]
	s_delay_alu instid0(VALU_DEP_1) | instskip(NEXT) | instid1(VALU_DEP_1)
	v_min_u32_e32 v3, 1, v3
	v_or_b32_e32 v3, v4, v3
	v_sub_nc_u32_e32 v4, 32, v6
	s_delay_alu instid0(VALU_DEP_2) | instskip(NEXT) | instid1(VALU_DEP_1)
	v_cvt_f32_u32_e32 v3, v3
	v_ldexp_f32 v6, v3, v4
	s_branch .LBB39_879
.LBB39_877:
	s_mov_b32 s6, -1
                                        ; implicit-def: $vgpr6
.LBB39_878:
	s_mov_b32 s9, 0
.LBB39_879:
	s_delay_alu instid0(SALU_CYCLE_1)
	s_and_b32 vcc_lo, exec_lo, s9
	s_cbranch_vccz .LBB39_897
; %bb.880:
	v_cmp_gt_i16_e32 vcc_lo, 27, v5
	s_cbranch_vccnz .LBB39_883
; %bb.881:
	v_cmp_lt_i16_e32 vcc_lo, 27, v5
	s_cbranch_vccz .LBB39_884
; %bb.882:
	global_load_b32 v3, v[1:2], off
	s_mov_b32 s8, 0
	s_waitcnt vmcnt(0)
	v_cvt_f32_u32_e32 v6, v3
	s_branch .LBB39_885
.LBB39_883:
	s_mov_b32 s8, -1
                                        ; implicit-def: $vgpr6
	s_branch .LBB39_888
.LBB39_884:
	s_mov_b32 s8, -1
                                        ; implicit-def: $vgpr6
.LBB39_885:
	s_delay_alu instid0(SALU_CYCLE_1)
	s_and_not1_b32 vcc_lo, exec_lo, s8
	s_cbranch_vccnz .LBB39_887
; %bb.886:
	global_load_u16 v3, v[1:2], off
	s_waitcnt vmcnt(0)
	v_cvt_f32_u32_e32 v6, v3
.LBB39_887:
	s_mov_b32 s8, 0
.LBB39_888:
	s_delay_alu instid0(SALU_CYCLE_1)
	s_and_not1_b32 vcc_lo, exec_lo, s8
	s_cbranch_vccnz .LBB39_896
; %bb.889:
	global_load_u8 v3, v[1:2], off
	s_mov_b32 s8, 0
	s_mov_b32 s10, exec_lo
                                        ; implicit-def: $sgpr9
	s_waitcnt vmcnt(0)
	v_cmpx_lt_i16_e32 0x7f, v3
	s_xor_b32 s10, exec_lo, s10
	s_cbranch_execz .LBB39_910
; %bb.890:
	s_mov_b32 s8, -1
	s_mov_b32 s11, exec_lo
                                        ; implicit-def: $sgpr9
	v_cmpx_eq_u16_e32 0x80, v3
; %bb.891:
	s_mov_b32 s9, 0x7f800001
	s_xor_b32 s8, exec_lo, -1
; %bb.892:
	s_or_b32 exec_lo, exec_lo, s11
	s_delay_alu instid0(SALU_CYCLE_1)
	s_and_b32 s8, s8, exec_lo
	s_or_saveexec_b32 s10, s10
	v_mov_b32_e32 v6, s9
	s_xor_b32 exec_lo, exec_lo, s10
	s_cbranch_execnz .LBB39_911
.LBB39_893:
	s_or_b32 exec_lo, exec_lo, s10
	s_and_saveexec_b32 s9, s8
	s_cbranch_execz .LBB39_895
.LBB39_894:
	v_and_b32_e32 v4, 0xffff, v3
	s_delay_alu instid0(VALU_DEP_1) | instskip(NEXT) | instid1(VALU_DEP_1)
	v_and_b32_e32 v6, 7, v4
	v_clz_i32_u32_e32 v7, v6
	s_delay_alu instid0(VALU_DEP_1) | instskip(NEXT) | instid1(VALU_DEP_1)
	v_min_u32_e32 v7, 32, v7
	v_subrev_nc_u32_e32 v8, 28, v7
	v_sub_nc_u32_e32 v7, 29, v7
	s_delay_alu instid0(VALU_DEP_2) | instskip(SKIP_1) | instid1(VALU_DEP_2)
	v_lshlrev_b32_e32 v8, v8, v4
	v_bfe_u32 v4, v4, 3, 4
	v_and_b32_e32 v8, 7, v8
	s_delay_alu instid0(VALU_DEP_2) | instskip(NEXT) | instid1(VALU_DEP_2)
	v_cmp_eq_u32_e32 vcc_lo, 0, v4
	v_dual_cndmask_b32 v6, v6, v8 :: v_dual_lshlrev_b32 v3, 24, v3
	v_cndmask_b32_e32 v4, v4, v7, vcc_lo
	s_delay_alu instid0(VALU_DEP_2) | instskip(NEXT) | instid1(VALU_DEP_3)
	v_and_b32_e32 v3, 0x80000000, v3
	v_lshlrev_b32_e32 v6, 20, v6
	s_delay_alu instid0(VALU_DEP_3) | instskip(NEXT) | instid1(VALU_DEP_1)
	v_lshl_add_u32 v4, v4, 23, 0x3b800000
	v_or3_b32 v6, v3, v4, v6
.LBB39_895:
	s_or_b32 exec_lo, exec_lo, s9
.LBB39_896:
	s_mov_b32 s8, -1
.LBB39_897:
	s_mov_b32 s9, 0
.LBB39_898:
	s_delay_alu instid0(SALU_CYCLE_1)
	s_and_b32 vcc_lo, exec_lo, s9
	s_cbranch_vccz .LBB39_931
; %bb.899:
	v_cmp_lt_i16_e32 vcc_lo, 22, v5
	s_cbranch_vccz .LBB39_909
; %bb.900:
	v_cmp_gt_i16_e32 vcc_lo, 24, v5
	s_cbranch_vccnz .LBB39_912
; %bb.901:
	v_cmp_lt_i16_e32 vcc_lo, 24, v5
	s_cbranch_vccz .LBB39_913
; %bb.902:
	global_load_u8 v3, v[1:2], off
	s_mov_b32 s9, exec_lo
                                        ; implicit-def: $sgpr8
	s_waitcnt vmcnt(0)
	v_cmpx_lt_i16_e32 0x7f, v3
	s_xor_b32 s9, exec_lo, s9
	s_cbranch_execz .LBB39_925
; %bb.903:
	s_mov_b32 s7, -1
	s_mov_b32 s10, exec_lo
                                        ; implicit-def: $sgpr8
	v_cmpx_eq_u16_e32 0x80, v3
; %bb.904:
	s_mov_b32 s8, 0x7f800001
	s_xor_b32 s7, exec_lo, -1
; %bb.905:
	s_or_b32 exec_lo, exec_lo, s10
	s_delay_alu instid0(SALU_CYCLE_1)
	s_and_b32 s7, s7, exec_lo
	s_or_saveexec_b32 s9, s9
	v_mov_b32_e32 v6, s8
	s_xor_b32 exec_lo, exec_lo, s9
	s_cbranch_execnz .LBB39_926
.LBB39_906:
	s_or_b32 exec_lo, exec_lo, s9
	s_and_saveexec_b32 s8, s7
	s_cbranch_execz .LBB39_908
.LBB39_907:
	v_and_b32_e32 v4, 0xffff, v3
	s_delay_alu instid0(VALU_DEP_1) | instskip(NEXT) | instid1(VALU_DEP_1)
	v_and_b32_e32 v6, 3, v4
	v_clz_i32_u32_e32 v7, v6
	s_delay_alu instid0(VALU_DEP_1) | instskip(NEXT) | instid1(VALU_DEP_1)
	v_min_u32_e32 v7, 32, v7
	v_subrev_nc_u32_e32 v8, 29, v7
	v_sub_nc_u32_e32 v7, 30, v7
	s_delay_alu instid0(VALU_DEP_2) | instskip(SKIP_1) | instid1(VALU_DEP_2)
	v_lshlrev_b32_e32 v8, v8, v4
	v_bfe_u32 v4, v4, 2, 5
	v_and_b32_e32 v8, 3, v8
	s_delay_alu instid0(VALU_DEP_2) | instskip(NEXT) | instid1(VALU_DEP_2)
	v_cmp_eq_u32_e32 vcc_lo, 0, v4
	v_dual_cndmask_b32 v6, v6, v8 :: v_dual_lshlrev_b32 v3, 24, v3
	v_cndmask_b32_e32 v4, v4, v7, vcc_lo
	s_delay_alu instid0(VALU_DEP_2) | instskip(NEXT) | instid1(VALU_DEP_3)
	v_and_b32_e32 v3, 0x80000000, v3
	v_lshlrev_b32_e32 v6, 21, v6
	s_delay_alu instid0(VALU_DEP_3) | instskip(NEXT) | instid1(VALU_DEP_1)
	v_lshl_add_u32 v4, v4, 23, 0x37800000
	v_or3_b32 v6, v3, v4, v6
.LBB39_908:
	s_or_b32 exec_lo, exec_lo, s8
	s_mov_b32 s7, 0
	s_branch .LBB39_914
.LBB39_909:
	s_mov_b32 s7, -1
                                        ; implicit-def: $vgpr6
	s_branch .LBB39_920
.LBB39_910:
	s_or_saveexec_b32 s10, s10
	v_mov_b32_e32 v6, s9
	s_xor_b32 exec_lo, exec_lo, s10
	s_cbranch_execz .LBB39_893
.LBB39_911:
	v_cmp_ne_u16_e32 vcc_lo, 0, v3
	v_mov_b32_e32 v6, 0
	s_and_not1_b32 s8, s8, exec_lo
	s_and_b32 s9, vcc_lo, exec_lo
	s_delay_alu instid0(SALU_CYCLE_1)
	s_or_b32 s8, s8, s9
	s_or_b32 exec_lo, exec_lo, s10
	s_and_saveexec_b32 s9, s8
	s_cbranch_execnz .LBB39_894
	s_branch .LBB39_895
.LBB39_912:
	s_mov_b32 s7, -1
                                        ; implicit-def: $vgpr6
	s_branch .LBB39_917
.LBB39_913:
	s_mov_b32 s7, -1
                                        ; implicit-def: $vgpr6
.LBB39_914:
	s_delay_alu instid0(SALU_CYCLE_1)
	s_and_b32 vcc_lo, exec_lo, s7
	s_cbranch_vccz .LBB39_916
; %bb.915:
	global_load_u8 v3, v[1:2], off
	s_waitcnt vmcnt(0)
	v_lshlrev_b32_e32 v3, 24, v3
	s_delay_alu instid0(VALU_DEP_1) | instskip(NEXT) | instid1(VALU_DEP_1)
	v_and_b32_e32 v4, 0x7f000000, v3
	v_clz_i32_u32_e32 v6, v4
	v_add_nc_u32_e32 v8, 0x1000000, v4
	v_cmp_ne_u32_e32 vcc_lo, 0, v4
	s_delay_alu instid0(VALU_DEP_3) | instskip(NEXT) | instid1(VALU_DEP_1)
	v_min_u32_e32 v6, 32, v6
	v_sub_nc_u32_e64 v6, v6, 4 clamp
	s_delay_alu instid0(VALU_DEP_1) | instskip(SKIP_1) | instid1(VALU_DEP_2)
	v_lshlrev_b32_e32 v7, v6, v4
	v_lshlrev_b32_e32 v6, 23, v6
	v_lshrrev_b32_e32 v7, 4, v7
	s_delay_alu instid0(VALU_DEP_1) | instskip(SKIP_1) | instid1(VALU_DEP_2)
	v_sub_nc_u32_e32 v6, v7, v6
	v_ashrrev_i32_e32 v7, 8, v8
	v_add_nc_u32_e32 v6, 0x3c000000, v6
	s_delay_alu instid0(VALU_DEP_1) | instskip(NEXT) | instid1(VALU_DEP_1)
	v_and_or_b32 v6, 0x7f800000, v7, v6
	v_cndmask_b32_e32 v4, 0, v6, vcc_lo
	s_delay_alu instid0(VALU_DEP_1)
	v_and_or_b32 v6, 0x80000000, v3, v4
.LBB39_916:
	s_mov_b32 s7, 0
.LBB39_917:
	s_delay_alu instid0(SALU_CYCLE_1)
	s_and_not1_b32 vcc_lo, exec_lo, s7
	s_cbranch_vccnz .LBB39_919
; %bb.918:
	global_load_u8 v3, v[1:2], off
	s_waitcnt vmcnt(0)
	v_lshlrev_b32_e32 v4, 25, v3
	v_lshlrev_b16 v3, 8, v3
	s_delay_alu instid0(VALU_DEP_2) | instskip(NEXT) | instid1(VALU_DEP_2)
	v_lshrrev_b32_e32 v6, 4, v4
	v_and_or_b32 v7, 0x7f00, v3, 0.5
	v_cmp_gt_u32_e32 vcc_lo, 0x8000000, v4
	v_bfe_i32 v3, v3, 0, 16
	s_delay_alu instid0(VALU_DEP_4) | instskip(NEXT) | instid1(VALU_DEP_1)
	v_or_b32_e32 v6, 0x70000000, v6
	v_dual_add_f32 v7, -0.5, v7 :: v_dual_mul_f32 v6, 0x7800000, v6
	s_delay_alu instid0(VALU_DEP_1) | instskip(NEXT) | instid1(VALU_DEP_1)
	v_cndmask_b32_e32 v4, v6, v7, vcc_lo
	v_and_or_b32 v6, 0x80000000, v3, v4
.LBB39_919:
	s_mov_b32 s7, 0
	s_mov_b32 s8, -1
.LBB39_920:
	s_and_not1_b32 vcc_lo, exec_lo, s7
	s_mov_b32 s7, 0
	s_cbranch_vccnz .LBB39_931
; %bb.921:
	v_cmp_lt_i16_e32 vcc_lo, 14, v5
	s_cbranch_vccz .LBB39_924
; %bb.922:
	v_cmp_eq_u16_e32 vcc_lo, 15, v5
	s_cbranch_vccz .LBB39_927
; %bb.923:
	global_load_u16 v3, v[1:2], off
	s_mov_b32 s6, 0
	s_mov_b32 s8, -1
	s_waitcnt vmcnt(0)
	v_lshlrev_b32_e32 v6, 16, v3
	s_branch .LBB39_929
.LBB39_924:
	s_mov_b32 s7, -1
	s_branch .LBB39_928
.LBB39_925:
	s_or_saveexec_b32 s9, s9
	v_mov_b32_e32 v6, s8
	s_xor_b32 exec_lo, exec_lo, s9
	s_cbranch_execz .LBB39_906
.LBB39_926:
	v_cmp_ne_u16_e32 vcc_lo, 0, v3
	v_mov_b32_e32 v6, 0
	s_and_not1_b32 s7, s7, exec_lo
	s_and_b32 s8, vcc_lo, exec_lo
	s_delay_alu instid0(SALU_CYCLE_1)
	s_or_b32 s7, s7, s8
	s_or_b32 exec_lo, exec_lo, s9
	s_and_saveexec_b32 s8, s7
	s_cbranch_execnz .LBB39_907
	s_branch .LBB39_908
.LBB39_927:
	s_mov_b32 s6, -1
.LBB39_928:
                                        ; implicit-def: $vgpr6
.LBB39_929:
	s_and_b32 vcc_lo, exec_lo, s7
	s_mov_b32 s7, 0
	s_cbranch_vccz .LBB39_931
; %bb.930:
	v_cmp_ne_u16_e32 vcc_lo, 11, v5
	s_and_not1_b32 s6, s6, exec_lo
	s_mov_b32 s7, -1
                                        ; implicit-def: $vgpr6
	s_and_b32 s9, vcc_lo, exec_lo
	s_delay_alu instid0(SALU_CYCLE_1)
	s_or_b32 s6, s6, s9
.LBB39_931:
	s_mov_b32 s9, 0
.LBB39_932:
	s_and_b32 s48, s8, exec_lo
	s_and_not1_b32 s8, s2, exec_lo
	s_and_b32 s6, s6, exec_lo
	s_and_b32 s27, s9, exec_lo
	;; [unrolled: 1-line block ×3, first 2 shown]
	s_or_b32 s49, s8, s6
.LBB39_933:
	s_or_b32 exec_lo, exec_lo, s39
	s_delay_alu instid0(SALU_CYCLE_1)
	s_and_not1_b32 s2, s2, exec_lo
	s_and_b32 s6, s49, exec_lo
	s_and_b32 s48, s48, exec_lo
	;; [unrolled: 1-line block ×4, first 2 shown]
	s_or_b32 s2, s2, s6
.LBB39_934:
	s_or_b32 exec_lo, exec_lo, s29
	s_delay_alu instid0(SALU_CYCLE_1)
	s_and_not1_b32 s6, s46, exec_lo
	s_and_b32 s7, s28, exec_lo
	s_and_b32 s2, s2, exec_lo
	s_or_b32 s46, s6, s7
	s_and_not1_b32 s6, s45, exec_lo
	s_and_b32 s28, s48, exec_lo
	s_and_b32 s27, s27, exec_lo
	;; [unrolled: 1-line block ×3, first 2 shown]
	s_or_b32 s45, s6, s2
.LBB39_935:
	s_or_b32 exec_lo, exec_lo, s47
	s_delay_alu instid0(SALU_CYCLE_1)
	s_and_not1_b32 s2, s42, exec_lo
	s_and_b32 s6, s46, exec_lo
	s_and_b32 s7, s45, exec_lo
	s_or_b32 s42, s2, s6
	s_and_not1_b32 s6, s43, exec_lo
	s_and_b32 s2, s28, exec_lo
	s_and_b32 s27, s27, exec_lo
	;; [unrolled: 1-line block ×3, first 2 shown]
	s_or_b32 s43, s6, s7
.LBB39_936:
	s_or_b32 exec_lo, exec_lo, s44
	s_mov_b32 s8, 0
	s_and_saveexec_b32 s6, s43
	s_cbranch_execnz .LBB39_948
; %bb.937:
	s_or_b32 exec_lo, exec_lo, s6
	s_and_saveexec_b32 s6, s45
	s_delay_alu instid0(SALU_CYCLE_1)
	s_xor_b32 s6, exec_lo, s6
	s_cbranch_execz .LBB39_939
.LBB39_938:
	global_load_u8 v3, v[1:2], off
	s_or_b32 s2, s2, exec_lo
	s_waitcnt vmcnt(0)
	v_cmp_ne_u16_e32 vcc_lo, 0, v3
	v_cndmask_b32_e64 v6, 0, 1.0, vcc_lo
.LBB39_939:
	s_or_b32 exec_lo, exec_lo, s6
	s_and_saveexec_b32 s6, s27
	s_cbranch_execz .LBB39_987
; %bb.940:
	v_cmp_gt_i16_e32 vcc_lo, 5, v5
	s_cbranch_vccnz .LBB39_945
; %bb.941:
	v_cmp_gt_i16_e32 vcc_lo, 8, v5
	s_cbranch_vccnz .LBB39_946
	;; [unrolled: 3-line block ×3, first 2 shown]
; %bb.943:
	v_cmp_lt_i16_e32 vcc_lo, 9, v5
	s_cbranch_vccz .LBB39_950
; %bb.944:
	global_load_b64 v[3:4], v[1:2], off
	s_mov_b32 s7, 0
	s_waitcnt vmcnt(0)
	v_cvt_f32_f64_e32 v6, v[3:4]
	s_branch .LBB39_951
.LBB39_945:
                                        ; implicit-def: $vgpr6
	s_branch .LBB39_968
.LBB39_946:
                                        ; implicit-def: $vgpr6
	s_branch .LBB39_957
.LBB39_947:
	s_mov_b32 s7, -1
                                        ; implicit-def: $vgpr6
	s_branch .LBB39_954
.LBB39_948:
	s_cbranch_execnz .LBB39_1228
; %bb.949:
	s_mov_b32 s8, exec_lo
	s_and_not1_b32 s45, s45, exec_lo
                                        ; implicit-def: $vgpr6
	s_or_b32 exec_lo, exec_lo, s6
	s_and_saveexec_b32 s6, s45
	s_delay_alu instid0(SALU_CYCLE_1)
	s_xor_b32 s6, exec_lo, s6
	s_cbranch_execnz .LBB39_938
	s_branch .LBB39_939
.LBB39_950:
	s_mov_b32 s7, -1
                                        ; implicit-def: $vgpr6
.LBB39_951:
	s_delay_alu instid0(SALU_CYCLE_1)
	s_and_not1_b32 vcc_lo, exec_lo, s7
	s_cbranch_vccnz .LBB39_953
; %bb.952:
	global_load_b32 v6, v[1:2], off
.LBB39_953:
	s_mov_b32 s7, 0
.LBB39_954:
	s_delay_alu instid0(SALU_CYCLE_1)
	s_and_not1_b32 vcc_lo, exec_lo, s7
	s_cbranch_vccnz .LBB39_956
; %bb.955:
	global_load_b32 v3, v[1:2], off
	s_waitcnt vmcnt(0)
	v_cvt_f32_f16_e32 v6, v3
.LBB39_956:
	s_cbranch_execnz .LBB39_967
.LBB39_957:
	v_cmp_gt_i16_e32 vcc_lo, 6, v5
	s_cbranch_vccnz .LBB39_960
; %bb.958:
	v_cmp_lt_i16_e32 vcc_lo, 6, v5
	s_cbranch_vccz .LBB39_961
; %bb.959:
	global_load_b64 v[3:4], v[1:2], off
	s_mov_b32 s7, 0
	s_waitcnt vmcnt(0)
	v_cvt_f32_f64_e32 v6, v[3:4]
	s_branch .LBB39_962
.LBB39_960:
	s_mov_b32 s7, -1
                                        ; implicit-def: $vgpr6
	s_branch .LBB39_965
.LBB39_961:
	s_mov_b32 s7, -1
                                        ; implicit-def: $vgpr6
.LBB39_962:
	s_delay_alu instid0(SALU_CYCLE_1)
	s_and_not1_b32 vcc_lo, exec_lo, s7
	s_cbranch_vccnz .LBB39_964
; %bb.963:
	global_load_b32 v6, v[1:2], off
.LBB39_964:
	s_mov_b32 s7, 0
.LBB39_965:
	s_delay_alu instid0(SALU_CYCLE_1)
	s_and_not1_b32 vcc_lo, exec_lo, s7
	s_cbranch_vccnz .LBB39_967
; %bb.966:
	global_load_u16 v3, v[1:2], off
	s_waitcnt vmcnt(0)
	v_cvt_f32_f16_e32 v6, v3
.LBB39_967:
	s_cbranch_execnz .LBB39_986
.LBB39_968:
	v_cmp_gt_i16_e32 vcc_lo, 2, v5
	s_cbranch_vccnz .LBB39_972
; %bb.969:
	v_cmp_gt_i16_e32 vcc_lo, 3, v5
	s_cbranch_vccnz .LBB39_973
; %bb.970:
	v_cmp_lt_i16_e32 vcc_lo, 3, v5
	s_cbranch_vccz .LBB39_974
; %bb.971:
	global_load_b64 v[3:4], v[1:2], off
	s_mov_b32 s7, 0
	s_waitcnt vmcnt(0)
	v_xor_b32_e32 v6, v3, v4
	v_cls_i32_e32 v7, v4
	s_delay_alu instid0(VALU_DEP_2) | instskip(NEXT) | instid1(VALU_DEP_2)
	v_ashrrev_i32_e32 v6, 31, v6
	v_add_nc_u32_e32 v7, -1, v7
	s_delay_alu instid0(VALU_DEP_2) | instskip(NEXT) | instid1(VALU_DEP_1)
	v_add_nc_u32_e32 v6, 32, v6
	v_min_u32_e32 v6, v7, v6
	s_delay_alu instid0(VALU_DEP_1) | instskip(NEXT) | instid1(VALU_DEP_1)
	v_lshlrev_b64 v[3:4], v6, v[3:4]
	v_min_u32_e32 v3, 1, v3
	s_delay_alu instid0(VALU_DEP_1) | instskip(SKIP_1) | instid1(VALU_DEP_2)
	v_or_b32_e32 v3, v4, v3
	v_sub_nc_u32_e32 v4, 32, v6
	v_cvt_f32_i32_e32 v3, v3
	s_delay_alu instid0(VALU_DEP_1)
	v_ldexp_f32 v6, v3, v4
	s_branch .LBB39_975
.LBB39_972:
                                        ; implicit-def: $vgpr6
	s_branch .LBB39_981
.LBB39_973:
	s_mov_b32 s7, -1
                                        ; implicit-def: $vgpr6
	s_branch .LBB39_978
.LBB39_974:
	s_mov_b32 s7, -1
                                        ; implicit-def: $vgpr6
.LBB39_975:
	s_delay_alu instid0(SALU_CYCLE_1)
	s_and_not1_b32 vcc_lo, exec_lo, s7
	s_cbranch_vccnz .LBB39_977
; %bb.976:
	global_load_b32 v3, v[1:2], off
	s_waitcnt vmcnt(0)
	v_cvt_f32_i32_e32 v6, v3
.LBB39_977:
	s_mov_b32 s7, 0
.LBB39_978:
	s_delay_alu instid0(SALU_CYCLE_1)
	s_and_not1_b32 vcc_lo, exec_lo, s7
	s_cbranch_vccnz .LBB39_980
; %bb.979:
	global_load_i16 v3, v[1:2], off
	s_waitcnt vmcnt(0)
	v_cvt_f32_i32_e32 v6, v3
.LBB39_980:
	s_cbranch_execnz .LBB39_986
.LBB39_981:
	v_cmp_lt_i16_e32 vcc_lo, 0, v5
	s_mov_b32 s7, 0
	s_cbranch_vccz .LBB39_983
; %bb.982:
	global_load_i8 v3, v[1:2], off
	s_waitcnt vmcnt(0)
	v_cvt_f32_i32_e32 v6, v3
	s_branch .LBB39_984
.LBB39_983:
	s_mov_b32 s7, -1
                                        ; implicit-def: $vgpr6
.LBB39_984:
	s_delay_alu instid0(SALU_CYCLE_1)
	s_and_not1_b32 vcc_lo, exec_lo, s7
	s_cbranch_vccnz .LBB39_986
; %bb.985:
	global_load_u8 v1, v[1:2], off
	s_waitcnt vmcnt(0)
	v_cvt_f32_ubyte0_e32 v6, v1
.LBB39_986:
	s_or_b32 s2, s2, exec_lo
.LBB39_987:
	s_or_b32 exec_lo, exec_lo, s6
	s_mov_b32 s7, 0
	s_mov_b32 s6, 0
                                        ; implicit-def: $vgpr5
                                        ; implicit-def: $vgpr3_vgpr4
                                        ; implicit-def: $vgpr1
	s_and_saveexec_b32 s9, s2
	s_cbranch_execz .LBB39_1074
; %bb.988:
	v_mov_b32_e32 v1, 0
	s_and_not1_b32 vcc_lo, exec_lo, s37
	s_cbranch_vccnz .LBB39_998
; %bb.989:
	v_cmp_lt_i64_e64 s2, s[20:21], 1
	v_mov_b32_e32 v1, 1.0
	s_delay_alu instid0(VALU_DEP_2)
	s_and_b32 vcc_lo, exec_lo, s2
	s_cbranch_vccnz .LBB39_998
; %bb.990:
	s_cmp_lg_u64 s[20:21], 1
	s_cbranch_scc0 .LBB39_995
; %bb.991:
	v_mov_b32_e32 v1, 0x7fc00000
	s_and_not1_b32 vcc_lo, exec_lo, s36
	s_cbranch_vccnz .LBB39_994
; %bb.992:
	s_waitcnt vmcnt(0)
	v_dual_add_f32 v2, v6, v6 :: v_dual_mov_b32 v3, 1.0
	s_mov_b64 s[6:7], 2
	s_delay_alu instid0(VALU_DEP_1)
	v_mov_b32_e32 v1, v2
	.p2align	6
.LBB39_993:                             ; =>This Inner Loop Header: Depth=1
	s_clz_i32_u32 s2, s7
	s_delay_alu instid0(SALU_CYCLE_1) | instskip(NEXT) | instid1(SALU_CYCLE_1)
	s_min_u32 s2, s2, 32
	s_lshl_b64 s[10:11], s[6:7], s2
	s_sub_i32 s2, 32, s2
	s_min_u32 s10, s10, 1
	s_delay_alu instid0(SALU_CYCLE_1) | instskip(SKIP_3) | instid1(VALU_DEP_1)
	s_or_b32 s10, s11, s10
	s_add_u32 s6, s6, 2
	v_cvt_f32_u32_e32 v4, s10
	s_addc_u32 s7, s7, 0
	v_ldexp_f32 v4, v4, s2
	v_cmp_lt_u64_e64 s2, s[6:7], s[18:19]
	s_delay_alu instid0(VALU_DEP_2) | instskip(NEXT) | instid1(VALU_DEP_2)
	v_dual_mul_f32 v4, v3, v4 :: v_dual_mov_b32 v3, v1
	s_and_b32 vcc_lo, exec_lo, s2
	s_delay_alu instid0(VALU_DEP_1)
	v_fma_f32 v1, v2, v1, -v4
	s_cbranch_vccnz .LBB39_993
.LBB39_994:
	s_mov_b32 s2, 0
	s_branch .LBB39_996
.LBB39_995:
	s_mov_b32 s2, -1
                                        ; implicit-def: $vgpr1
.LBB39_996:
	s_delay_alu instid0(SALU_CYCLE_1)
	s_and_not1_b32 vcc_lo, exec_lo, s2
	s_cbranch_vccnz .LBB39_998
; %bb.997:
	s_waitcnt vmcnt(0)
	s_delay_alu instid0(VALU_DEP_4)
	v_add_f32_e32 v1, v6, v6
.LBB39_998:
	v_and_b32_e64 v5, 0xff, s3
	s_waitcnt vmcnt(0)
	v_add_co_u32 v3, s2, s4, v0
	s_delay_alu instid0(VALU_DEP_1) | instskip(NEXT) | instid1(VALU_DEP_3)
	v_add_co_ci_u32_e64 v4, null, s5, 0, s2
	v_cmp_gt_i16_e32 vcc_lo, 11, v5
	s_mov_b32 s7, 0
	s_mov_b32 s3, -1
	s_mov_b32 s2, s42
	s_cbranch_vccnz .LBB39_1073
; %bb.999:
	v_cmp_lt_i16_e32 vcc_lo, 25, v5
	s_mov_b32 s2, s42
	s_cbranch_vccz .LBB39_1032
; %bb.1000:
	v_cmp_lt_i16_e32 vcc_lo, 28, v5
	s_mov_b32 s2, s42
	s_cbranch_vccz .LBB39_1016
	;; [unrolled: 4-line block ×4, first 2 shown]
; %bb.1003:
	v_cmp_eq_u16_e32 vcc_lo, 46, v5
	s_mov_b32 s2, -1
	s_cbranch_vccz .LBB39_1005
; %bb.1004:
	v_bfe_u32 v0, v1, 16, 1
	v_cmp_o_f32_e32 vcc_lo, v1, v1
	s_mov_b32 s2, 0
	s_delay_alu instid0(VALU_DEP_2) | instskip(NEXT) | instid1(VALU_DEP_1)
	v_add3_u32 v0, v1, v0, 0x7fff
	v_lshrrev_b32_e32 v0, 16, v0
	s_delay_alu instid0(VALU_DEP_1)
	v_cndmask_b32_e32 v0, 0x7fc0, v0, vcc_lo
	global_store_b32 v[3:4], v0, off
.LBB39_1005:
	s_mov_b32 s3, 0
.LBB39_1006:
	s_delay_alu instid0(SALU_CYCLE_1)
	s_and_b32 vcc_lo, exec_lo, s3
	s_cbranch_vccz .LBB39_1011
; %bb.1007:
	v_cmp_eq_u16_e32 vcc_lo, 44, v5
	s_mov_b32 s2, -1
	s_cbranch_vccz .LBB39_1011
; %bb.1008:
	v_bfe_u32 v2, v1, 23, 8
	v_mov_b32_e32 v0, 0xff
	s_mov_b32 s3, exec_lo
	s_delay_alu instid0(VALU_DEP_2)
	v_cmpx_ne_u32_e32 0xff, v2
; %bb.1009:
	v_and_b32_e32 v0, 0x400000, v1
	v_and_or_b32 v2, 0x3fffff, v1, v2
	s_delay_alu instid0(VALU_DEP_2) | instskip(NEXT) | instid1(VALU_DEP_2)
	v_cmp_ne_u32_e32 vcc_lo, 0, v0
	v_cmp_ne_u32_e64 s2, 0, v2
	v_lshrrev_b32_e32 v0, 23, v1
	s_delay_alu instid0(VALU_DEP_2) | instskip(NEXT) | instid1(SALU_CYCLE_1)
	s_and_b32 s2, vcc_lo, s2
	v_cndmask_b32_e64 v2, 0, 1, s2
	s_delay_alu instid0(VALU_DEP_1)
	v_add_nc_u32_e32 v0, v0, v2
; %bb.1010:
	s_or_b32 exec_lo, exec_lo, s3
	s_mov_b32 s2, 0
	global_store_b8 v[3:4], v0, off
.LBB39_1011:
	s_mov_b32 s3, 0
.LBB39_1012:
	s_delay_alu instid0(SALU_CYCLE_1)
	s_and_b32 vcc_lo, exec_lo, s3
	s_cbranch_vccz .LBB39_1015
; %bb.1013:
	v_cmp_eq_u16_e32 vcc_lo, 29, v5
	s_mov_b32 s2, -1
	s_cbranch_vccz .LBB39_1015
; %bb.1014:
	v_trunc_f32_e32 v0, v1
	s_mov_b32 s2, 0
	s_delay_alu instid0(VALU_DEP_1) | instskip(NEXT) | instid1(VALU_DEP_1)
	v_mul_f32_e32 v2, 0x2f800000, v0
	v_floor_f32_e32 v2, v2
	s_delay_alu instid0(VALU_DEP_1) | instskip(SKIP_1) | instid1(VALU_DEP_2)
	v_fmamk_f32 v0, v2, 0xcf800000, v0
	v_cvt_u32_f32_e32 v7, v2
	v_cvt_u32_f32_e32 v6, v0
	global_store_b64 v[3:4], v[6:7], off
.LBB39_1015:
	s_mov_b32 s3, 0
.LBB39_1016:
	s_delay_alu instid0(SALU_CYCLE_1)
	s_and_b32 vcc_lo, exec_lo, s3
	s_cbranch_vccz .LBB39_1031
; %bb.1017:
	v_cmp_gt_i16_e32 vcc_lo, 27, v5
	s_mov_b32 s3, -1
	s_cbranch_vccnz .LBB39_1023
; %bb.1018:
	v_cmp_lt_i16_e32 vcc_lo, 27, v5
	v_cvt_u32_f32_e32 v0, v1
	s_cbranch_vccz .LBB39_1020
; %bb.1019:
	s_mov_b32 s3, 0
	global_store_b32 v[3:4], v0, off
.LBB39_1020:
	s_and_not1_b32 vcc_lo, exec_lo, s3
	s_cbranch_vccnz .LBB39_1022
; %bb.1021:
	global_store_b16 v[3:4], v0, off
.LBB39_1022:
	s_mov_b32 s3, 0
.LBB39_1023:
	s_delay_alu instid0(SALU_CYCLE_1)
	s_and_not1_b32 vcc_lo, exec_lo, s3
	s_cbranch_vccnz .LBB39_1031
; %bb.1024:
	v_and_b32_e32 v0, 0x7fffffff, v1
	v_mov_b32_e32 v2, 0x80
	s_mov_b32 s3, exec_lo
	s_delay_alu instid0(VALU_DEP_2)
	v_cmpx_gt_u32_e32 0x43800000, v0
	s_cbranch_execz .LBB39_1030
; %bb.1025:
	v_cmp_lt_u32_e32 vcc_lo, 0x3bffffff, v0
	s_mov_b32 s4, 0
                                        ; implicit-def: $vgpr0
	s_and_saveexec_b32 s5, vcc_lo
	s_delay_alu instid0(SALU_CYCLE_1)
	s_xor_b32 s5, exec_lo, s5
	s_cbranch_execz .LBB39_1329
; %bb.1026:
	v_bfe_u32 v0, v1, 20, 1
	s_mov_b32 s4, exec_lo
	s_delay_alu instid0(VALU_DEP_1) | instskip(NEXT) | instid1(VALU_DEP_1)
	v_add3_u32 v0, v1, v0, 0x487ffff
	v_lshrrev_b32_e32 v0, 20, v0
	s_or_saveexec_b32 s5, s5
                                        ; implicit-def: $sgpr6
	s_delay_alu instid0(SALU_CYCLE_1)
	s_xor_b32 exec_lo, exec_lo, s5
	s_cbranch_execnz .LBB39_1330
.LBB39_1027:
	s_or_b32 exec_lo, exec_lo, s5
	v_mov_b32_e32 v2, s6
	s_and_saveexec_b32 s5, s4
.LBB39_1028:
	v_lshrrev_b32_e32 v2, 24, v1
	s_delay_alu instid0(VALU_DEP_1)
	v_and_or_b32 v2, 0x80, v2, v0
.LBB39_1029:
	s_or_b32 exec_lo, exec_lo, s5
.LBB39_1030:
	s_delay_alu instid0(SALU_CYCLE_1)
	s_or_b32 exec_lo, exec_lo, s3
	global_store_b8 v[3:4], v2, off
.LBB39_1031:
	s_mov_b32 s3, 0
.LBB39_1032:
	s_delay_alu instid0(SALU_CYCLE_1)
	s_and_b32 vcc_lo, exec_lo, s3
	s_mov_b32 s3, 0
	s_cbranch_vccz .LBB39_1072
; %bb.1033:
	v_cmp_lt_i16_e32 vcc_lo, 22, v5
	s_mov_b32 s4, -1
	s_cbranch_vccz .LBB39_1065
; %bb.1034:
	v_cmp_gt_i16_e32 vcc_lo, 24, v5
	s_cbranch_vccnz .LBB39_1054
; %bb.1035:
	v_cmp_lt_i16_e32 vcc_lo, 24, v5
	s_cbranch_vccz .LBB39_1043
; %bb.1036:
	v_and_b32_e32 v0, 0x7fffffff, v1
	v_mov_b32_e32 v2, 0x80
	s_mov_b32 s4, exec_lo
	s_delay_alu instid0(VALU_DEP_2)
	v_cmpx_gt_u32_e32 0x47800000, v0
	s_cbranch_execz .LBB39_1042
; %bb.1037:
	v_cmp_lt_u32_e32 vcc_lo, 0x37ffffff, v0
	s_mov_b32 s5, 0
                                        ; implicit-def: $vgpr0
	s_and_saveexec_b32 s6, vcc_lo
	s_delay_alu instid0(SALU_CYCLE_1)
	s_xor_b32 s6, exec_lo, s6
	s_cbranch_execz .LBB39_1373
; %bb.1038:
	v_bfe_u32 v0, v1, 21, 1
	s_mov_b32 s5, exec_lo
	s_delay_alu instid0(VALU_DEP_1) | instskip(NEXT) | instid1(VALU_DEP_1)
	v_add3_u32 v0, v1, v0, 0x88fffff
	v_lshrrev_b32_e32 v0, 21, v0
	s_or_saveexec_b32 s6, s6
                                        ; implicit-def: $sgpr7
	s_delay_alu instid0(SALU_CYCLE_1)
	s_xor_b32 exec_lo, exec_lo, s6
	s_cbranch_execnz .LBB39_1374
.LBB39_1039:
	s_or_b32 exec_lo, exec_lo, s6
	v_mov_b32_e32 v2, s7
	s_and_saveexec_b32 s6, s5
.LBB39_1040:
	v_lshrrev_b32_e32 v2, 24, v1
	s_delay_alu instid0(VALU_DEP_1)
	v_and_or_b32 v2, 0x80, v2, v0
.LBB39_1041:
	s_or_b32 exec_lo, exec_lo, s6
.LBB39_1042:
	s_delay_alu instid0(SALU_CYCLE_1)
	s_or_b32 exec_lo, exec_lo, s4
	s_mov_b32 s4, 0
	global_store_b8 v[3:4], v2, off
.LBB39_1043:
	s_and_b32 vcc_lo, exec_lo, s4
	s_cbranch_vccz .LBB39_1053
; %bb.1044:
	v_and_b32_e32 v2, 0x7fffffff, v1
	s_mov_b32 s4, exec_lo
                                        ; implicit-def: $vgpr0
	s_delay_alu instid0(VALU_DEP_1)
	v_cmpx_gt_u32_e32 0x43f00000, v2
	s_xor_b32 s4, exec_lo, s4
	s_cbranch_execz .LBB39_1050
; %bb.1045:
	s_mov_b32 s5, exec_lo
                                        ; implicit-def: $vgpr0
	v_cmpx_lt_u32_e32 0x3c7fffff, v2
	s_xor_b32 s5, exec_lo, s5
; %bb.1046:
	v_bfe_u32 v0, v1, 20, 1
	s_delay_alu instid0(VALU_DEP_1) | instskip(NEXT) | instid1(VALU_DEP_1)
	v_add3_u32 v0, v1, v0, 0x407ffff
	v_and_b32_e32 v2, 0xff00000, v0
	v_lshrrev_b32_e32 v0, 20, v0
	s_delay_alu instid0(VALU_DEP_2) | instskip(NEXT) | instid1(VALU_DEP_2)
	v_cmp_ne_u32_e32 vcc_lo, 0x7f00000, v2
	v_cndmask_b32_e32 v0, 0x7e, v0, vcc_lo
; %bb.1047:
	s_and_not1_saveexec_b32 s5, s5
; %bb.1048:
	v_add_f32_e64 v0, 0x46800000, |v1|
; %bb.1049:
	s_or_b32 exec_lo, exec_lo, s5
                                        ; implicit-def: $vgpr2
.LBB39_1050:
	s_and_not1_saveexec_b32 s4, s4
; %bb.1051:
	v_mov_b32_e32 v0, 0x7f
	v_cmp_lt_u32_e32 vcc_lo, 0x7f800000, v2
	s_delay_alu instid0(VALU_DEP_2)
	v_cndmask_b32_e32 v0, 0x7e, v0, vcc_lo
; %bb.1052:
	s_or_b32 exec_lo, exec_lo, s4
	v_lshrrev_b32_e32 v2, 24, v1
	s_delay_alu instid0(VALU_DEP_1)
	v_and_or_b32 v0, 0x80, v2, v0
	global_store_b8 v[3:4], v0, off
.LBB39_1053:
	s_mov_b32 s4, 0
.LBB39_1054:
	s_delay_alu instid0(SALU_CYCLE_1)
	s_and_not1_b32 vcc_lo, exec_lo, s4
	s_cbranch_vccnz .LBB39_1064
; %bb.1055:
	v_and_b32_e32 v2, 0x7fffffff, v1
	s_mov_b32 s4, exec_lo
                                        ; implicit-def: $vgpr0
	s_delay_alu instid0(VALU_DEP_1)
	v_cmpx_gt_u32_e32 0x47800000, v2
	s_xor_b32 s4, exec_lo, s4
	s_cbranch_execz .LBB39_1061
; %bb.1056:
	s_mov_b32 s5, exec_lo
                                        ; implicit-def: $vgpr0
	v_cmpx_lt_u32_e32 0x387fffff, v2
	s_xor_b32 s5, exec_lo, s5
; %bb.1057:
	v_bfe_u32 v0, v1, 21, 1
	s_delay_alu instid0(VALU_DEP_1) | instskip(NEXT) | instid1(VALU_DEP_1)
	v_add3_u32 v0, v1, v0, 0x80fffff
	v_lshrrev_b32_e32 v0, 21, v0
; %bb.1058:
	s_and_not1_saveexec_b32 s5, s5
; %bb.1059:
	v_add_f32_e64 v0, 0x43000000, |v1|
; %bb.1060:
	s_or_b32 exec_lo, exec_lo, s5
                                        ; implicit-def: $vgpr2
.LBB39_1061:
	s_and_not1_saveexec_b32 s4, s4
; %bb.1062:
	v_mov_b32_e32 v0, 0x7f
	v_cmp_lt_u32_e32 vcc_lo, 0x7f800000, v2
	s_delay_alu instid0(VALU_DEP_2)
	v_cndmask_b32_e32 v0, 0x7c, v0, vcc_lo
; %bb.1063:
	s_or_b32 exec_lo, exec_lo, s4
	v_lshrrev_b32_e32 v2, 24, v1
	s_delay_alu instid0(VALU_DEP_1)
	v_and_or_b32 v0, 0x80, v2, v0
	global_store_b8 v[3:4], v0, off
.LBB39_1064:
	s_mov_b32 s4, 0
.LBB39_1065:
	s_delay_alu instid0(SALU_CYCLE_1)
	s_and_not1_b32 vcc_lo, exec_lo, s4
	s_mov_b32 s7, 0
	s_cbranch_vccnz .LBB39_1073
; %bb.1066:
	v_cmp_lt_i16_e32 vcc_lo, 14, v5
	s_mov_b32 s4, -1
	s_cbranch_vccz .LBB39_1070
; %bb.1067:
	v_cmp_eq_u16_e32 vcc_lo, 15, v5
	s_mov_b32 s2, -1
	s_cbranch_vccz .LBB39_1069
; %bb.1068:
	v_bfe_u32 v0, v1, 16, 1
	v_cmp_o_f32_e32 vcc_lo, v1, v1
	s_mov_b32 s2, 0
	s_delay_alu instid0(VALU_DEP_2) | instskip(NEXT) | instid1(VALU_DEP_1)
	v_add3_u32 v0, v1, v0, 0x7fff
	v_lshrrev_b32_e32 v0, 16, v0
	s_delay_alu instid0(VALU_DEP_1)
	v_cndmask_b32_e32 v0, 0x7fc0, v0, vcc_lo
	global_store_b16 v[3:4], v0, off
.LBB39_1069:
	s_mov_b32 s4, 0
.LBB39_1070:
	s_delay_alu instid0(SALU_CYCLE_1)
	s_and_b32 vcc_lo, exec_lo, s4
	s_cbranch_vccz .LBB39_1073
; %bb.1071:
	v_cmp_ne_u16_e32 vcc_lo, 11, v5
	s_and_not1_b32 s2, s2, exec_lo
	s_mov_b32 s7, -1
	s_and_b32 s4, vcc_lo, exec_lo
	s_delay_alu instid0(SALU_CYCLE_1)
	s_or_b32 s2, s2, s4
	s_branch .LBB39_1073
.LBB39_1072:
	s_mov_b32 s7, 0
.LBB39_1073:
	s_and_b32 s6, s3, exec_lo
	s_and_not1_b32 s3, s42, exec_lo
	s_and_b32 s2, s2, exec_lo
	s_and_b32 s7, s7, exec_lo
	s_or_b32 s42, s3, s2
.LBB39_1074:
	s_or_b32 exec_lo, exec_lo, s9
	s_and_saveexec_b32 s2, s42
	s_cbranch_execnz .LBB39_1188
; %bb.1075:
	s_or_b32 exec_lo, exec_lo, s2
	s_and_saveexec_b32 s2, s7
	s_delay_alu instid0(SALU_CYCLE_1)
	s_xor_b32 s2, exec_lo, s2
	s_cbranch_execz .LBB39_1077
.LBB39_1076:
	v_cmp_neq_f32_e32 vcc_lo, 0, v1
	v_cndmask_b32_e64 v0, 0, 1, vcc_lo
	s_waitcnt vmcnt(0)
	global_store_b8 v[3:4], v0, off
.LBB39_1077:
	s_or_b32 exec_lo, exec_lo, s2
	s_and_saveexec_b32 s2, s6
	s_delay_alu instid0(SALU_CYCLE_1)
	s_xor_b32 s2, exec_lo, s2
	s_cbranch_execz .LBB39_1115
; %bb.1078:
	v_cmp_gt_i16_e32 vcc_lo, 5, v5
	s_mov_b32 s3, -1
	s_cbranch_vccnz .LBB39_1099
; %bb.1079:
	v_cmp_gt_i16_e32 vcc_lo, 8, v5
	s_cbranch_vccnz .LBB39_1089
; %bb.1080:
	v_cmp_gt_i16_e32 vcc_lo, 9, v5
	s_cbranch_vccnz .LBB39_1086
; %bb.1081:
	v_cmp_lt_i16_e32 vcc_lo, 9, v5
	s_cbranch_vccz .LBB39_1083
; %bb.1082:
	s_waitcnt vmcnt(0)
	v_cvt_f64_f32_e32 v[6:7], v1
	v_mov_b32_e32 v8, 0
	s_mov_b32 s3, 0
	s_delay_alu instid0(VALU_DEP_1)
	v_mov_b32_e32 v9, v8
	global_store_b128 v[3:4], v[6:9], off
.LBB39_1083:
	s_and_not1_b32 vcc_lo, exec_lo, s3
	s_cbranch_vccnz .LBB39_1085
; %bb.1084:
	v_mov_b32_e32 v2, 0
	s_waitcnt vmcnt(0)
	global_store_b64 v[3:4], v[1:2], off
.LBB39_1085:
	s_mov_b32 s3, 0
.LBB39_1086:
	s_delay_alu instid0(SALU_CYCLE_1)
	s_and_not1_b32 vcc_lo, exec_lo, s3
	s_cbranch_vccnz .LBB39_1088
; %bb.1087:
	v_cvt_f16_f32_e32 v0, v1
	s_delay_alu instid0(VALU_DEP_1)
	v_and_b32_e32 v0, 0xffff, v0
	s_waitcnt vmcnt(0)
	global_store_b32 v[3:4], v0, off
.LBB39_1088:
	s_mov_b32 s3, 0
.LBB39_1089:
	s_delay_alu instid0(SALU_CYCLE_1)
	s_and_not1_b32 vcc_lo, exec_lo, s3
	s_cbranch_vccnz .LBB39_1098
; %bb.1090:
	v_cmp_gt_i16_e32 vcc_lo, 6, v5
	s_mov_b32 s3, -1
	s_cbranch_vccnz .LBB39_1096
; %bb.1091:
	v_cmp_lt_i16_e32 vcc_lo, 6, v5
	s_cbranch_vccz .LBB39_1093
; %bb.1092:
	s_waitcnt vmcnt(0)
	v_cvt_f64_f32_e32 v[6:7], v1
	s_mov_b32 s3, 0
	global_store_b64 v[3:4], v[6:7], off
.LBB39_1093:
	s_and_not1_b32 vcc_lo, exec_lo, s3
	s_cbranch_vccnz .LBB39_1095
; %bb.1094:
	s_waitcnt vmcnt(0)
	global_store_b32 v[3:4], v1, off
.LBB39_1095:
	s_mov_b32 s3, 0
.LBB39_1096:
	s_delay_alu instid0(SALU_CYCLE_1)
	s_and_not1_b32 vcc_lo, exec_lo, s3
	s_cbranch_vccnz .LBB39_1098
; %bb.1097:
	v_cvt_f16_f32_e32 v0, v1
	s_waitcnt vmcnt(0)
	global_store_b16 v[3:4], v0, off
.LBB39_1098:
	s_mov_b32 s3, 0
.LBB39_1099:
	s_delay_alu instid0(SALU_CYCLE_1)
	s_and_not1_b32 vcc_lo, exec_lo, s3
	s_cbranch_vccnz .LBB39_1115
; %bb.1100:
	v_cmp_gt_i16_e32 vcc_lo, 2, v5
	s_mov_b32 s3, -1
	s_cbranch_vccnz .LBB39_1110
; %bb.1101:
	v_cmp_gt_i16_e32 vcc_lo, 3, v5
	s_cbranch_vccnz .LBB39_1107
; %bb.1102:
	v_cmp_lt_i16_e32 vcc_lo, 3, v5
	s_cbranch_vccz .LBB39_1104
; %bb.1103:
	v_trunc_f32_e32 v0, v1
	s_mov_b32 s3, 0
	s_delay_alu instid0(VALU_DEP_1) | instskip(NEXT) | instid1(VALU_DEP_1)
	v_mul_f32_e64 v2, 0x2f800000, |v0|
	v_floor_f32_e32 v2, v2
	s_waitcnt vmcnt(0)
	s_delay_alu instid0(VALU_DEP_1) | instskip(SKIP_2) | instid1(VALU_DEP_3)
	v_fma_f32 v6, 0xcf800000, v2, |v0|
	v_ashrrev_i32_e32 v0, 31, v0
	v_cvt_u32_f32_e32 v2, v2
	v_cvt_u32_f32_e32 v6, v6
	s_delay_alu instid0(VALU_DEP_2) | instskip(NEXT) | instid1(VALU_DEP_2)
	v_xor_b32_e32 v2, v2, v0
	v_xor_b32_e32 v6, v6, v0
	s_delay_alu instid0(VALU_DEP_1) | instskip(NEXT) | instid1(VALU_DEP_3)
	v_sub_co_u32 v6, vcc_lo, v6, v0
	v_sub_co_ci_u32_e32 v7, vcc_lo, v2, v0, vcc_lo
	global_store_b64 v[3:4], v[6:7], off
.LBB39_1104:
	s_and_not1_b32 vcc_lo, exec_lo, s3
	s_cbranch_vccnz .LBB39_1106
; %bb.1105:
	v_cvt_i32_f32_e32 v0, v1
	s_waitcnt vmcnt(0)
	global_store_b32 v[3:4], v0, off
.LBB39_1106:
	s_mov_b32 s3, 0
.LBB39_1107:
	s_delay_alu instid0(SALU_CYCLE_1)
	s_and_not1_b32 vcc_lo, exec_lo, s3
	s_cbranch_vccnz .LBB39_1109
; %bb.1108:
	v_cvt_i32_f32_e32 v0, v1
	s_waitcnt vmcnt(0)
	global_store_b16 v[3:4], v0, off
.LBB39_1109:
	s_mov_b32 s3, 0
.LBB39_1110:
	s_delay_alu instid0(SALU_CYCLE_1)
	s_and_not1_b32 vcc_lo, exec_lo, s3
	s_cbranch_vccnz .LBB39_1115
; %bb.1111:
	v_cmp_lt_i16_e32 vcc_lo, 0, v5
	s_mov_b32 s3, -1
	s_cbranch_vccz .LBB39_1113
; %bb.1112:
	v_cvt_i32_f32_e32 v0, v1
	s_mov_b32 s3, 0
	s_waitcnt vmcnt(0)
	global_store_b8 v[3:4], v0, off
.LBB39_1113:
	s_and_not1_b32 vcc_lo, exec_lo, s3
	s_cbranch_vccnz .LBB39_1115
; %bb.1114:
	v_trunc_f32_e32 v0, v1
	s_delay_alu instid0(VALU_DEP_1) | instskip(NEXT) | instid1(VALU_DEP_1)
	v_mul_f32_e64 v1, 0x2f800000, |v0|
	v_floor_f32_e32 v1, v1
	s_delay_alu instid0(VALU_DEP_1) | instskip(SKIP_1) | instid1(VALU_DEP_2)
	v_fma_f32 v1, 0xcf800000, v1, |v0|
	v_ashrrev_i32_e32 v0, 31, v0
	v_cvt_u32_f32_e32 v1, v1
	s_delay_alu instid0(VALU_DEP_1) | instskip(NEXT) | instid1(VALU_DEP_1)
	v_xor_b32_e32 v1, v1, v0
	v_sub_nc_u32_e32 v0, v1, v0
	s_waitcnt vmcnt(0)
	global_store_b8 v[3:4], v0, off
.LBB39_1115:
	s_or_b32 exec_lo, exec_lo, s2
	s_delay_alu instid0(SALU_CYCLE_1)
	s_and_b32 s10, s8, exec_lo
                                        ; implicit-def: $vgpr9
                                        ; implicit-def: $vgpr7
.LBB39_1116:
	s_or_saveexec_b32 s11, s35
	s_mov_b32 s3, 0
                                        ; implicit-def: $vgpr0_vgpr1
                                        ; implicit-def: $sgpr2
                                        ; implicit-def: $vgpr8
	s_xor_b32 exec_lo, exec_lo, s11
	s_cbranch_execz .LBB39_1739
; %bb.1117:
	v_cndmask_b32_e64 v0, 0, 1, s34
	s_and_not1_b32 vcc_lo, exec_lo, s34
	s_cbranch_vccnz .LBB39_1123
; %bb.1118:
	s_waitcnt vmcnt(0)
	v_dual_mov_b32 v3, 0 :: v_dual_mov_b32 v4, 0
	s_cmp_lg_u32 s30, 0
	s_mov_b32 s6, 0
	s_cbranch_scc0 .LBB39_1127
; %bb.1119:
	s_min_u32 s7, s31, 15
	v_mov_b32_e32 v3, 0
	s_add_i32 s7, s7, 1
	s_cmp_eq_u32 s31, 2
	s_mov_b32 s8, 0
	s_cbranch_scc1 .LBB39_1124
; %bb.1120:
	v_dual_mov_b32 v4, 0 :: v_dual_mov_b32 v3, 0
	v_mov_b32_e32 v1, v7
	s_add_u32 s2, s16, 0xc4
	s_addc_u32 s3, s17, 0
	s_and_b32 s8, s7, 28
	s_mov_b32 s9, 0
	s_mov_b64 s[4:5], s[16:17]
.LBB39_1121:                            ; =>This Inner Loop Header: Depth=1
	s_clause 0x1
	s_load_b256 s[20:27], s[4:5], 0x4
	s_load_b128 s[12:15], s[4:5], 0x24
	s_load_b256 s[36:43], s[2:3], 0x0
	s_add_u32 s4, s4, 48
	s_addc_u32 s5, s5, 0
	s_add_i32 s9, s9, 4
	s_add_u32 s2, s2, 32
	s_addc_u32 s3, s3, 0
	s_cmp_lg_u32 s8, s9
	s_waitcnt lgkmcnt(0)
	v_mul_hi_u32 v2, s21, v1
	s_delay_alu instid0(VALU_DEP_1) | instskip(NEXT) | instid1(VALU_DEP_1)
	v_add_nc_u32_e32 v2, v1, v2
	v_lshrrev_b32_e32 v2, s22, v2
	s_delay_alu instid0(VALU_DEP_1) | instskip(SKIP_1) | instid1(VALU_DEP_2)
	v_mul_hi_u32 v5, s24, v2
	v_mul_lo_u32 v8, v2, s20
	v_add_nc_u32_e32 v5, v2, v5
	s_delay_alu instid0(VALU_DEP_2) | instskip(NEXT) | instid1(VALU_DEP_2)
	v_sub_nc_u32_e32 v1, v1, v8
	v_lshrrev_b32_e32 v5, s25, v5
	s_delay_alu instid0(VALU_DEP_2) | instskip(SKIP_1) | instid1(VALU_DEP_3)
	v_mul_lo_u32 v8, v1, s36
	v_mul_lo_u32 v11, v1, s37
	v_mul_hi_u32 v6, s27, v5
	s_delay_alu instid0(VALU_DEP_1) | instskip(NEXT) | instid1(VALU_DEP_1)
	v_add_nc_u32_e32 v6, v5, v6
	v_lshrrev_b32_e32 v6, s12, v6
	s_delay_alu instid0(VALU_DEP_1) | instskip(SKIP_1) | instid1(VALU_DEP_2)
	v_mul_hi_u32 v10, s14, v6
	v_mul_lo_u32 v12, v6, s26
	v_add_nc_u32_e32 v1, v6, v10
	v_mul_lo_u32 v10, v5, s23
	s_delay_alu instid0(VALU_DEP_3) | instskip(NEXT) | instid1(VALU_DEP_3)
	v_sub_nc_u32_e32 v5, v5, v12
	v_lshrrev_b32_e32 v1, s15, v1
	s_delay_alu instid0(VALU_DEP_2) | instskip(SKIP_2) | instid1(VALU_DEP_4)
	v_mul_lo_u32 v12, v5, s40
	v_mul_lo_u32 v5, v5, s41
	v_sub_nc_u32_e32 v2, v2, v10
	v_mul_lo_u32 v13, v1, s13
	s_delay_alu instid0(VALU_DEP_2) | instskip(SKIP_1) | instid1(VALU_DEP_3)
	v_mul_lo_u32 v10, v2, s38
	v_mul_lo_u32 v2, v2, s39
	v_sub_nc_u32_e32 v6, v6, v13
	s_delay_alu instid0(VALU_DEP_3) | instskip(NEXT) | instid1(VALU_DEP_2)
	v_add3_u32 v3, v8, v3, v10
	v_mul_lo_u32 v13, v6, s42
	v_mul_lo_u32 v6, v6, s43
	v_add3_u32 v2, v11, v4, v2
	s_delay_alu instid0(VALU_DEP_3) | instskip(NEXT) | instid1(VALU_DEP_2)
	v_add3_u32 v3, v12, v3, v13
	v_add3_u32 v4, v5, v2, v6
	s_cbranch_scc1 .LBB39_1121
; %bb.1122:
	s_and_b32 s7, s7, 3
	s_delay_alu instid0(SALU_CYCLE_1)
	s_cmp_eq_u32 s7, 0
	s_cbranch_scc0 .LBB39_1125
	s_branch .LBB39_1127
.LBB39_1123:
	s_mov_b32 s6, -1
                                        ; implicit-def: $vgpr3
                                        ; implicit-def: $vgpr4
	s_branch .LBB39_1127
.LBB39_1124:
	v_dual_mov_b32 v1, v7 :: v_dual_mov_b32 v4, 0
	s_and_b32 s7, s7, 3
	s_delay_alu instid0(SALU_CYCLE_1)
	s_cmp_eq_u32 s7, 0
	s_cbranch_scc1 .LBB39_1127
.LBB39_1125:
	s_lshl_b32 s2, s8, 3
	s_mul_i32 s4, s8, 12
	s_add_u32 s2, s2, s16
	s_addc_u32 s3, 0, s17
	s_add_u32 s2, s2, 0xc4
	s_addc_u32 s3, s3, 0
	;; [unrolled: 2-line block ×3, first 2 shown]
	.p2align	6
.LBB39_1126:                            ; =>This Inner Loop Header: Depth=1
	s_clause 0x1
	s_load_b64 s[8:9], s[4:5], 0x4
	s_load_b32 s14, s[4:5], 0xc
	s_load_b64 s[12:13], s[2:3], 0x0
	s_add_u32 s4, s4, 12
	s_addc_u32 s5, s5, 0
	s_add_u32 s2, s2, 8
	s_addc_u32 s3, s3, 0
	s_add_i32 s7, s7, -1
	s_delay_alu instid0(SALU_CYCLE_1) | instskip(SKIP_2) | instid1(VALU_DEP_1)
	s_cmp_lg_u32 s7, 0
	s_waitcnt lgkmcnt(0)
	v_mul_hi_u32 v2, s9, v1
	v_add_nc_u32_e32 v2, v1, v2
	s_delay_alu instid0(VALU_DEP_1) | instskip(NEXT) | instid1(VALU_DEP_1)
	v_lshrrev_b32_e32 v8, s14, v2
	v_mul_lo_u32 v2, v8, s8
	s_delay_alu instid0(VALU_DEP_1) | instskip(NEXT) | instid1(VALU_DEP_1)
	v_sub_nc_u32_e32 v1, v1, v2
	v_mad_u64_u32 v[5:6], null, v1, s12, v[3:4]
	s_delay_alu instid0(VALU_DEP_1) | instskip(SKIP_1) | instid1(VALU_DEP_2)
	v_mad_u64_u32 v[2:3], null, v1, s13, v[4:5]
	v_mov_b32_e32 v1, v8
	v_dual_mov_b32 v3, v5 :: v_dual_mov_b32 v4, v2
	s_cbranch_scc1 .LBB39_1126
.LBB39_1127:
	s_and_not1_b32 vcc_lo, exec_lo, s6
	s_cbranch_vccnz .LBB39_1130
; %bb.1128:
	s_clause 0x1
	s_load_b128 s[4:7], s[16:17], 0x4
	s_load_b64 s[2:3], s[16:17], 0xc4
	s_cmp_lt_u32 s30, 2
	s_waitcnt lgkmcnt(0)
	v_mul_hi_u32 v1, s5, v7
	s_delay_alu instid0(VALU_DEP_1) | instskip(NEXT) | instid1(VALU_DEP_1)
	v_add_nc_u32_e32 v1, v7, v1
	v_lshrrev_b32_e32 v1, s6, v1
	s_delay_alu instid0(VALU_DEP_1) | instskip(NEXT) | instid1(VALU_DEP_1)
	v_mul_lo_u32 v2, v1, s4
	v_sub_nc_u32_e32 v2, v7, v2
	s_waitcnt vmcnt(0)
	s_delay_alu instid0(VALU_DEP_1)
	v_mul_lo_u32 v3, v2, s2
	v_mul_lo_u32 v4, v2, s3
	s_cbranch_scc1 .LBB39_1130
; %bb.1129:
	s_clause 0x1
	s_load_b128 s[4:7], s[16:17], 0x10
	s_load_b64 s[2:3], s[16:17], 0xcc
	s_waitcnt lgkmcnt(0)
	v_mul_hi_u32 v2, s5, v1
	s_delay_alu instid0(VALU_DEP_1) | instskip(NEXT) | instid1(VALU_DEP_1)
	v_add_nc_u32_e32 v2, v1, v2
	v_lshrrev_b32_e32 v2, s6, v2
	s_delay_alu instid0(VALU_DEP_1) | instskip(NEXT) | instid1(VALU_DEP_1)
	v_mul_lo_u32 v2, v2, s4
	v_sub_nc_u32_e32 v5, v1, v2
	s_delay_alu instid0(VALU_DEP_1) | instskip(SKIP_1) | instid1(VALU_DEP_1)
	v_mad_u64_u32 v[1:2], null, v5, s2, v[3:4]
	v_mad_u64_u32 v[2:3], null, v5, s3, v[4:5]
	v_dual_mov_b32 v3, v1 :: v_dual_mov_b32 v4, v2
.LBB39_1130:
	v_cmp_ne_u32_e32 vcc_lo, 1, v0
	v_add_nc_u32_e32 v1, 0x80, v7
	s_cbranch_vccnz .LBB39_1136
; %bb.1131:
	v_mov_b32_e32 v2, 0
	s_waitcnt vmcnt(0)
	v_mov_b32_e32 v6, 0
	s_cmp_lg_u32 s30, 0
	s_mov_b32 s6, 0
	s_cbranch_scc0 .LBB39_1140
; %bb.1132:
	s_min_u32 s7, s31, 15
	v_mov_b32_e32 v2, 0
	s_add_i32 s7, s7, 1
	s_cmp_eq_u32 s31, 2
	s_mov_b32 s8, 0
	s_cbranch_scc1 .LBB39_1137
; %bb.1133:
	v_dual_mov_b32 v6, 0 :: v_dual_mov_b32 v5, v1
	v_mov_b32_e32 v2, 0
	s_add_u32 s2, s16, 0xc4
	s_addc_u32 s3, s17, 0
	s_and_b32 s8, s7, 28
	s_mov_b32 s9, 0
	s_mov_b64 s[4:5], s[16:17]
.LBB39_1134:                            ; =>This Inner Loop Header: Depth=1
	s_clause 0x1
	s_load_b256 s[20:27], s[4:5], 0x4
	s_load_b128 s[12:15], s[4:5], 0x24
	s_load_b256 s[36:43], s[2:3], 0x0
	s_add_u32 s4, s4, 48
	s_addc_u32 s5, s5, 0
	s_add_i32 s9, s9, 4
	s_add_u32 s2, s2, 32
	s_addc_u32 s3, s3, 0
	s_cmp_lg_u32 s8, s9
	s_waitcnt lgkmcnt(0)
	v_mul_hi_u32 v8, s21, v5
	s_delay_alu instid0(VALU_DEP_1) | instskip(NEXT) | instid1(VALU_DEP_1)
	v_add_nc_u32_e32 v8, v5, v8
	v_lshrrev_b32_e32 v8, s22, v8
	s_delay_alu instid0(VALU_DEP_1) | instskip(SKIP_1) | instid1(VALU_DEP_2)
	v_mul_hi_u32 v10, s24, v8
	v_mul_lo_u32 v12, v8, s20
	v_add_nc_u32_e32 v10, v8, v10
	s_delay_alu instid0(VALU_DEP_2) | instskip(NEXT) | instid1(VALU_DEP_2)
	v_sub_nc_u32_e32 v5, v5, v12
	v_lshrrev_b32_e32 v10, s25, v10
	s_delay_alu instid0(VALU_DEP_2) | instskip(SKIP_1) | instid1(VALU_DEP_3)
	v_mul_lo_u32 v12, v5, s36
	v_mul_lo_u32 v14, v5, s37
	v_mul_hi_u32 v11, s27, v10
	s_delay_alu instid0(VALU_DEP_1) | instskip(NEXT) | instid1(VALU_DEP_1)
	v_add_nc_u32_e32 v11, v10, v11
	v_lshrrev_b32_e32 v11, s12, v11
	s_delay_alu instid0(VALU_DEP_1) | instskip(SKIP_1) | instid1(VALU_DEP_2)
	v_mul_hi_u32 v13, s14, v11
	v_mul_lo_u32 v15, v11, s26
	v_add_nc_u32_e32 v5, v11, v13
	v_mul_lo_u32 v13, v10, s23
	s_delay_alu instid0(VALU_DEP_3) | instskip(NEXT) | instid1(VALU_DEP_3)
	v_sub_nc_u32_e32 v10, v10, v15
	v_lshrrev_b32_e32 v5, s15, v5
	s_delay_alu instid0(VALU_DEP_2) | instskip(SKIP_2) | instid1(VALU_DEP_4)
	v_mul_lo_u32 v15, v10, s40
	v_mul_lo_u32 v10, v10, s41
	v_sub_nc_u32_e32 v8, v8, v13
	v_mul_lo_u32 v16, v5, s13
	s_delay_alu instid0(VALU_DEP_2) | instskip(SKIP_1) | instid1(VALU_DEP_3)
	v_mul_lo_u32 v13, v8, s38
	v_mul_lo_u32 v8, v8, s39
	v_sub_nc_u32_e32 v11, v11, v16
	s_delay_alu instid0(VALU_DEP_3) | instskip(NEXT) | instid1(VALU_DEP_2)
	v_add3_u32 v2, v12, v2, v13
	v_mul_lo_u32 v16, v11, s42
	v_mul_lo_u32 v11, v11, s43
	v_add3_u32 v6, v14, v6, v8
	s_delay_alu instid0(VALU_DEP_3) | instskip(NEXT) | instid1(VALU_DEP_2)
	v_add3_u32 v2, v15, v2, v16
	v_add3_u32 v6, v10, v6, v11
	s_cbranch_scc1 .LBB39_1134
; %bb.1135:
	s_and_b32 s7, s7, 3
	s_delay_alu instid0(SALU_CYCLE_1)
	s_cmp_eq_u32 s7, 0
	s_cbranch_scc0 .LBB39_1138
	s_branch .LBB39_1140
.LBB39_1136:
	s_mov_b32 s6, -1
                                        ; implicit-def: $vgpr2
                                        ; implicit-def: $vgpr6
	s_branch .LBB39_1140
.LBB39_1137:
	v_dual_mov_b32 v5, v1 :: v_dual_mov_b32 v6, 0
	s_and_b32 s7, s7, 3
	s_delay_alu instid0(SALU_CYCLE_1)
	s_cmp_eq_u32 s7, 0
	s_cbranch_scc1 .LBB39_1140
.LBB39_1138:
	s_lshl_b32 s2, s8, 3
	s_mul_i32 s4, s8, 12
	s_add_u32 s2, s2, s16
	s_addc_u32 s3, 0, s17
	s_add_u32 s2, s2, 0xc4
	s_addc_u32 s3, s3, 0
	;; [unrolled: 2-line block ×3, first 2 shown]
	.p2align	6
.LBB39_1139:                            ; =>This Inner Loop Header: Depth=1
	s_clause 0x1
	s_load_b64 s[8:9], s[4:5], 0x4
	s_load_b32 s14, s[4:5], 0xc
	s_load_b64 s[12:13], s[2:3], 0x0
	s_add_u32 s4, s4, 12
	s_addc_u32 s5, s5, 0
	s_add_u32 s2, s2, 8
	s_addc_u32 s3, s3, 0
	s_add_i32 s7, s7, -1
	s_delay_alu instid0(SALU_CYCLE_1) | instskip(SKIP_2) | instid1(VALU_DEP_1)
	s_cmp_lg_u32 s7, 0
	s_waitcnt lgkmcnt(0)
	v_mul_hi_u32 v8, s9, v5
	v_add_nc_u32_e32 v8, v5, v8
	s_delay_alu instid0(VALU_DEP_1) | instskip(NEXT) | instid1(VALU_DEP_1)
	v_lshrrev_b32_e32 v8, s14, v8
	v_mul_lo_u32 v10, v8, s8
	s_delay_alu instid0(VALU_DEP_1) | instskip(NEXT) | instid1(VALU_DEP_1)
	v_sub_nc_u32_e32 v5, v5, v10
	v_mad_u64_u32 v[10:11], null, v5, s12, v[2:3]
	v_mad_u64_u32 v[11:12], null, v5, s13, v[6:7]
	s_delay_alu instid0(VALU_DEP_2) | instskip(NEXT) | instid1(VALU_DEP_2)
	v_dual_mov_b32 v5, v8 :: v_dual_mov_b32 v2, v10
	v_mov_b32_e32 v6, v11
	s_cbranch_scc1 .LBB39_1139
.LBB39_1140:
	s_and_not1_b32 vcc_lo, exec_lo, s6
	s_cbranch_vccnz .LBB39_1143
; %bb.1141:
	s_clause 0x1
	s_load_b128 s[4:7], s[16:17], 0x4
	s_load_b64 s[2:3], s[16:17], 0xc4
	s_cmp_lt_u32 s30, 2
	s_waitcnt lgkmcnt(0)
	v_mul_hi_u32 v2, s5, v1
	s_delay_alu instid0(VALU_DEP_1) | instskip(NEXT) | instid1(VALU_DEP_1)
	v_add_nc_u32_e32 v2, v1, v2
	v_lshrrev_b32_e32 v5, s6, v2
	s_delay_alu instid0(VALU_DEP_1) | instskip(NEXT) | instid1(VALU_DEP_1)
	v_mul_lo_u32 v2, v5, s4
	v_sub_nc_u32_e32 v1, v1, v2
	s_delay_alu instid0(VALU_DEP_1)
	v_mul_lo_u32 v2, v1, s2
	s_waitcnt vmcnt(0)
	v_mul_lo_u32 v6, v1, s3
	s_cbranch_scc1 .LBB39_1143
; %bb.1142:
	s_clause 0x1
	s_load_b128 s[4:7], s[16:17], 0x10
	s_load_b64 s[2:3], s[16:17], 0xcc
	s_waitcnt lgkmcnt(0)
	v_mul_hi_u32 v1, s5, v5
	s_delay_alu instid0(VALU_DEP_1) | instskip(NEXT) | instid1(VALU_DEP_1)
	v_add_nc_u32_e32 v1, v5, v1
	v_lshrrev_b32_e32 v1, s6, v1
	s_delay_alu instid0(VALU_DEP_1) | instskip(NEXT) | instid1(VALU_DEP_1)
	v_mul_lo_u32 v1, v1, s4
	v_sub_nc_u32_e32 v5, v5, v1
	s_delay_alu instid0(VALU_DEP_1) | instskip(SKIP_1) | instid1(VALU_DEP_2)
	v_mad_u64_u32 v[10:11], null, v5, s2, v[2:3]
	v_mad_u64_u32 v[1:2], null, v5, s3, v[6:7]
	v_mov_b32_e32 v2, v10
	s_delay_alu instid0(VALU_DEP_2)
	v_mov_b32_e32 v6, v1
.LBB39_1143:
	v_cmp_ne_u32_e32 vcc_lo, 1, v0
	v_add_nc_u32_e32 v5, 0x100, v7
	s_cbranch_vccnz .LBB39_1149
; %bb.1144:
	v_mov_b32_e32 v1, 0
	v_mov_b32_e32 v7, 0
	s_cmp_lg_u32 s30, 0
	s_mov_b32 s6, 0
	s_cbranch_scc0 .LBB39_1153
; %bb.1145:
	s_min_u32 s7, s31, 15
	v_mov_b32_e32 v1, 0
	s_add_i32 s7, s7, 1
	s_cmp_eq_u32 s31, 2
	s_mov_b32 s8, 0
	s_cbranch_scc1 .LBB39_1150
; %bb.1146:
	v_dual_mov_b32 v7, 0 :: v_dual_mov_b32 v8, v5
	v_mov_b32_e32 v1, 0
	s_add_u32 s2, s16, 0xc4
	s_addc_u32 s3, s17, 0
	s_and_b32 s8, s7, 28
	s_mov_b32 s9, 0
	s_mov_b64 s[4:5], s[16:17]
.LBB39_1147:                            ; =>This Inner Loop Header: Depth=1
	s_clause 0x1
	s_load_b256 s[20:27], s[4:5], 0x4
	s_load_b128 s[12:15], s[4:5], 0x24
	s_load_b256 s[36:43], s[2:3], 0x0
	s_add_u32 s4, s4, 48
	s_addc_u32 s5, s5, 0
	s_add_i32 s9, s9, 4
	s_add_u32 s2, s2, 32
	s_addc_u32 s3, s3, 0
	s_cmp_lg_u32 s8, s9
	s_waitcnt lgkmcnt(0)
	v_mul_hi_u32 v10, s21, v8
	s_delay_alu instid0(VALU_DEP_1) | instskip(NEXT) | instid1(VALU_DEP_1)
	v_add_nc_u32_e32 v10, v8, v10
	v_lshrrev_b32_e32 v10, s22, v10
	s_delay_alu instid0(VALU_DEP_1) | instskip(SKIP_1) | instid1(VALU_DEP_2)
	v_mul_hi_u32 v11, s24, v10
	v_mul_lo_u32 v13, v10, s20
	v_add_nc_u32_e32 v11, v10, v11
	s_delay_alu instid0(VALU_DEP_2) | instskip(NEXT) | instid1(VALU_DEP_2)
	v_sub_nc_u32_e32 v8, v8, v13
	v_lshrrev_b32_e32 v11, s25, v11
	s_delay_alu instid0(VALU_DEP_2) | instskip(SKIP_1) | instid1(VALU_DEP_3)
	v_mul_lo_u32 v13, v8, s36
	v_mul_lo_u32 v15, v8, s37
	v_mul_hi_u32 v12, s27, v11
	s_delay_alu instid0(VALU_DEP_1) | instskip(NEXT) | instid1(VALU_DEP_1)
	v_add_nc_u32_e32 v12, v11, v12
	v_lshrrev_b32_e32 v12, s12, v12
	s_delay_alu instid0(VALU_DEP_1) | instskip(SKIP_1) | instid1(VALU_DEP_2)
	v_mul_hi_u32 v14, s14, v12
	v_mul_lo_u32 v16, v12, s26
	v_add_nc_u32_e32 v8, v12, v14
	v_mul_lo_u32 v14, v11, s23
	s_delay_alu instid0(VALU_DEP_3) | instskip(NEXT) | instid1(VALU_DEP_3)
	v_sub_nc_u32_e32 v11, v11, v16
	v_lshrrev_b32_e32 v8, s15, v8
	s_delay_alu instid0(VALU_DEP_2) | instskip(SKIP_2) | instid1(VALU_DEP_4)
	v_mul_lo_u32 v16, v11, s40
	v_mul_lo_u32 v11, v11, s41
	v_sub_nc_u32_e32 v10, v10, v14
	v_mul_lo_u32 v17, v8, s13
	s_delay_alu instid0(VALU_DEP_2) | instskip(SKIP_1) | instid1(VALU_DEP_3)
	v_mul_lo_u32 v14, v10, s38
	v_mul_lo_u32 v10, v10, s39
	v_sub_nc_u32_e32 v12, v12, v17
	s_delay_alu instid0(VALU_DEP_3) | instskip(NEXT) | instid1(VALU_DEP_2)
	v_add3_u32 v1, v13, v1, v14
	v_mul_lo_u32 v17, v12, s42
	v_mul_lo_u32 v12, v12, s43
	v_add3_u32 v7, v15, v7, v10
	s_delay_alu instid0(VALU_DEP_3) | instskip(NEXT) | instid1(VALU_DEP_2)
	v_add3_u32 v1, v16, v1, v17
	v_add3_u32 v7, v11, v7, v12
	s_cbranch_scc1 .LBB39_1147
; %bb.1148:
	s_and_b32 s7, s7, 3
	s_delay_alu instid0(SALU_CYCLE_1)
	s_cmp_eq_u32 s7, 0
	s_cbranch_scc0 .LBB39_1151
	s_branch .LBB39_1153
.LBB39_1149:
	s_mov_b32 s6, -1
                                        ; implicit-def: $vgpr1
                                        ; implicit-def: $vgpr7
	s_branch .LBB39_1153
.LBB39_1150:
	v_dual_mov_b32 v8, v5 :: v_dual_mov_b32 v7, 0
	s_and_b32 s7, s7, 3
	s_delay_alu instid0(SALU_CYCLE_1)
	s_cmp_eq_u32 s7, 0
	s_cbranch_scc1 .LBB39_1153
.LBB39_1151:
	s_lshl_b32 s2, s8, 3
	s_mul_i32 s4, s8, 12
	s_add_u32 s2, s2, s16
	s_addc_u32 s3, 0, s17
	s_add_u32 s2, s2, 0xc4
	s_addc_u32 s3, s3, 0
	;; [unrolled: 2-line block ×3, first 2 shown]
	.p2align	6
.LBB39_1152:                            ; =>This Inner Loop Header: Depth=1
	s_clause 0x1
	s_load_b64 s[8:9], s[4:5], 0x4
	s_load_b32 s14, s[4:5], 0xc
	s_load_b64 s[12:13], s[2:3], 0x0
	s_add_u32 s4, s4, 12
	s_addc_u32 s5, s5, 0
	s_add_u32 s2, s2, 8
	s_addc_u32 s3, s3, 0
	s_add_i32 s7, s7, -1
	s_delay_alu instid0(SALU_CYCLE_1) | instskip(SKIP_2) | instid1(VALU_DEP_1)
	s_cmp_lg_u32 s7, 0
	s_waitcnt lgkmcnt(0)
	v_mul_hi_u32 v10, s9, v8
	v_add_nc_u32_e32 v10, v8, v10
	s_delay_alu instid0(VALU_DEP_1) | instskip(NEXT) | instid1(VALU_DEP_1)
	v_lshrrev_b32_e32 v13, s14, v10
	v_mul_lo_u32 v10, v13, s8
	s_delay_alu instid0(VALU_DEP_1) | instskip(NEXT) | instid1(VALU_DEP_1)
	v_sub_nc_u32_e32 v8, v8, v10
	v_mad_u64_u32 v[10:11], null, v8, s12, v[1:2]
	v_mad_u64_u32 v[11:12], null, v8, s13, v[7:8]
	s_delay_alu instid0(VALU_DEP_2) | instskip(NEXT) | instid1(VALU_DEP_2)
	v_dual_mov_b32 v8, v13 :: v_dual_mov_b32 v1, v10
	v_mov_b32_e32 v7, v11
	s_cbranch_scc1 .LBB39_1152
.LBB39_1153:
	s_and_not1_b32 vcc_lo, exec_lo, s6
	s_cbranch_vccnz .LBB39_1156
; %bb.1154:
	s_clause 0x1
	s_load_b128 s[4:7], s[16:17], 0x4
	s_load_b64 s[2:3], s[16:17], 0xc4
	s_cmp_lt_u32 s30, 2
	s_waitcnt lgkmcnt(0)
	v_mul_hi_u32 v1, s5, v5
	s_delay_alu instid0(VALU_DEP_1) | instskip(NEXT) | instid1(VALU_DEP_1)
	v_add_nc_u32_e32 v1, v5, v1
	v_lshrrev_b32_e32 v8, s6, v1
	s_delay_alu instid0(VALU_DEP_1) | instskip(NEXT) | instid1(VALU_DEP_1)
	v_mul_lo_u32 v1, v8, s4
	v_sub_nc_u32_e32 v5, v5, v1
	s_delay_alu instid0(VALU_DEP_1)
	v_mul_lo_u32 v1, v5, s2
	v_mul_lo_u32 v7, v5, s3
	s_cbranch_scc1 .LBB39_1156
; %bb.1155:
	s_clause 0x1
	s_load_b128 s[4:7], s[16:17], 0x10
	s_load_b64 s[2:3], s[16:17], 0xcc
	s_waitcnt lgkmcnt(0)
	v_mul_hi_u32 v5, s5, v8
	s_delay_alu instid0(VALU_DEP_1) | instskip(NEXT) | instid1(VALU_DEP_1)
	v_add_nc_u32_e32 v5, v8, v5
	v_lshrrev_b32_e32 v5, s6, v5
	s_delay_alu instid0(VALU_DEP_1) | instskip(NEXT) | instid1(VALU_DEP_1)
	v_mul_lo_u32 v5, v5, s4
	v_sub_nc_u32_e32 v5, v8, v5
	s_delay_alu instid0(VALU_DEP_1) | instskip(SKIP_1) | instid1(VALU_DEP_2)
	v_mad_u64_u32 v[10:11], null, v5, s2, v[1:2]
	v_mad_u64_u32 v[11:12], null, v5, s3, v[7:8]
	v_mov_b32_e32 v1, v10
	s_delay_alu instid0(VALU_DEP_2)
	v_mov_b32_e32 v7, v11
.LBB39_1156:
	v_cmp_ne_u32_e32 vcc_lo, 1, v0
	s_cbranch_vccnz .LBB39_1162
; %bb.1157:
	v_dual_mov_b32 v0, 0 :: v_dual_mov_b32 v5, 0
	s_cmp_lg_u32 s30, 0
	s_mov_b32 s6, 0
	s_cbranch_scc0 .LBB39_1166
; %bb.1158:
	s_min_u32 s7, s31, 15
	v_mov_b32_e32 v0, 0
	s_add_i32 s7, s7, 1
	s_cmp_eq_u32 s31, 2
	s_mov_b32 s8, 0
	s_cbranch_scc1 .LBB39_1163
; %bb.1159:
	v_dual_mov_b32 v5, 0 :: v_dual_mov_b32 v0, 0
	v_mov_b32_e32 v8, v9
	s_add_u32 s2, s16, 0xc4
	s_addc_u32 s3, s17, 0
	s_and_b32 s8, s7, 28
	s_mov_b32 s9, 0
	s_mov_b64 s[4:5], s[16:17]
.LBB39_1160:                            ; =>This Inner Loop Header: Depth=1
	s_clause 0x1
	s_load_b256 s[20:27], s[4:5], 0x4
	s_load_b128 s[12:15], s[4:5], 0x24
	s_load_b256 s[36:43], s[2:3], 0x0
	s_add_u32 s4, s4, 48
	s_addc_u32 s5, s5, 0
	s_add_i32 s9, s9, 4
	s_add_u32 s2, s2, 32
	s_addc_u32 s3, s3, 0
	s_cmp_lg_u32 s8, s9
	s_waitcnt lgkmcnt(0)
	v_mul_hi_u32 v10, s21, v8
	s_delay_alu instid0(VALU_DEP_1) | instskip(NEXT) | instid1(VALU_DEP_1)
	v_add_nc_u32_e32 v10, v8, v10
	v_lshrrev_b32_e32 v10, s22, v10
	s_delay_alu instid0(VALU_DEP_1) | instskip(SKIP_1) | instid1(VALU_DEP_2)
	v_mul_hi_u32 v11, s24, v10
	v_mul_lo_u32 v13, v10, s20
	v_add_nc_u32_e32 v11, v10, v11
	s_delay_alu instid0(VALU_DEP_2) | instskip(NEXT) | instid1(VALU_DEP_2)
	v_sub_nc_u32_e32 v8, v8, v13
	v_lshrrev_b32_e32 v11, s25, v11
	s_delay_alu instid0(VALU_DEP_2) | instskip(SKIP_1) | instid1(VALU_DEP_3)
	v_mul_lo_u32 v13, v8, s36
	v_mul_lo_u32 v15, v8, s37
	v_mul_hi_u32 v12, s27, v11
	s_delay_alu instid0(VALU_DEP_1) | instskip(NEXT) | instid1(VALU_DEP_1)
	v_add_nc_u32_e32 v12, v11, v12
	v_lshrrev_b32_e32 v12, s12, v12
	s_delay_alu instid0(VALU_DEP_1) | instskip(SKIP_1) | instid1(VALU_DEP_2)
	v_mul_hi_u32 v14, s14, v12
	v_mul_lo_u32 v16, v12, s26
	v_add_nc_u32_e32 v8, v12, v14
	v_mul_lo_u32 v14, v11, s23
	s_delay_alu instid0(VALU_DEP_3) | instskip(NEXT) | instid1(VALU_DEP_3)
	v_sub_nc_u32_e32 v11, v11, v16
	v_lshrrev_b32_e32 v8, s15, v8
	s_delay_alu instid0(VALU_DEP_2) | instskip(SKIP_2) | instid1(VALU_DEP_4)
	v_mul_lo_u32 v16, v11, s40
	v_mul_lo_u32 v11, v11, s41
	v_sub_nc_u32_e32 v10, v10, v14
	v_mul_lo_u32 v17, v8, s13
	s_delay_alu instid0(VALU_DEP_2) | instskip(SKIP_1) | instid1(VALU_DEP_3)
	v_mul_lo_u32 v14, v10, s38
	v_mul_lo_u32 v10, v10, s39
	v_sub_nc_u32_e32 v12, v12, v17
	s_delay_alu instid0(VALU_DEP_3) | instskip(NEXT) | instid1(VALU_DEP_2)
	v_add3_u32 v0, v13, v0, v14
	v_mul_lo_u32 v17, v12, s42
	v_mul_lo_u32 v12, v12, s43
	v_add3_u32 v5, v15, v5, v10
	s_delay_alu instid0(VALU_DEP_3) | instskip(NEXT) | instid1(VALU_DEP_2)
	v_add3_u32 v0, v16, v0, v17
	v_add3_u32 v5, v11, v5, v12
	s_cbranch_scc1 .LBB39_1160
; %bb.1161:
	s_and_b32 s7, s7, 3
	s_delay_alu instid0(SALU_CYCLE_1)
	s_cmp_eq_u32 s7, 0
	s_cbranch_scc0 .LBB39_1164
	s_branch .LBB39_1166
.LBB39_1162:
	s_mov_b32 s6, -1
                                        ; implicit-def: $vgpr0
                                        ; implicit-def: $vgpr5
	s_branch .LBB39_1166
.LBB39_1163:
	v_dual_mov_b32 v8, v9 :: v_dual_mov_b32 v5, 0
	s_and_b32 s7, s7, 3
	s_delay_alu instid0(SALU_CYCLE_1)
	s_cmp_eq_u32 s7, 0
	s_cbranch_scc1 .LBB39_1166
.LBB39_1164:
	s_lshl_b32 s2, s8, 3
	s_mul_i32 s4, s8, 12
	s_add_u32 s2, s2, s16
	s_addc_u32 s3, 0, s17
	s_add_u32 s2, s2, 0xc4
	s_addc_u32 s3, s3, 0
	;; [unrolled: 2-line block ×3, first 2 shown]
	.p2align	6
.LBB39_1165:                            ; =>This Inner Loop Header: Depth=1
	s_clause 0x1
	s_load_b64 s[8:9], s[4:5], 0x4
	s_load_b32 s14, s[4:5], 0xc
	s_load_b64 s[12:13], s[2:3], 0x0
	s_add_u32 s4, s4, 12
	s_addc_u32 s5, s5, 0
	s_add_u32 s2, s2, 8
	s_addc_u32 s3, s3, 0
	s_add_i32 s7, s7, -1
	s_delay_alu instid0(SALU_CYCLE_1) | instskip(SKIP_2) | instid1(VALU_DEP_1)
	s_cmp_lg_u32 s7, 0
	s_waitcnt lgkmcnt(0)
	v_mul_hi_u32 v10, s9, v8
	v_add_nc_u32_e32 v10, v8, v10
	s_delay_alu instid0(VALU_DEP_1) | instskip(NEXT) | instid1(VALU_DEP_1)
	v_lshrrev_b32_e32 v13, s14, v10
	v_mul_lo_u32 v10, v13, s8
	s_delay_alu instid0(VALU_DEP_1) | instskip(NEXT) | instid1(VALU_DEP_1)
	v_sub_nc_u32_e32 v8, v8, v10
	v_mad_u64_u32 v[10:11], null, v8, s12, v[0:1]
	s_waitcnt vmcnt(0)
	v_mad_u64_u32 v[11:12], null, v8, s13, v[5:6]
	v_mov_b32_e32 v8, v13
	s_delay_alu instid0(VALU_DEP_2)
	v_dual_mov_b32 v0, v10 :: v_dual_mov_b32 v5, v11
	s_cbranch_scc1 .LBB39_1165
.LBB39_1166:
	s_and_not1_b32 vcc_lo, exec_lo, s6
	s_cbranch_vccnz .LBB39_1169
; %bb.1167:
	s_clause 0x1
	s_load_b128 s[4:7], s[16:17], 0x4
	s_load_b64 s[2:3], s[16:17], 0xc4
	s_cmp_lt_u32 s30, 2
	s_waitcnt lgkmcnt(0)
	v_mul_hi_u32 v0, s5, v9
	s_delay_alu instid0(VALU_DEP_1) | instskip(NEXT) | instid1(VALU_DEP_1)
	v_add_nc_u32_e32 v0, v9, v0
	v_lshrrev_b32_e32 v8, s6, v0
	s_delay_alu instid0(VALU_DEP_1) | instskip(NEXT) | instid1(VALU_DEP_1)
	v_mul_lo_u32 v0, v8, s4
	v_sub_nc_u32_e32 v5, v9, v0
	s_delay_alu instid0(VALU_DEP_1)
	v_mul_lo_u32 v0, v5, s2
	v_mul_lo_u32 v5, v5, s3
	s_cbranch_scc1 .LBB39_1169
; %bb.1168:
	s_clause 0x1
	s_load_b128 s[4:7], s[16:17], 0x10
	s_load_b64 s[2:3], s[16:17], 0xcc
	s_waitcnt lgkmcnt(0)
	v_mul_hi_u32 v9, s5, v8
	s_delay_alu instid0(VALU_DEP_1) | instskip(NEXT) | instid1(VALU_DEP_1)
	v_add_nc_u32_e32 v9, v8, v9
	v_lshrrev_b32_e32 v9, s6, v9
	s_delay_alu instid0(VALU_DEP_1) | instskip(NEXT) | instid1(VALU_DEP_1)
	v_mul_lo_u32 v9, v9, s4
	v_sub_nc_u32_e32 v11, v8, v9
	s_delay_alu instid0(VALU_DEP_1) | instskip(SKIP_2) | instid1(VALU_DEP_1)
	v_mad_u64_u32 v[8:9], null, v11, s2, v[0:1]
	s_waitcnt vmcnt(0)
	v_mad_u64_u32 v[9:10], null, v11, s3, v[5:6]
	v_dual_mov_b32 v0, v8 :: v_dual_mov_b32 v5, v9
.LBB39_1169:
	s_clause 0x1
	s_load_b32 s0, s[0:1], 0x168
	s_load_b128 s[4:7], s[16:17], 0x148
	s_mov_b32 s2, 0
	s_waitcnt lgkmcnt(0)
	s_lshr_b32 s0, s0, 8
	s_delay_alu instid0(SALU_CYCLE_1) | instskip(SKIP_1) | instid1(VALU_DEP_1)
	v_and_b32_e64 v10, 0xff, s0
	v_add_co_u32 v8, s0, s6, v4
	v_add_co_ci_u32_e64 v9, null, s7, 0, s0
	s_delay_alu instid0(VALU_DEP_3)
	v_cmp_gt_i16_e32 vcc_lo, 11, v10
	s_cbranch_vccnz .LBB39_1176
; %bb.1170:
	v_cmp_lt_i16_e32 vcc_lo, 25, v10
	s_mov_b32 s1, 0
	s_cbranch_vccz .LBB39_1182
; %bb.1171:
	v_cmp_lt_i16_e32 vcc_lo, 28, v10
	s_cbranch_vccz .LBB39_1184
; %bb.1172:
	v_cmp_lt_i16_e32 vcc_lo, 43, v10
	;; [unrolled: 3-line block ×3, first 2 shown]
	s_cbranch_vccz .LBB39_1190
; %bb.1174:
	v_cmp_eq_u16_e32 vcc_lo, 46, v10
	s_mov_b32 s3, 0
	s_cbranch_vccz .LBB39_1232
; %bb.1175:
	global_load_b32 v4, v[8:9], off
	s_mov_b32 s0, 0
	s_mov_b32 s2, -1
	s_waitcnt vmcnt(0)
	v_lshlrev_b32_e32 v11, 16, v4
	s_branch .LBB39_1234
.LBB39_1176:
	s_mov_b32 s12, s10
                                        ; implicit-def: $vgpr11
	s_cbranch_execz .LBB39_1297
; %bb.1177:
	v_cmp_gt_i16_e32 vcc_lo, 5, v10
	s_cbranch_vccnz .LBB39_1183
; %bb.1178:
	v_cmp_gt_i16_e32 vcc_lo, 8, v10
	s_cbranch_vccnz .LBB39_1185
	;; [unrolled: 3-line block ×3, first 2 shown]
; %bb.1180:
	v_cmp_lt_i16_e32 vcc_lo, 9, v10
	s_cbranch_vccz .LBB39_1191
; %bb.1181:
	global_load_b64 v[11:12], v[8:9], off
	s_mov_b32 s0, 0
	s_waitcnt vmcnt(0)
	v_cvt_f32_f64_e32 v11, v[11:12]
	s_branch .LBB39_1192
.LBB39_1182:
	s_mov_b32 s0, 0
                                        ; implicit-def: $vgpr11
	s_cbranch_execnz .LBB39_1262
	s_branch .LBB39_1293
.LBB39_1183:
                                        ; implicit-def: $vgpr11
	s_branch .LBB39_1209
.LBB39_1184:
	s_mov_b32 s3, -1
	s_mov_b32 s0, 0
                                        ; implicit-def: $vgpr11
	s_branch .LBB39_1243
.LBB39_1185:
                                        ; implicit-def: $vgpr11
	s_branch .LBB39_1198
.LBB39_1186:
	s_mov_b32 s0, 0
                                        ; implicit-def: $vgpr11
	s_cbranch_execnz .LBB39_1239
	s_branch .LBB39_1242
.LBB39_1187:
	s_mov_b32 s0, -1
                                        ; implicit-def: $vgpr11
	s_branch .LBB39_1195
.LBB39_1188:
	s_cbranch_execnz .LBB39_1230
; %bb.1189:
	s_or_b32 s8, s8, exec_lo
	s_and_not1_b32 s7, s7, exec_lo
	s_or_b32 exec_lo, exec_lo, s2
	s_and_saveexec_b32 s2, s7
	s_delay_alu instid0(SALU_CYCLE_1)
	s_xor_b32 s2, exec_lo, s2
	s_cbranch_execnz .LBB39_1076
	s_branch .LBB39_1077
.LBB39_1190:
	s_mov_b32 s3, -1
	s_mov_b32 s0, 0
	s_branch .LBB39_1233
.LBB39_1191:
	s_mov_b32 s0, -1
                                        ; implicit-def: $vgpr11
.LBB39_1192:
	s_delay_alu instid0(SALU_CYCLE_1)
	s_and_not1_b32 vcc_lo, exec_lo, s0
	s_cbranch_vccnz .LBB39_1194
; %bb.1193:
	global_load_b32 v11, v[8:9], off
.LBB39_1194:
	s_mov_b32 s0, 0
.LBB39_1195:
	s_delay_alu instid0(SALU_CYCLE_1)
	s_and_not1_b32 vcc_lo, exec_lo, s0
	s_cbranch_vccnz .LBB39_1197
; %bb.1196:
	global_load_b32 v4, v[8:9], off
	s_waitcnt vmcnt(0)
	v_cvt_f32_f16_e32 v11, v4
.LBB39_1197:
	s_cbranch_execnz .LBB39_1208
.LBB39_1198:
	v_cmp_gt_i16_e32 vcc_lo, 6, v10
	s_cbranch_vccnz .LBB39_1201
; %bb.1199:
	v_cmp_lt_i16_e32 vcc_lo, 6, v10
	s_cbranch_vccz .LBB39_1202
; %bb.1200:
	global_load_b64 v[11:12], v[8:9], off
	s_mov_b32 s0, 0
	s_waitcnt vmcnt(0)
	v_cvt_f32_f64_e32 v11, v[11:12]
	s_branch .LBB39_1203
.LBB39_1201:
	s_mov_b32 s0, -1
                                        ; implicit-def: $vgpr11
	s_branch .LBB39_1206
.LBB39_1202:
	s_mov_b32 s0, -1
                                        ; implicit-def: $vgpr11
.LBB39_1203:
	s_delay_alu instid0(SALU_CYCLE_1)
	s_and_not1_b32 vcc_lo, exec_lo, s0
	s_cbranch_vccnz .LBB39_1205
; %bb.1204:
	global_load_b32 v11, v[8:9], off
.LBB39_1205:
	s_mov_b32 s0, 0
.LBB39_1206:
	s_delay_alu instid0(SALU_CYCLE_1)
	s_and_not1_b32 vcc_lo, exec_lo, s0
	s_cbranch_vccnz .LBB39_1208
; %bb.1207:
	global_load_u16 v4, v[8:9], off
	s_waitcnt vmcnt(0)
	v_cvt_f32_f16_e32 v11, v4
.LBB39_1208:
	s_cbranch_execnz .LBB39_1227
.LBB39_1209:
	v_cmp_gt_i16_e32 vcc_lo, 2, v10
	s_cbranch_vccnz .LBB39_1213
; %bb.1210:
	v_cmp_gt_i16_e32 vcc_lo, 3, v10
	s_cbranch_vccnz .LBB39_1214
; %bb.1211:
	v_cmp_lt_i16_e32 vcc_lo, 3, v10
	s_cbranch_vccz .LBB39_1215
; %bb.1212:
	global_load_b64 v[11:12], v[8:9], off
	s_mov_b32 s0, 0
	s_waitcnt vmcnt(0)
	v_xor_b32_e32 v4, v11, v12
	v_cls_i32_e32 v13, v12
	s_delay_alu instid0(VALU_DEP_2) | instskip(NEXT) | instid1(VALU_DEP_2)
	v_ashrrev_i32_e32 v4, 31, v4
	v_add_nc_u32_e32 v13, -1, v13
	s_delay_alu instid0(VALU_DEP_2) | instskip(NEXT) | instid1(VALU_DEP_1)
	v_add_nc_u32_e32 v4, 32, v4
	v_min_u32_e32 v4, v13, v4
	s_delay_alu instid0(VALU_DEP_1) | instskip(SKIP_1) | instid1(VALU_DEP_2)
	v_lshlrev_b64 v[11:12], v4, v[11:12]
	v_sub_nc_u32_e32 v4, 32, v4
	v_min_u32_e32 v11, 1, v11
	s_delay_alu instid0(VALU_DEP_1) | instskip(NEXT) | instid1(VALU_DEP_1)
	v_or_b32_e32 v11, v12, v11
	v_cvt_f32_i32_e32 v11, v11
	s_delay_alu instid0(VALU_DEP_1)
	v_ldexp_f32 v11, v11, v4
	s_branch .LBB39_1216
.LBB39_1213:
                                        ; implicit-def: $vgpr11
	s_branch .LBB39_1222
.LBB39_1214:
	s_mov_b32 s0, -1
                                        ; implicit-def: $vgpr11
	s_branch .LBB39_1219
.LBB39_1215:
	s_mov_b32 s0, -1
                                        ; implicit-def: $vgpr11
.LBB39_1216:
	s_delay_alu instid0(SALU_CYCLE_1)
	s_and_not1_b32 vcc_lo, exec_lo, s0
	s_cbranch_vccnz .LBB39_1218
; %bb.1217:
	global_load_b32 v4, v[8:9], off
	s_waitcnt vmcnt(0)
	v_cvt_f32_i32_e32 v11, v4
.LBB39_1218:
	s_mov_b32 s0, 0
.LBB39_1219:
	s_delay_alu instid0(SALU_CYCLE_1)
	s_and_not1_b32 vcc_lo, exec_lo, s0
	s_cbranch_vccnz .LBB39_1221
; %bb.1220:
	global_load_i16 v4, v[8:9], off
	s_waitcnt vmcnt(0)
	v_cvt_f32_i32_e32 v11, v4
.LBB39_1221:
	s_cbranch_execnz .LBB39_1227
.LBB39_1222:
	v_cmp_lt_i16_e32 vcc_lo, 0, v10
	s_mov_b32 s0, 0
	s_cbranch_vccz .LBB39_1224
; %bb.1223:
	global_load_i8 v4, v[8:9], off
	s_waitcnt vmcnt(0)
	v_cvt_f32_i32_e32 v11, v4
	s_branch .LBB39_1225
.LBB39_1224:
	s_mov_b32 s0, -1
                                        ; implicit-def: $vgpr11
.LBB39_1225:
	s_delay_alu instid0(SALU_CYCLE_1)
	s_and_not1_b32 vcc_lo, exec_lo, s0
	s_cbranch_vccnz .LBB39_1227
; %bb.1226:
	global_load_u8 v4, v[8:9], off
	s_waitcnt vmcnt(0)
	v_cvt_f32_ubyte0_e32 v11, v4
.LBB39_1227:
	s_branch .LBB39_1298
.LBB39_1228:
	s_trap 2
	s_sendmsg_rtn_b32 s0, sendmsg(MSG_RTN_GET_DOORBELL)
	s_mov_b32 ttmp2, m0
	s_waitcnt lgkmcnt(0)
	s_and_b32 s0, s0, 0x3ff
	s_delay_alu instid0(SALU_CYCLE_1) | instskip(NEXT) | instid1(SALU_CYCLE_1)
	s_bitset1_b32 s0, 10
	s_mov_b32 m0, s0
	s_sendmsg sendmsg(MSG_INTERRUPT)
	s_mov_b32 m0, ttmp2
.LBB39_1229:                            ; =>This Inner Loop Header: Depth=1
	s_sethalt 5
	s_branch .LBB39_1229
.LBB39_1230:
	s_trap 2
	s_sendmsg_rtn_b32 s0, sendmsg(MSG_RTN_GET_DOORBELL)
	s_mov_b32 ttmp2, m0
	s_waitcnt lgkmcnt(0)
	s_and_b32 s0, s0, 0x3ff
	s_delay_alu instid0(SALU_CYCLE_1) | instskip(NEXT) | instid1(SALU_CYCLE_1)
	s_bitset1_b32 s0, 10
	s_mov_b32 m0, s0
	s_sendmsg sendmsg(MSG_INTERRUPT)
	s_mov_b32 m0, ttmp2
.LBB39_1231:                            ; =>This Inner Loop Header: Depth=1
	s_sethalt 5
	s_branch .LBB39_1231
.LBB39_1232:
	s_mov_b32 s0, -1
.LBB39_1233:
                                        ; implicit-def: $vgpr11
.LBB39_1234:
	s_and_b32 vcc_lo, exec_lo, s3
	s_cbranch_vccz .LBB39_1237
; %bb.1235:
	v_cmp_eq_u16_e32 vcc_lo, 44, v10
	s_cbranch_vccz .LBB39_1238
; %bb.1236:
	global_load_u8 v4, v[8:9], off
	s_mov_b32 s0, 0
	s_mov_b32 s2, -1
	s_waitcnt vmcnt(0)
	v_lshlrev_b32_e32 v11, 23, v4
	v_cmp_ne_u32_e32 vcc_lo, 0xff, v4
	s_delay_alu instid0(VALU_DEP_2) | instskip(SKIP_1) | instid1(VALU_DEP_2)
	v_cndmask_b32_e32 v11, 0x7f800001, v11, vcc_lo
	v_cmp_ne_u32_e32 vcc_lo, 0, v4
	v_cndmask_b32_e32 v11, 0x400000, v11, vcc_lo
.LBB39_1237:
	s_branch .LBB39_1242
.LBB39_1238:
	s_mov_b32 s0, -1
                                        ; implicit-def: $vgpr11
	s_branch .LBB39_1242
.LBB39_1239:
	v_cmp_eq_u16_e32 vcc_lo, 29, v10
	s_cbranch_vccz .LBB39_1241
; %bb.1240:
	global_load_b64 v[11:12], v[8:9], off
	s_mov_b32 s0, 0
	s_mov_b32 s2, -1
	s_mov_b32 s3, 0
	s_waitcnt vmcnt(0)
	v_clz_i32_u32_e32 v4, v12
	s_delay_alu instid0(VALU_DEP_1) | instskip(NEXT) | instid1(VALU_DEP_1)
	v_min_u32_e32 v4, 32, v4
	v_lshlrev_b64 v[11:12], v4, v[11:12]
	v_sub_nc_u32_e32 v4, 32, v4
	s_delay_alu instid0(VALU_DEP_2) | instskip(NEXT) | instid1(VALU_DEP_1)
	v_min_u32_e32 v11, 1, v11
	v_or_b32_e32 v11, v12, v11
	s_delay_alu instid0(VALU_DEP_1) | instskip(NEXT) | instid1(VALU_DEP_1)
	v_cvt_f32_u32_e32 v11, v11
	v_ldexp_f32 v11, v11, v4
	s_branch .LBB39_1243
.LBB39_1241:
	s_mov_b32 s0, -1
                                        ; implicit-def: $vgpr11
.LBB39_1242:
	s_mov_b32 s3, 0
.LBB39_1243:
	s_delay_alu instid0(SALU_CYCLE_1)
	s_and_b32 vcc_lo, exec_lo, s3
	s_cbranch_vccz .LBB39_1261
; %bb.1244:
	v_cmp_gt_i16_e32 vcc_lo, 27, v10
	s_cbranch_vccnz .LBB39_1247
; %bb.1245:
	v_cmp_lt_i16_e32 vcc_lo, 27, v10
	s_cbranch_vccz .LBB39_1248
; %bb.1246:
	global_load_b32 v4, v[8:9], off
	s_mov_b32 s2, 0
	s_waitcnt vmcnt(0)
	v_cvt_f32_u32_e32 v11, v4
	s_branch .LBB39_1249
.LBB39_1247:
	s_mov_b32 s2, -1
                                        ; implicit-def: $vgpr11
	s_branch .LBB39_1252
.LBB39_1248:
	s_mov_b32 s2, -1
                                        ; implicit-def: $vgpr11
.LBB39_1249:
	s_delay_alu instid0(SALU_CYCLE_1)
	s_and_not1_b32 vcc_lo, exec_lo, s2
	s_cbranch_vccnz .LBB39_1251
; %bb.1250:
	global_load_u16 v4, v[8:9], off
	s_waitcnt vmcnt(0)
	v_cvt_f32_u32_e32 v11, v4
.LBB39_1251:
	s_mov_b32 s2, 0
.LBB39_1252:
	s_delay_alu instid0(SALU_CYCLE_1)
	s_and_not1_b32 vcc_lo, exec_lo, s2
	s_cbranch_vccnz .LBB39_1260
; %bb.1253:
	global_load_u8 v4, v[8:9], off
	s_mov_b32 s2, 0
	s_mov_b32 s8, exec_lo
                                        ; implicit-def: $sgpr3
	s_waitcnt vmcnt(0)
	v_cmpx_lt_i16_e32 0x7f, v4
	s_xor_b32 s8, exec_lo, s8
	s_cbranch_execz .LBB39_1273
; %bb.1254:
	s_mov_b32 s2, -1
	s_mov_b32 s9, exec_lo
                                        ; implicit-def: $sgpr3
	v_cmpx_eq_u16_e32 0x80, v4
; %bb.1255:
	s_mov_b32 s3, 0x7f800001
	s_xor_b32 s2, exec_lo, -1
; %bb.1256:
	s_or_b32 exec_lo, exec_lo, s9
	s_delay_alu instid0(SALU_CYCLE_1)
	s_and_b32 s2, s2, exec_lo
	s_or_saveexec_b32 s8, s8
	v_mov_b32_e32 v11, s3
	s_xor_b32 exec_lo, exec_lo, s8
	s_cbranch_execnz .LBB39_1274
.LBB39_1257:
	s_or_b32 exec_lo, exec_lo, s8
	s_and_saveexec_b32 s3, s2
	s_cbranch_execz .LBB39_1259
.LBB39_1258:
	v_and_b32_e32 v11, 0xffff, v4
	v_lshlrev_b32_e32 v4, 24, v4
	s_delay_alu instid0(VALU_DEP_2) | instskip(NEXT) | instid1(VALU_DEP_2)
	v_and_b32_e32 v12, 7, v11
	v_and_b32_e32 v4, 0x80000000, v4
	s_delay_alu instid0(VALU_DEP_2) | instskip(NEXT) | instid1(VALU_DEP_1)
	v_clz_i32_u32_e32 v13, v12
	v_min_u32_e32 v13, 32, v13
	s_delay_alu instid0(VALU_DEP_1) | instskip(SKIP_1) | instid1(VALU_DEP_2)
	v_subrev_nc_u32_e32 v14, 28, v13
	v_sub_nc_u32_e32 v13, 29, v13
	v_lshlrev_b32_e32 v14, v14, v11
	v_bfe_u32 v11, v11, 3, 4
	s_delay_alu instid0(VALU_DEP_2) | instskip(NEXT) | instid1(VALU_DEP_2)
	v_and_b32_e32 v14, 7, v14
	v_cmp_eq_u32_e32 vcc_lo, 0, v11
	s_delay_alu instid0(VALU_DEP_2) | instskip(NEXT) | instid1(VALU_DEP_1)
	v_dual_cndmask_b32 v11, v11, v13 :: v_dual_cndmask_b32 v12, v12, v14
	v_lshl_add_u32 v11, v11, 23, 0x3b800000
	s_delay_alu instid0(VALU_DEP_2) | instskip(NEXT) | instid1(VALU_DEP_1)
	v_lshlrev_b32_e32 v12, 20, v12
	v_or3_b32 v11, v4, v11, v12
.LBB39_1259:
	s_or_b32 exec_lo, exec_lo, s3
.LBB39_1260:
	s_mov_b32 s2, -1
.LBB39_1261:
	s_branch .LBB39_1293
.LBB39_1262:
	v_cmp_lt_i16_e32 vcc_lo, 22, v10
	s_cbranch_vccz .LBB39_1272
; %bb.1263:
	v_cmp_gt_i16_e32 vcc_lo, 24, v10
	s_cbranch_vccnz .LBB39_1275
; %bb.1264:
	v_cmp_lt_i16_e32 vcc_lo, 24, v10
	s_cbranch_vccz .LBB39_1276
; %bb.1265:
	global_load_u8 v4, v[8:9], off
	s_mov_b32 s3, exec_lo
                                        ; implicit-def: $sgpr2
	s_waitcnt vmcnt(0)
	v_cmpx_lt_i16_e32 0x7f, v4
	s_xor_b32 s3, exec_lo, s3
	s_cbranch_execz .LBB39_1287
; %bb.1266:
	s_mov_b32 s1, -1
	s_mov_b32 s8, exec_lo
                                        ; implicit-def: $sgpr2
	v_cmpx_eq_u16_e32 0x80, v4
; %bb.1267:
	s_mov_b32 s2, 0x7f800001
	s_xor_b32 s1, exec_lo, -1
; %bb.1268:
	s_or_b32 exec_lo, exec_lo, s8
	s_delay_alu instid0(SALU_CYCLE_1)
	s_and_b32 s1, s1, exec_lo
	s_or_saveexec_b32 s3, s3
	v_mov_b32_e32 v11, s2
	s_xor_b32 exec_lo, exec_lo, s3
	s_cbranch_execnz .LBB39_1288
.LBB39_1269:
	s_or_b32 exec_lo, exec_lo, s3
	s_and_saveexec_b32 s2, s1
	s_cbranch_execz .LBB39_1271
.LBB39_1270:
	v_and_b32_e32 v11, 0xffff, v4
	v_lshlrev_b32_e32 v4, 24, v4
	s_delay_alu instid0(VALU_DEP_2) | instskip(NEXT) | instid1(VALU_DEP_2)
	v_and_b32_e32 v12, 3, v11
	v_and_b32_e32 v4, 0x80000000, v4
	s_delay_alu instid0(VALU_DEP_2) | instskip(NEXT) | instid1(VALU_DEP_1)
	v_clz_i32_u32_e32 v13, v12
	v_min_u32_e32 v13, 32, v13
	s_delay_alu instid0(VALU_DEP_1) | instskip(SKIP_1) | instid1(VALU_DEP_2)
	v_subrev_nc_u32_e32 v14, 29, v13
	v_sub_nc_u32_e32 v13, 30, v13
	v_lshlrev_b32_e32 v14, v14, v11
	v_bfe_u32 v11, v11, 2, 5
	s_delay_alu instid0(VALU_DEP_2) | instskip(NEXT) | instid1(VALU_DEP_2)
	v_and_b32_e32 v14, 3, v14
	v_cmp_eq_u32_e32 vcc_lo, 0, v11
	s_delay_alu instid0(VALU_DEP_2) | instskip(NEXT) | instid1(VALU_DEP_1)
	v_dual_cndmask_b32 v11, v11, v13 :: v_dual_cndmask_b32 v12, v12, v14
	v_lshl_add_u32 v11, v11, 23, 0x37800000
	s_delay_alu instid0(VALU_DEP_2) | instskip(NEXT) | instid1(VALU_DEP_1)
	v_lshlrev_b32_e32 v12, 21, v12
	v_or3_b32 v11, v4, v11, v12
.LBB39_1271:
	s_or_b32 exec_lo, exec_lo, s2
	s_mov_b32 s1, 0
	s_branch .LBB39_1277
.LBB39_1272:
                                        ; implicit-def: $vgpr11
	s_mov_b32 s1, 0
	s_branch .LBB39_1283
.LBB39_1273:
	s_or_saveexec_b32 s8, s8
	v_mov_b32_e32 v11, s3
	s_xor_b32 exec_lo, exec_lo, s8
	s_cbranch_execz .LBB39_1257
.LBB39_1274:
	v_cmp_ne_u16_e32 vcc_lo, 0, v4
	v_mov_b32_e32 v11, 0
	s_and_not1_b32 s2, s2, exec_lo
	s_and_b32 s3, vcc_lo, exec_lo
	s_delay_alu instid0(SALU_CYCLE_1)
	s_or_b32 s2, s2, s3
	s_or_b32 exec_lo, exec_lo, s8
	s_and_saveexec_b32 s3, s2
	s_cbranch_execnz .LBB39_1258
	s_branch .LBB39_1259
.LBB39_1275:
	s_mov_b32 s1, -1
                                        ; implicit-def: $vgpr11
	s_branch .LBB39_1280
.LBB39_1276:
	s_mov_b32 s1, -1
                                        ; implicit-def: $vgpr11
.LBB39_1277:
	s_delay_alu instid0(SALU_CYCLE_1)
	s_and_b32 vcc_lo, exec_lo, s1
	s_cbranch_vccz .LBB39_1279
; %bb.1278:
	global_load_u8 v4, v[8:9], off
	s_waitcnt vmcnt(0)
	v_lshlrev_b32_e32 v4, 24, v4
	s_delay_alu instid0(VALU_DEP_1) | instskip(NEXT) | instid1(VALU_DEP_1)
	v_and_b32_e32 v11, 0x7f000000, v4
	v_clz_i32_u32_e32 v12, v11
	v_cmp_ne_u32_e32 vcc_lo, 0, v11
	v_add_nc_u32_e32 v14, 0x1000000, v11
	s_delay_alu instid0(VALU_DEP_3) | instskip(NEXT) | instid1(VALU_DEP_1)
	v_min_u32_e32 v12, 32, v12
	v_sub_nc_u32_e64 v12, v12, 4 clamp
	s_delay_alu instid0(VALU_DEP_1) | instskip(SKIP_1) | instid1(VALU_DEP_2)
	v_lshlrev_b32_e32 v13, v12, v11
	v_lshlrev_b32_e32 v12, 23, v12
	v_lshrrev_b32_e32 v13, 4, v13
	s_delay_alu instid0(VALU_DEP_1) | instskip(SKIP_1) | instid1(VALU_DEP_2)
	v_sub_nc_u32_e32 v12, v13, v12
	v_ashrrev_i32_e32 v13, 8, v14
	v_add_nc_u32_e32 v12, 0x3c000000, v12
	s_delay_alu instid0(VALU_DEP_1) | instskip(NEXT) | instid1(VALU_DEP_1)
	v_and_or_b32 v12, 0x7f800000, v13, v12
	v_cndmask_b32_e32 v11, 0, v12, vcc_lo
	s_delay_alu instid0(VALU_DEP_1)
	v_and_or_b32 v11, 0x80000000, v4, v11
.LBB39_1279:
	s_mov_b32 s1, 0
.LBB39_1280:
	s_delay_alu instid0(SALU_CYCLE_1)
	s_and_not1_b32 vcc_lo, exec_lo, s1
	s_cbranch_vccnz .LBB39_1282
; %bb.1281:
	global_load_u8 v4, v[8:9], off
	s_waitcnt vmcnt(0)
	v_lshlrev_b32_e32 v11, 25, v4
	v_lshlrev_b16 v4, 8, v4
	s_delay_alu instid0(VALU_DEP_2) | instskip(NEXT) | instid1(VALU_DEP_2)
	v_lshrrev_b32_e32 v12, 4, v11
	v_and_or_b32 v13, 0x7f00, v4, 0.5
	v_cmp_gt_u32_e32 vcc_lo, 0x8000000, v11
	v_bfe_i32 v4, v4, 0, 16
	s_delay_alu instid0(VALU_DEP_4) | instskip(NEXT) | instid1(VALU_DEP_1)
	v_or_b32_e32 v12, 0x70000000, v12
	v_dual_add_f32 v13, -0.5, v13 :: v_dual_mul_f32 v12, 0x7800000, v12
	s_delay_alu instid0(VALU_DEP_1) | instskip(NEXT) | instid1(VALU_DEP_1)
	v_cndmask_b32_e32 v11, v12, v13, vcc_lo
	v_and_or_b32 v11, 0x80000000, v4, v11
.LBB39_1282:
	s_mov_b32 s2, -1
	s_mov_b32 s1, 0
	s_cbranch_execnz .LBB39_1293
.LBB39_1283:
	v_cmp_lt_i16_e32 vcc_lo, 14, v10
	s_cbranch_vccz .LBB39_1286
; %bb.1284:
	v_cmp_eq_u16_e32 vcc_lo, 15, v10
	s_cbranch_vccz .LBB39_1289
; %bb.1285:
	global_load_u16 v4, v[8:9], off
	s_mov_b32 s0, 0
	s_mov_b32 s2, -1
	s_waitcnt vmcnt(0)
	v_lshlrev_b32_e32 v11, 16, v4
	s_branch .LBB39_1291
.LBB39_1286:
	s_mov_b32 s1, -1
	s_branch .LBB39_1290
.LBB39_1287:
	s_or_saveexec_b32 s3, s3
	v_mov_b32_e32 v11, s2
	s_xor_b32 exec_lo, exec_lo, s3
	s_cbranch_execz .LBB39_1269
.LBB39_1288:
	v_cmp_ne_u16_e32 vcc_lo, 0, v4
	v_mov_b32_e32 v11, 0
	s_and_not1_b32 s1, s1, exec_lo
	s_and_b32 s2, vcc_lo, exec_lo
	s_delay_alu instid0(SALU_CYCLE_1)
	s_or_b32 s1, s1, s2
	s_or_b32 exec_lo, exec_lo, s3
	s_and_saveexec_b32 s2, s1
	s_cbranch_execnz .LBB39_1270
	s_branch .LBB39_1271
.LBB39_1289:
	s_mov_b32 s0, -1
.LBB39_1290:
                                        ; implicit-def: $vgpr11
.LBB39_1291:
	s_and_b32 vcc_lo, exec_lo, s1
	s_mov_b32 s1, 0
	s_cbranch_vccz .LBB39_1293
; %bb.1292:
	v_cmp_ne_u16_e64 s0, 11, v10
	s_mov_b32 s1, -1
                                        ; implicit-def: $vgpr11
.LBB39_1293:
	s_delay_alu instid0(VALU_DEP_1)
	s_and_b32 vcc_lo, exec_lo, s0
	s_mov_b32 s12, s10
	s_cbranch_vccnz .LBB39_1327
; %bb.1294:
	s_and_not1_b32 vcc_lo, exec_lo, s1
	s_cbranch_vccnz .LBB39_1296
.LBB39_1295:
	global_load_u8 v4, v[8:9], off
	s_mov_b32 s2, -1
	s_waitcnt vmcnt(0)
	v_cmp_ne_u16_e32 vcc_lo, 0, v4
	v_cndmask_b32_e64 v11, 0, 1.0, vcc_lo
.LBB39_1296:
.LBB39_1297:
	s_and_not1_b32 vcc_lo, exec_lo, s2
	s_cbranch_vccnz .LBB39_1737
.LBB39_1298:
	s_load_b32 s8, s[16:17], 0x15c
	s_waitcnt lgkmcnt(0)
	v_trunc_f32_e32 v4, s8
	v_cmp_class_f32_e64 s8, s8, 0x1f8
	s_delay_alu instid0(VALU_DEP_2) | instskip(SKIP_1) | instid1(VALU_DEP_2)
	v_mul_f32_e64 v8, 0x2f800000, |v4|
	v_readfirstlane_b32 s2, v4
	v_floor_f32_e32 v8, v8
	s_delay_alu instid0(VALU_DEP_2) | instskip(NEXT) | instid1(SALU_CYCLE_1)
	s_ashr_i32 s2, s2, 31
	s_mov_b32 s3, s2
	s_delay_alu instid0(VALU_DEP_1) | instskip(SKIP_2) | instid1(VALU_DEP_3)
	v_fma_f32 v9, 0xcf800000, v8, |v4|
	v_cvt_u32_f32_e32 v8, v8
	v_mov_b32_e32 v4, 0
	v_cvt_u32_f32_e32 v9, v9
	s_delay_alu instid0(VALU_DEP_3) | instskip(NEXT) | instid1(VALU_DEP_2)
	v_readfirstlane_b32 s1, v8
	v_readfirstlane_b32 s0, v9
	s_delay_alu instid0(VALU_DEP_1) | instskip(NEXT) | instid1(SALU_CYCLE_1)
	s_xor_b64 s[0:1], s[0:1], s[2:3]
	s_sub_u32 s0, s0, s2
	s_subb_u32 s1, s1, s2
	s_and_b32 s2, s8, exec_lo
	s_cselect_b32 s1, s1, -1
	s_cselect_b32 s0, s0, -1
	s_delay_alu instid0(SALU_CYCLE_1) | instskip(SKIP_1) | instid1(VALU_DEP_2)
	v_cmp_lt_i64_e64 s2, s[0:1], 0
	v_cmp_gt_i64_e64 s13, s[0:1], -1
	s_and_b32 vcc_lo, exec_lo, s2
	s_cbranch_vccnz .LBB39_1308
; %bb.1299:
	v_cmp_lt_i64_e64 s2, s[0:1], 1
	v_mov_b32_e32 v4, 1.0
	s_delay_alu instid0(VALU_DEP_2)
	s_and_b32 vcc_lo, exec_lo, s2
	s_cbranch_vccnz .LBB39_1308
; %bb.1300:
	s_cmp_lg_u64 s[0:1], 1
	s_cbranch_scc0 .LBB39_1305
; %bb.1301:
	v_cmp_lt_u64_e64 s2, 0x80, s[0:1]
	v_mov_b32_e32 v4, 0x7fc00000
	s_delay_alu instid0(VALU_DEP_2)
	s_and_b32 vcc_lo, exec_lo, s2
	s_cbranch_vccnz .LBB39_1304
; %bb.1302:
	s_waitcnt vmcnt(0)
	v_dual_add_f32 v8, v11, v11 :: v_dual_mov_b32 v9, 1.0
	s_lshl_b64 s[2:3], s[0:1], 1
	s_mov_b64 s[8:9], 2
	s_delay_alu instid0(VALU_DEP_1)
	v_mov_b32_e32 v4, v8
	.p2align	6
.LBB39_1303:                            ; =>This Inner Loop Header: Depth=1
	s_clz_i32_u32 s14, s9
	s_delay_alu instid0(SALU_CYCLE_1) | instskip(NEXT) | instid1(SALU_CYCLE_1)
	s_min_u32 s18, s14, 32
	s_lshl_b64 s[14:15], s[8:9], s18
	s_delay_alu instid0(SALU_CYCLE_1) | instskip(NEXT) | instid1(SALU_CYCLE_1)
	s_min_u32 s14, s14, 1
	s_or_b32 s14, s15, s14
	s_delay_alu instid0(SALU_CYCLE_1) | instskip(SKIP_3) | instid1(VALU_DEP_1)
	v_cvt_f32_u32_e32 v12, s14
	s_sub_i32 s14, 32, s18
	s_add_u32 s8, s8, 2
	s_addc_u32 s9, s9, 0
	v_ldexp_f32 v12, v12, s14
	v_cmp_lt_u64_e64 s14, s[8:9], s[2:3]
	s_delay_alu instid0(VALU_DEP_2) | instskip(NEXT) | instid1(VALU_DEP_2)
	v_dual_mul_f32 v12, v9, v12 :: v_dual_mov_b32 v9, v4
	s_and_b32 vcc_lo, exec_lo, s14
	s_delay_alu instid0(VALU_DEP_1)
	v_fma_f32 v4, v8, v4, -v12
	s_cbranch_vccnz .LBB39_1303
.LBB39_1304:
	s_mov_b32 s2, 0
	s_branch .LBB39_1306
.LBB39_1305:
	s_mov_b32 s2, -1
                                        ; implicit-def: $vgpr4
.LBB39_1306:
	s_delay_alu instid0(SALU_CYCLE_1)
	s_and_not1_b32 vcc_lo, exec_lo, s2
	s_cbranch_vccnz .LBB39_1308
; %bb.1307:
	s_waitcnt vmcnt(0)
	v_add_f32_e32 v4, v11, v11
.LBB39_1308:
	v_cmp_gt_i16_e32 vcc_lo, 11, v10
	s_waitcnt vmcnt(0)
	v_add_co_u32 v8, s2, s6, v6
	s_delay_alu instid0(VALU_DEP_1)
	v_add_co_ci_u32_e64 v9, null, s7, 0, s2
	s_mov_b32 s8, 0
	s_cbranch_vccnz .LBB39_1315
; %bb.1309:
	v_cmp_lt_i16_e32 vcc_lo, 25, v10
	s_mov_b32 s3, 0
	s_cbranch_vccz .LBB39_1321
; %bb.1310:
	v_cmp_lt_i16_e32 vcc_lo, 28, v10
	s_cbranch_vccz .LBB39_1323
; %bb.1311:
	v_cmp_lt_i16_e32 vcc_lo, 43, v10
	;; [unrolled: 3-line block ×3, first 2 shown]
	s_cbranch_vccz .LBB39_1331
; %bb.1313:
	v_cmp_eq_u16_e32 vcc_lo, 46, v10
	s_mov_b32 s9, 0
	s_cbranch_vccz .LBB39_1375
; %bb.1314:
	global_load_b32 v6, v[8:9], off
	s_mov_b32 s2, 0
	s_mov_b32 s8, -1
	s_waitcnt vmcnt(0)
	v_lshlrev_b32_e32 v12, 16, v6
	s_branch .LBB39_1377
.LBB39_1315:
                                        ; implicit-def: $vgpr12
	s_cbranch_execz .LBB39_1442
; %bb.1316:
	v_cmp_gt_i16_e32 vcc_lo, 5, v10
	s_cbranch_vccnz .LBB39_1322
; %bb.1317:
	v_cmp_gt_i16_e32 vcc_lo, 8, v10
	s_cbranch_vccnz .LBB39_1324
	;; [unrolled: 3-line block ×3, first 2 shown]
; %bb.1319:
	v_cmp_lt_i16_e32 vcc_lo, 9, v10
	s_cbranch_vccz .LBB39_1332
; %bb.1320:
	global_load_b64 v[11:12], v[8:9], off
	s_mov_b32 s2, 0
	s_waitcnt vmcnt(0)
	v_cvt_f32_f64_e32 v12, v[11:12]
	s_branch .LBB39_1333
.LBB39_1321:
	s_mov_b32 s2, 0
                                        ; implicit-def: $vgpr12
	s_cbranch_execnz .LBB39_1406
	s_branch .LBB39_1438
.LBB39_1322:
                                        ; implicit-def: $vgpr12
	s_branch .LBB39_1351
.LBB39_1323:
	s_mov_b32 s9, -1
	s_mov_b32 s2, 0
                                        ; implicit-def: $vgpr12
	s_branch .LBB39_1387
.LBB39_1324:
	s_mov_b32 s2, -1
                                        ; implicit-def: $vgpr12
	s_branch .LBB39_1339
.LBB39_1325:
	s_mov_b32 s9, -1
	s_mov_b32 s2, 0
                                        ; implicit-def: $vgpr12
	s_branch .LBB39_1382
.LBB39_1326:
	s_mov_b32 s2, -1
                                        ; implicit-def: $vgpr12
	s_branch .LBB39_1336
.LBB39_1327:
	s_cbranch_execnz .LBB39_1371
; %bb.1328:
	s_or_b32 s12, s10, exec_lo
                                        ; implicit-def: $vgpr11
	s_cbranch_execz .LBB39_1295
	s_branch .LBB39_1296
.LBB39_1329:
	s_or_saveexec_b32 s5, s5
                                        ; implicit-def: $sgpr6
	s_delay_alu instid0(SALU_CYCLE_1)
	s_xor_b32 exec_lo, exec_lo, s5
	s_cbranch_execz .LBB39_1027
.LBB39_1330:
	v_add_f32_e64 v0, 0x46000000, |v1|
	s_and_not1_b32 s4, s4, exec_lo
	s_mov_b32 s6, 0
	s_delay_alu instid0(VALU_DEP_1) | instskip(NEXT) | instid1(VALU_DEP_1)
	v_and_b32_e32 v0, 0xff, v0
	v_cmp_ne_u32_e32 vcc_lo, 0, v0
	s_and_b32 s7, vcc_lo, exec_lo
	s_delay_alu instid0(SALU_CYCLE_1)
	s_or_b32 s4, s4, s7
	s_or_b32 exec_lo, exec_lo, s5
	v_mov_b32_e32 v2, s6
	s_and_saveexec_b32 s5, s4
	s_cbranch_execnz .LBB39_1028
	s_branch .LBB39_1029
.LBB39_1331:
	s_mov_b32 s9, -1
	s_mov_b32 s2, 0
	s_branch .LBB39_1376
.LBB39_1332:
	s_mov_b32 s2, -1
                                        ; implicit-def: $vgpr12
.LBB39_1333:
	s_delay_alu instid0(SALU_CYCLE_1)
	s_and_not1_b32 vcc_lo, exec_lo, s2
	s_cbranch_vccnz .LBB39_1335
; %bb.1334:
	global_load_b32 v12, v[8:9], off
.LBB39_1335:
	s_mov_b32 s2, 0
.LBB39_1336:
	s_delay_alu instid0(SALU_CYCLE_1)
	s_and_not1_b32 vcc_lo, exec_lo, s2
	s_cbranch_vccnz .LBB39_1338
; %bb.1337:
	global_load_b32 v6, v[8:9], off
	s_waitcnt vmcnt(0)
	v_cvt_f32_f16_e32 v12, v6
.LBB39_1338:
	s_mov_b32 s2, 0
.LBB39_1339:
	s_delay_alu instid0(SALU_CYCLE_1)
	s_and_not1_b32 vcc_lo, exec_lo, s2
	s_cbranch_vccnz .LBB39_1350
; %bb.1340:
	v_cmp_gt_i16_e32 vcc_lo, 6, v10
	s_cbranch_vccnz .LBB39_1343
; %bb.1341:
	v_cmp_lt_i16_e32 vcc_lo, 6, v10
	s_cbranch_vccz .LBB39_1344
; %bb.1342:
	global_load_b64 v[11:12], v[8:9], off
	s_mov_b32 s2, 0
	s_waitcnt vmcnt(0)
	v_cvt_f32_f64_e32 v12, v[11:12]
	s_branch .LBB39_1345
.LBB39_1343:
	s_mov_b32 s2, -1
                                        ; implicit-def: $vgpr12
	s_branch .LBB39_1348
.LBB39_1344:
	s_mov_b32 s2, -1
                                        ; implicit-def: $vgpr12
.LBB39_1345:
	s_delay_alu instid0(SALU_CYCLE_1)
	s_and_not1_b32 vcc_lo, exec_lo, s2
	s_cbranch_vccnz .LBB39_1347
; %bb.1346:
	global_load_b32 v12, v[8:9], off
.LBB39_1347:
	s_mov_b32 s2, 0
.LBB39_1348:
	s_delay_alu instid0(SALU_CYCLE_1)
	s_and_not1_b32 vcc_lo, exec_lo, s2
	s_cbranch_vccnz .LBB39_1350
; %bb.1349:
	global_load_u16 v6, v[8:9], off
	s_waitcnt vmcnt(0)
	v_cvt_f32_f16_e32 v12, v6
.LBB39_1350:
	s_cbranch_execnz .LBB39_1370
.LBB39_1351:
	v_cmp_gt_i16_e32 vcc_lo, 2, v10
	s_cbranch_vccnz .LBB39_1355
; %bb.1352:
	v_cmp_gt_i16_e32 vcc_lo, 3, v10
	s_cbranch_vccnz .LBB39_1356
; %bb.1353:
	v_cmp_lt_i16_e32 vcc_lo, 3, v10
	s_cbranch_vccz .LBB39_1357
; %bb.1354:
	global_load_b64 v[11:12], v[8:9], off
	s_mov_b32 s2, 0
	s_waitcnt vmcnt(0)
	v_xor_b32_e32 v6, v11, v12
	v_cls_i32_e32 v13, v12
	s_delay_alu instid0(VALU_DEP_2) | instskip(NEXT) | instid1(VALU_DEP_2)
	v_ashrrev_i32_e32 v6, 31, v6
	v_add_nc_u32_e32 v13, -1, v13
	s_delay_alu instid0(VALU_DEP_2) | instskip(NEXT) | instid1(VALU_DEP_1)
	v_add_nc_u32_e32 v6, 32, v6
	v_min_u32_e32 v6, v13, v6
	s_delay_alu instid0(VALU_DEP_1) | instskip(SKIP_1) | instid1(VALU_DEP_2)
	v_lshlrev_b64 v[11:12], v6, v[11:12]
	v_sub_nc_u32_e32 v6, 32, v6
	v_min_u32_e32 v11, 1, v11
	s_delay_alu instid0(VALU_DEP_1) | instskip(NEXT) | instid1(VALU_DEP_1)
	v_or_b32_e32 v11, v12, v11
	v_cvt_f32_i32_e32 v11, v11
	s_delay_alu instid0(VALU_DEP_1)
	v_ldexp_f32 v12, v11, v6
	s_branch .LBB39_1358
.LBB39_1355:
	s_mov_b32 s2, -1
                                        ; implicit-def: $vgpr12
	s_branch .LBB39_1364
.LBB39_1356:
	s_mov_b32 s2, -1
                                        ; implicit-def: $vgpr12
	s_branch .LBB39_1361
.LBB39_1357:
	s_mov_b32 s2, -1
                                        ; implicit-def: $vgpr12
.LBB39_1358:
	s_delay_alu instid0(SALU_CYCLE_1)
	s_and_not1_b32 vcc_lo, exec_lo, s2
	s_cbranch_vccnz .LBB39_1360
; %bb.1359:
	global_load_b32 v6, v[8:9], off
	s_waitcnt vmcnt(0)
	v_cvt_f32_i32_e32 v12, v6
.LBB39_1360:
	s_mov_b32 s2, 0
.LBB39_1361:
	s_delay_alu instid0(SALU_CYCLE_1)
	s_and_not1_b32 vcc_lo, exec_lo, s2
	s_cbranch_vccnz .LBB39_1363
; %bb.1362:
	global_load_i16 v6, v[8:9], off
	s_waitcnt vmcnt(0)
	v_cvt_f32_i32_e32 v12, v6
.LBB39_1363:
	s_mov_b32 s2, 0
.LBB39_1364:
	s_delay_alu instid0(SALU_CYCLE_1)
	s_and_not1_b32 vcc_lo, exec_lo, s2
	s_cbranch_vccnz .LBB39_1370
; %bb.1365:
	v_cmp_lt_i16_e32 vcc_lo, 0, v10
	s_mov_b32 s2, 0
	s_cbranch_vccz .LBB39_1367
; %bb.1366:
	global_load_i8 v6, v[8:9], off
	s_waitcnt vmcnt(0)
	v_cvt_f32_i32_e32 v12, v6
	s_branch .LBB39_1368
.LBB39_1367:
	s_mov_b32 s2, -1
                                        ; implicit-def: $vgpr12
.LBB39_1368:
	s_delay_alu instid0(SALU_CYCLE_1)
	s_and_not1_b32 vcc_lo, exec_lo, s2
	s_cbranch_vccnz .LBB39_1370
; %bb.1369:
	global_load_u8 v6, v[8:9], off
	s_waitcnt vmcnt(0)
	v_cvt_f32_ubyte0_e32 v12, v6
.LBB39_1370:
	s_branch .LBB39_1443
.LBB39_1371:
	s_trap 2
	s_sendmsg_rtn_b32 s0, sendmsg(MSG_RTN_GET_DOORBELL)
	s_mov_b32 ttmp2, m0
	s_waitcnt lgkmcnt(0)
	s_and_b32 s0, s0, 0x3ff
	s_delay_alu instid0(SALU_CYCLE_1) | instskip(NEXT) | instid1(SALU_CYCLE_1)
	s_bitset1_b32 s0, 10
	s_mov_b32 m0, s0
	s_sendmsg sendmsg(MSG_INTERRUPT)
	s_mov_b32 m0, ttmp2
.LBB39_1372:                            ; =>This Inner Loop Header: Depth=1
	s_sethalt 5
	s_branch .LBB39_1372
.LBB39_1373:
	s_or_saveexec_b32 s6, s6
                                        ; implicit-def: $sgpr7
	s_delay_alu instid0(SALU_CYCLE_1)
	s_xor_b32 exec_lo, exec_lo, s6
	s_cbranch_execz .LBB39_1039
.LBB39_1374:
	v_add_f32_e64 v0, 0x42800000, |v1|
	s_and_not1_b32 s5, s5, exec_lo
	s_mov_b32 s7, 0
	s_delay_alu instid0(VALU_DEP_1) | instskip(NEXT) | instid1(VALU_DEP_1)
	v_and_b32_e32 v0, 0xff, v0
	v_cmp_ne_u32_e32 vcc_lo, 0, v0
	s_and_b32 s10, vcc_lo, exec_lo
	s_delay_alu instid0(SALU_CYCLE_1)
	s_or_b32 s5, s5, s10
	s_or_b32 exec_lo, exec_lo, s6
	v_mov_b32_e32 v2, s7
	s_and_saveexec_b32 s6, s5
	s_cbranch_execnz .LBB39_1040
	s_branch .LBB39_1041
.LBB39_1375:
	s_mov_b32 s2, -1
.LBB39_1376:
                                        ; implicit-def: $vgpr12
.LBB39_1377:
	s_and_b32 vcc_lo, exec_lo, s9
	s_cbranch_vccz .LBB39_1381
; %bb.1378:
	v_cmp_eq_u16_e32 vcc_lo, 44, v10
	s_cbranch_vccz .LBB39_1380
; %bb.1379:
	global_load_u8 v6, v[8:9], off
	s_mov_b32 s2, 0
	s_mov_b32 s8, -1
	s_waitcnt vmcnt(0)
	v_lshlrev_b32_e32 v11, 23, v6
	v_cmp_ne_u32_e32 vcc_lo, 0xff, v6
	s_delay_alu instid0(VALU_DEP_2) | instskip(SKIP_1) | instid1(VALU_DEP_2)
	v_cndmask_b32_e32 v11, 0x7f800001, v11, vcc_lo
	v_cmp_ne_u32_e32 vcc_lo, 0, v6
	v_cndmask_b32_e32 v12, 0x400000, v11, vcc_lo
	s_branch .LBB39_1381
.LBB39_1380:
	s_mov_b32 s2, -1
                                        ; implicit-def: $vgpr12
.LBB39_1381:
	s_mov_b32 s9, 0
.LBB39_1382:
	s_delay_alu instid0(SALU_CYCLE_1)
	s_and_b32 vcc_lo, exec_lo, s9
	s_cbranch_vccz .LBB39_1386
; %bb.1383:
	v_cmp_eq_u16_e32 vcc_lo, 29, v10
	s_cbranch_vccz .LBB39_1385
; %bb.1384:
	global_load_b64 v[11:12], v[8:9], off
	s_mov_b32 s2, 0
	s_mov_b32 s8, -1
	s_mov_b32 s9, 0
	s_waitcnt vmcnt(0)
	v_clz_i32_u32_e32 v6, v12
	s_delay_alu instid0(VALU_DEP_1) | instskip(NEXT) | instid1(VALU_DEP_1)
	v_min_u32_e32 v6, 32, v6
	v_lshlrev_b64 v[11:12], v6, v[11:12]
	v_sub_nc_u32_e32 v6, 32, v6
	s_delay_alu instid0(VALU_DEP_2) | instskip(NEXT) | instid1(VALU_DEP_1)
	v_min_u32_e32 v11, 1, v11
	v_or_b32_e32 v11, v12, v11
	s_delay_alu instid0(VALU_DEP_1) | instskip(NEXT) | instid1(VALU_DEP_1)
	v_cvt_f32_u32_e32 v11, v11
	v_ldexp_f32 v12, v11, v6
	s_branch .LBB39_1387
.LBB39_1385:
	s_mov_b32 s2, -1
                                        ; implicit-def: $vgpr12
.LBB39_1386:
	s_mov_b32 s9, 0
.LBB39_1387:
	s_delay_alu instid0(SALU_CYCLE_1)
	s_and_b32 vcc_lo, exec_lo, s9
	s_cbranch_vccz .LBB39_1405
; %bb.1388:
	v_cmp_gt_i16_e32 vcc_lo, 27, v10
	s_cbranch_vccnz .LBB39_1391
; %bb.1389:
	v_cmp_lt_i16_e32 vcc_lo, 27, v10
	s_cbranch_vccz .LBB39_1392
; %bb.1390:
	global_load_b32 v6, v[8:9], off
	s_mov_b32 s8, 0
	s_waitcnt vmcnt(0)
	v_cvt_f32_u32_e32 v12, v6
	s_branch .LBB39_1393
.LBB39_1391:
	s_mov_b32 s8, -1
                                        ; implicit-def: $vgpr12
	s_branch .LBB39_1396
.LBB39_1392:
	s_mov_b32 s8, -1
                                        ; implicit-def: $vgpr12
.LBB39_1393:
	s_delay_alu instid0(SALU_CYCLE_1)
	s_and_not1_b32 vcc_lo, exec_lo, s8
	s_cbranch_vccnz .LBB39_1395
; %bb.1394:
	global_load_u16 v6, v[8:9], off
	s_waitcnt vmcnt(0)
	v_cvt_f32_u32_e32 v12, v6
.LBB39_1395:
	s_mov_b32 s8, 0
.LBB39_1396:
	s_delay_alu instid0(SALU_CYCLE_1)
	s_and_not1_b32 vcc_lo, exec_lo, s8
	s_cbranch_vccnz .LBB39_1404
; %bb.1397:
	global_load_u8 v6, v[8:9], off
	s_mov_b32 s8, 0
	s_mov_b32 s14, exec_lo
                                        ; implicit-def: $sgpr9
	s_waitcnt vmcnt(0)
	v_cmpx_lt_i16_e32 0x7f, v6
	s_xor_b32 s14, exec_lo, s14
	s_cbranch_execz .LBB39_1417
; %bb.1398:
	s_mov_b32 s8, -1
	s_mov_b32 s15, exec_lo
                                        ; implicit-def: $sgpr9
	v_cmpx_eq_u16_e32 0x80, v6
; %bb.1399:
	s_mov_b32 s9, 0x7f800001
	s_xor_b32 s8, exec_lo, -1
; %bb.1400:
	s_or_b32 exec_lo, exec_lo, s15
	s_delay_alu instid0(SALU_CYCLE_1)
	s_and_b32 s8, s8, exec_lo
	s_or_saveexec_b32 s14, s14
	v_mov_b32_e32 v12, s9
	s_xor_b32 exec_lo, exec_lo, s14
	s_cbranch_execnz .LBB39_1418
.LBB39_1401:
	s_or_b32 exec_lo, exec_lo, s14
	s_and_saveexec_b32 s9, s8
	s_cbranch_execz .LBB39_1403
.LBB39_1402:
	v_and_b32_e32 v11, 0xffff, v6
	v_lshlrev_b32_e32 v6, 24, v6
	s_delay_alu instid0(VALU_DEP_2) | instskip(NEXT) | instid1(VALU_DEP_2)
	v_and_b32_e32 v12, 7, v11
	v_and_b32_e32 v6, 0x80000000, v6
	s_delay_alu instid0(VALU_DEP_2) | instskip(NEXT) | instid1(VALU_DEP_1)
	v_clz_i32_u32_e32 v13, v12
	v_min_u32_e32 v13, 32, v13
	s_delay_alu instid0(VALU_DEP_1) | instskip(SKIP_1) | instid1(VALU_DEP_2)
	v_subrev_nc_u32_e32 v14, 28, v13
	v_sub_nc_u32_e32 v13, 29, v13
	v_lshlrev_b32_e32 v14, v14, v11
	v_bfe_u32 v11, v11, 3, 4
	s_delay_alu instid0(VALU_DEP_2) | instskip(NEXT) | instid1(VALU_DEP_2)
	v_and_b32_e32 v14, 7, v14
	v_cmp_eq_u32_e32 vcc_lo, 0, v11
	s_delay_alu instid0(VALU_DEP_2) | instskip(NEXT) | instid1(VALU_DEP_1)
	v_dual_cndmask_b32 v11, v11, v13 :: v_dual_cndmask_b32 v12, v12, v14
	v_lshl_add_u32 v11, v11, 23, 0x3b800000
	s_delay_alu instid0(VALU_DEP_2) | instskip(NEXT) | instid1(VALU_DEP_1)
	v_lshlrev_b32_e32 v12, 20, v12
	v_or3_b32 v12, v6, v11, v12
.LBB39_1403:
	s_or_b32 exec_lo, exec_lo, s9
.LBB39_1404:
	s_mov_b32 s8, -1
.LBB39_1405:
	s_branch .LBB39_1438
.LBB39_1406:
	v_cmp_lt_i16_e32 vcc_lo, 22, v10
	s_cbranch_vccz .LBB39_1416
; %bb.1407:
	v_cmp_gt_i16_e32 vcc_lo, 24, v10
	s_cbranch_vccnz .LBB39_1419
; %bb.1408:
	v_cmp_lt_i16_e32 vcc_lo, 24, v10
	s_cbranch_vccz .LBB39_1420
; %bb.1409:
	global_load_u8 v6, v[8:9], off
	s_mov_b32 s9, exec_lo
                                        ; implicit-def: $sgpr8
	s_waitcnt vmcnt(0)
	v_cmpx_lt_i16_e32 0x7f, v6
	s_xor_b32 s9, exec_lo, s9
	s_cbranch_execz .LBB39_1432
; %bb.1410:
	s_mov_b32 s3, -1
	s_mov_b32 s14, exec_lo
                                        ; implicit-def: $sgpr8
	v_cmpx_eq_u16_e32 0x80, v6
; %bb.1411:
	s_mov_b32 s8, 0x7f800001
	s_xor_b32 s3, exec_lo, -1
; %bb.1412:
	s_or_b32 exec_lo, exec_lo, s14
	s_delay_alu instid0(SALU_CYCLE_1)
	s_and_b32 s3, s3, exec_lo
	s_or_saveexec_b32 s9, s9
	v_mov_b32_e32 v12, s8
	s_xor_b32 exec_lo, exec_lo, s9
	s_cbranch_execnz .LBB39_1433
.LBB39_1413:
	s_or_b32 exec_lo, exec_lo, s9
	s_and_saveexec_b32 s8, s3
	s_cbranch_execz .LBB39_1415
.LBB39_1414:
	v_and_b32_e32 v11, 0xffff, v6
	v_lshlrev_b32_e32 v6, 24, v6
	s_delay_alu instid0(VALU_DEP_2) | instskip(NEXT) | instid1(VALU_DEP_2)
	v_and_b32_e32 v12, 3, v11
	v_and_b32_e32 v6, 0x80000000, v6
	s_delay_alu instid0(VALU_DEP_2) | instskip(NEXT) | instid1(VALU_DEP_1)
	v_clz_i32_u32_e32 v13, v12
	v_min_u32_e32 v13, 32, v13
	s_delay_alu instid0(VALU_DEP_1) | instskip(SKIP_1) | instid1(VALU_DEP_2)
	v_subrev_nc_u32_e32 v14, 29, v13
	v_sub_nc_u32_e32 v13, 30, v13
	v_lshlrev_b32_e32 v14, v14, v11
	v_bfe_u32 v11, v11, 2, 5
	s_delay_alu instid0(VALU_DEP_2) | instskip(NEXT) | instid1(VALU_DEP_2)
	v_and_b32_e32 v14, 3, v14
	v_cmp_eq_u32_e32 vcc_lo, 0, v11
	s_delay_alu instid0(VALU_DEP_2) | instskip(NEXT) | instid1(VALU_DEP_1)
	v_dual_cndmask_b32 v11, v11, v13 :: v_dual_cndmask_b32 v12, v12, v14
	v_lshl_add_u32 v11, v11, 23, 0x37800000
	s_delay_alu instid0(VALU_DEP_2) | instskip(NEXT) | instid1(VALU_DEP_1)
	v_lshlrev_b32_e32 v12, 21, v12
	v_or3_b32 v12, v6, v11, v12
.LBB39_1415:
	s_or_b32 exec_lo, exec_lo, s8
	s_mov_b32 s3, 0
	s_branch .LBB39_1421
.LBB39_1416:
	s_mov_b32 s3, -1
                                        ; implicit-def: $vgpr12
	s_branch .LBB39_1427
.LBB39_1417:
	s_or_saveexec_b32 s14, s14
	v_mov_b32_e32 v12, s9
	s_xor_b32 exec_lo, exec_lo, s14
	s_cbranch_execz .LBB39_1401
.LBB39_1418:
	v_cmp_ne_u16_e32 vcc_lo, 0, v6
	v_mov_b32_e32 v12, 0
	s_and_not1_b32 s8, s8, exec_lo
	s_and_b32 s9, vcc_lo, exec_lo
	s_delay_alu instid0(SALU_CYCLE_1)
	s_or_b32 s8, s8, s9
	s_or_b32 exec_lo, exec_lo, s14
	s_and_saveexec_b32 s9, s8
	s_cbranch_execnz .LBB39_1402
	s_branch .LBB39_1403
.LBB39_1419:
	s_mov_b32 s3, -1
                                        ; implicit-def: $vgpr12
	s_branch .LBB39_1424
.LBB39_1420:
	s_mov_b32 s3, -1
                                        ; implicit-def: $vgpr12
.LBB39_1421:
	s_delay_alu instid0(SALU_CYCLE_1)
	s_and_b32 vcc_lo, exec_lo, s3
	s_cbranch_vccz .LBB39_1423
; %bb.1422:
	global_load_u8 v6, v[8:9], off
	s_waitcnt vmcnt(0)
	v_lshlrev_b32_e32 v6, 24, v6
	s_delay_alu instid0(VALU_DEP_1) | instskip(NEXT) | instid1(VALU_DEP_1)
	v_and_b32_e32 v11, 0x7f000000, v6
	v_clz_i32_u32_e32 v12, v11
	v_add_nc_u32_e32 v14, 0x1000000, v11
	v_cmp_ne_u32_e32 vcc_lo, 0, v11
	s_delay_alu instid0(VALU_DEP_3) | instskip(NEXT) | instid1(VALU_DEP_1)
	v_min_u32_e32 v12, 32, v12
	v_sub_nc_u32_e64 v12, v12, 4 clamp
	s_delay_alu instid0(VALU_DEP_1) | instskip(SKIP_1) | instid1(VALU_DEP_2)
	v_lshlrev_b32_e32 v13, v12, v11
	v_lshlrev_b32_e32 v12, 23, v12
	v_lshrrev_b32_e32 v13, 4, v13
	s_delay_alu instid0(VALU_DEP_1) | instskip(SKIP_1) | instid1(VALU_DEP_2)
	v_sub_nc_u32_e32 v12, v13, v12
	v_ashrrev_i32_e32 v13, 8, v14
	v_add_nc_u32_e32 v12, 0x3c000000, v12
	s_delay_alu instid0(VALU_DEP_1) | instskip(NEXT) | instid1(VALU_DEP_1)
	v_and_or_b32 v12, 0x7f800000, v13, v12
	v_cndmask_b32_e32 v11, 0, v12, vcc_lo
	s_delay_alu instid0(VALU_DEP_1)
	v_and_or_b32 v12, 0x80000000, v6, v11
.LBB39_1423:
	s_mov_b32 s3, 0
.LBB39_1424:
	s_delay_alu instid0(SALU_CYCLE_1)
	s_and_not1_b32 vcc_lo, exec_lo, s3
	s_cbranch_vccnz .LBB39_1426
; %bb.1425:
	global_load_u8 v6, v[8:9], off
	s_waitcnt vmcnt(0)
	v_lshlrev_b32_e32 v11, 25, v6
	v_lshlrev_b16 v6, 8, v6
	s_delay_alu instid0(VALU_DEP_2) | instskip(NEXT) | instid1(VALU_DEP_2)
	v_lshrrev_b32_e32 v12, 4, v11
	v_and_or_b32 v13, 0x7f00, v6, 0.5
	v_bfe_i32 v6, v6, 0, 16
	s_delay_alu instid0(VALU_DEP_3) | instskip(NEXT) | instid1(VALU_DEP_1)
	v_or_b32_e32 v12, 0x70000000, v12
	v_dual_add_f32 v13, -0.5, v13 :: v_dual_mul_f32 v12, 0x7800000, v12
	v_cmp_gt_u32_e32 vcc_lo, 0x8000000, v11
	s_delay_alu instid0(VALU_DEP_2) | instskip(NEXT) | instid1(VALU_DEP_1)
	v_cndmask_b32_e32 v11, v12, v13, vcc_lo
	v_and_or_b32 v12, 0x80000000, v6, v11
.LBB39_1426:
	s_mov_b32 s3, 0
	s_mov_b32 s8, -1
.LBB39_1427:
	s_and_not1_b32 vcc_lo, exec_lo, s3
	s_mov_b32 s3, 0
	s_cbranch_vccnz .LBB39_1438
; %bb.1428:
	v_cmp_lt_i16_e32 vcc_lo, 14, v10
	s_cbranch_vccz .LBB39_1431
; %bb.1429:
	v_cmp_eq_u16_e32 vcc_lo, 15, v10
	s_cbranch_vccz .LBB39_1434
; %bb.1430:
	global_load_u16 v6, v[8:9], off
	s_mov_b32 s2, 0
	s_mov_b32 s8, -1
	s_waitcnt vmcnt(0)
	v_lshlrev_b32_e32 v12, 16, v6
	s_branch .LBB39_1436
.LBB39_1431:
	s_mov_b32 s3, -1
	s_branch .LBB39_1435
.LBB39_1432:
	s_or_saveexec_b32 s9, s9
	v_mov_b32_e32 v12, s8
	s_xor_b32 exec_lo, exec_lo, s9
	s_cbranch_execz .LBB39_1413
.LBB39_1433:
	v_cmp_ne_u16_e32 vcc_lo, 0, v6
	v_mov_b32_e32 v12, 0
	s_and_not1_b32 s3, s3, exec_lo
	s_and_b32 s8, vcc_lo, exec_lo
	s_delay_alu instid0(SALU_CYCLE_1)
	s_or_b32 s3, s3, s8
	s_or_b32 exec_lo, exec_lo, s9
	s_and_saveexec_b32 s8, s3
	s_cbranch_execnz .LBB39_1414
	s_branch .LBB39_1415
.LBB39_1434:
	s_mov_b32 s2, -1
.LBB39_1435:
                                        ; implicit-def: $vgpr12
.LBB39_1436:
	s_and_b32 vcc_lo, exec_lo, s3
	s_mov_b32 s3, 0
	s_cbranch_vccz .LBB39_1438
; %bb.1437:
	v_cmp_ne_u16_e64 s2, 11, v10
	s_mov_b32 s3, -1
                                        ; implicit-def: $vgpr12
.LBB39_1438:
	s_delay_alu instid0(VALU_DEP_1)
	s_and_b32 vcc_lo, exec_lo, s2
	s_cbranch_vccnz .LBB39_1472
; %bb.1439:
	s_and_not1_b32 vcc_lo, exec_lo, s3
	s_cbranch_vccnz .LBB39_1441
.LBB39_1440:
	global_load_u8 v6, v[8:9], off
	s_mov_b32 s8, -1
	s_waitcnt vmcnt(0)
	v_cmp_ne_u16_e32 vcc_lo, 0, v6
	v_cndmask_b32_e64 v12, 0, 1.0, vcc_lo
.LBB39_1441:
.LBB39_1442:
	s_and_not1_b32 vcc_lo, exec_lo, s8
	s_cbranch_vccnz .LBB39_1737
.LBB39_1443:
	v_cndmask_b32_e64 v11, 0, 1, s13
	v_mov_b32_e32 v6, 0
	s_and_not1_b32 vcc_lo, exec_lo, s13
	s_cbranch_vccnz .LBB39_1453
; %bb.1444:
	v_cmp_lt_i64_e64 s2, s[0:1], 1
	v_mov_b32_e32 v6, 1.0
	s_delay_alu instid0(VALU_DEP_2)
	s_and_b32 vcc_lo, exec_lo, s2
	s_cbranch_vccnz .LBB39_1453
; %bb.1445:
	s_cmp_lg_u64 s[0:1], 1
	s_cbranch_scc0 .LBB39_1450
; %bb.1446:
	v_cmp_lt_u64_e64 s2, 0x80, s[0:1]
	v_mov_b32_e32 v6, 0x7fc00000
	s_delay_alu instid0(VALU_DEP_2)
	s_and_b32 vcc_lo, exec_lo, s2
	s_cbranch_vccnz .LBB39_1449
; %bb.1447:
	s_waitcnt vmcnt(0)
	v_dual_add_f32 v8, v12, v12 :: v_dual_mov_b32 v9, 1.0
	s_lshl_b64 s[2:3], s[0:1], 1
	s_mov_b64 s[8:9], 2
	s_delay_alu instid0(VALU_DEP_1)
	v_mov_b32_e32 v6, v8
	.p2align	6
.LBB39_1448:                            ; =>This Inner Loop Header: Depth=1
	s_clz_i32_u32 s13, s9
	s_delay_alu instid0(SALU_CYCLE_1) | instskip(NEXT) | instid1(SALU_CYCLE_1)
	s_min_u32 s13, s13, 32
	s_lshl_b64 s[14:15], s[8:9], s13
	s_sub_i32 s13, 32, s13
	s_min_u32 s14, s14, 1
	s_delay_alu instid0(SALU_CYCLE_1) | instskip(SKIP_3) | instid1(VALU_DEP_1)
	s_or_b32 s14, s15, s14
	s_add_u32 s8, s8, 2
	v_cvt_f32_u32_e32 v13, s14
	s_addc_u32 s9, s9, 0
	v_ldexp_f32 v13, v13, s13
	v_cmp_lt_u64_e64 s13, s[8:9], s[2:3]
	s_delay_alu instid0(VALU_DEP_2) | instskip(SKIP_1) | instid1(VALU_DEP_3)
	v_mul_f32_e32 v13, v9, v13
	v_mov_b32_e32 v9, v6
	s_and_b32 vcc_lo, exec_lo, s13
	s_delay_alu instid0(VALU_DEP_2)
	v_fma_f32 v6, v8, v6, -v13
	s_cbranch_vccnz .LBB39_1448
.LBB39_1449:
	s_mov_b32 s2, 0
	s_branch .LBB39_1451
.LBB39_1450:
	s_mov_b32 s2, -1
                                        ; implicit-def: $vgpr6
.LBB39_1451:
	s_delay_alu instid0(SALU_CYCLE_1)
	s_and_not1_b32 vcc_lo, exec_lo, s2
	s_cbranch_vccnz .LBB39_1453
; %bb.1452:
	s_waitcnt vmcnt(0)
	v_add_f32_e32 v6, v12, v12
.LBB39_1453:
	v_cmp_gt_i16_e32 vcc_lo, 11, v10
	v_add_co_u32 v7, s2, s6, v7
	s_delay_alu instid0(VALU_DEP_1)
	v_add_co_ci_u32_e64 v8, null, s7, 0, s2
	s_mov_b32 s8, 0
	s_cbranch_vccnz .LBB39_1460
; %bb.1454:
	v_cmp_lt_i16_e32 vcc_lo, 25, v10
	s_mov_b32 s3, 0
	s_cbranch_vccz .LBB39_1466
; %bb.1455:
	v_cmp_lt_i16_e32 vcc_lo, 28, v10
	s_cbranch_vccz .LBB39_1468
; %bb.1456:
	v_cmp_lt_i16_e32 vcc_lo, 43, v10
	;; [unrolled: 3-line block ×3, first 2 shown]
	s_cbranch_vccz .LBB39_1474
; %bb.1458:
	v_cmp_eq_u16_e32 vcc_lo, 46, v10
	s_mov_b32 s9, 0
	s_cbranch_vccz .LBB39_1517
; %bb.1459:
	global_load_b32 v9, v[7:8], off
	s_mov_b32 s2, 0
	s_mov_b32 s8, -1
	s_waitcnt vmcnt(0)
	v_lshlrev_b32_e32 v12, 16, v9
	s_branch .LBB39_1519
.LBB39_1460:
                                        ; implicit-def: $vgpr12
	s_cbranch_execz .LBB39_1585
; %bb.1461:
	v_cmp_gt_i16_e32 vcc_lo, 5, v10
	s_cbranch_vccnz .LBB39_1467
; %bb.1462:
	v_cmp_gt_i16_e32 vcc_lo, 8, v10
	s_cbranch_vccnz .LBB39_1469
	;; [unrolled: 3-line block ×3, first 2 shown]
; %bb.1464:
	v_cmp_lt_i16_e32 vcc_lo, 9, v10
	s_cbranch_vccz .LBB39_1475
; %bb.1465:
	global_load_b64 v[12:13], v[7:8], off
	s_mov_b32 s2, 0
	s_waitcnt vmcnt(0)
	v_cvt_f32_f64_e32 v12, v[12:13]
	s_branch .LBB39_1476
.LBB39_1466:
	s_mov_b32 s9, -1
	s_mov_b32 s2, 0
                                        ; implicit-def: $vgpr12
	s_branch .LBB39_1548
.LBB39_1467:
	s_mov_b32 s2, -1
                                        ; implicit-def: $vgpr12
	s_branch .LBB39_1494
.LBB39_1468:
	s_mov_b32 s9, -1
	s_mov_b32 s2, 0
                                        ; implicit-def: $vgpr12
	s_branch .LBB39_1529
.LBB39_1469:
	s_mov_b32 s2, -1
                                        ; implicit-def: $vgpr12
	s_branch .LBB39_1482
.LBB39_1470:
	s_mov_b32 s9, -1
	s_mov_b32 s2, 0
                                        ; implicit-def: $vgpr12
	s_branch .LBB39_1524
.LBB39_1471:
	s_mov_b32 s2, -1
                                        ; implicit-def: $vgpr12
	s_branch .LBB39_1479
.LBB39_1472:
	s_cbranch_execnz .LBB39_1515
; %bb.1473:
	s_or_b32 s12, s12, exec_lo
                                        ; implicit-def: $vgpr12
	s_cbranch_execz .LBB39_1440
	s_branch .LBB39_1441
.LBB39_1474:
	s_mov_b32 s9, -1
	s_mov_b32 s2, 0
	s_branch .LBB39_1518
.LBB39_1475:
	s_mov_b32 s2, -1
                                        ; implicit-def: $vgpr12
.LBB39_1476:
	s_delay_alu instid0(SALU_CYCLE_1)
	s_and_not1_b32 vcc_lo, exec_lo, s2
	s_cbranch_vccnz .LBB39_1478
; %bb.1477:
	global_load_b32 v12, v[7:8], off
.LBB39_1478:
	s_mov_b32 s2, 0
.LBB39_1479:
	s_delay_alu instid0(SALU_CYCLE_1)
	s_and_not1_b32 vcc_lo, exec_lo, s2
	s_cbranch_vccnz .LBB39_1481
; %bb.1480:
	global_load_b32 v9, v[7:8], off
	s_waitcnt vmcnt(0)
	v_cvt_f32_f16_e32 v12, v9
.LBB39_1481:
	s_mov_b32 s2, 0
.LBB39_1482:
	s_delay_alu instid0(SALU_CYCLE_1)
	s_and_not1_b32 vcc_lo, exec_lo, s2
	s_cbranch_vccnz .LBB39_1493
; %bb.1483:
	v_cmp_gt_i16_e32 vcc_lo, 6, v10
	s_cbranch_vccnz .LBB39_1486
; %bb.1484:
	v_cmp_lt_i16_e32 vcc_lo, 6, v10
	s_cbranch_vccz .LBB39_1487
; %bb.1485:
	global_load_b64 v[12:13], v[7:8], off
	s_mov_b32 s2, 0
	s_waitcnt vmcnt(0)
	v_cvt_f32_f64_e32 v12, v[12:13]
	s_branch .LBB39_1488
.LBB39_1486:
	s_mov_b32 s2, -1
                                        ; implicit-def: $vgpr12
	s_branch .LBB39_1491
.LBB39_1487:
	s_mov_b32 s2, -1
                                        ; implicit-def: $vgpr12
.LBB39_1488:
	s_delay_alu instid0(SALU_CYCLE_1)
	s_and_not1_b32 vcc_lo, exec_lo, s2
	s_cbranch_vccnz .LBB39_1490
; %bb.1489:
	global_load_b32 v12, v[7:8], off
.LBB39_1490:
	s_mov_b32 s2, 0
.LBB39_1491:
	s_delay_alu instid0(SALU_CYCLE_1)
	s_and_not1_b32 vcc_lo, exec_lo, s2
	s_cbranch_vccnz .LBB39_1493
; %bb.1492:
	global_load_u16 v9, v[7:8], off
	s_waitcnt vmcnt(0)
	v_cvt_f32_f16_e32 v12, v9
.LBB39_1493:
	s_mov_b32 s2, 0
.LBB39_1494:
	s_delay_alu instid0(SALU_CYCLE_1)
	s_and_not1_b32 vcc_lo, exec_lo, s2
	s_cbranch_vccnz .LBB39_1514
; %bb.1495:
	v_cmp_gt_i16_e32 vcc_lo, 2, v10
	s_cbranch_vccnz .LBB39_1499
; %bb.1496:
	v_cmp_gt_i16_e32 vcc_lo, 3, v10
	s_cbranch_vccnz .LBB39_1500
; %bb.1497:
	v_cmp_lt_i16_e32 vcc_lo, 3, v10
	s_cbranch_vccz .LBB39_1501
; %bb.1498:
	global_load_b64 v[12:13], v[7:8], off
	s_mov_b32 s2, 0
	s_waitcnt vmcnt(0)
	v_xor_b32_e32 v9, v12, v13
	v_cls_i32_e32 v14, v13
	s_delay_alu instid0(VALU_DEP_2) | instskip(NEXT) | instid1(VALU_DEP_2)
	v_ashrrev_i32_e32 v9, 31, v9
	v_add_nc_u32_e32 v14, -1, v14
	s_delay_alu instid0(VALU_DEP_2) | instskip(NEXT) | instid1(VALU_DEP_1)
	v_add_nc_u32_e32 v9, 32, v9
	v_min_u32_e32 v9, v14, v9
	s_delay_alu instid0(VALU_DEP_1) | instskip(SKIP_1) | instid1(VALU_DEP_2)
	v_lshlrev_b64 v[12:13], v9, v[12:13]
	v_sub_nc_u32_e32 v9, 32, v9
	v_min_u32_e32 v12, 1, v12
	s_delay_alu instid0(VALU_DEP_1) | instskip(NEXT) | instid1(VALU_DEP_1)
	v_or_b32_e32 v12, v13, v12
	v_cvt_f32_i32_e32 v12, v12
	s_delay_alu instid0(VALU_DEP_1)
	v_ldexp_f32 v12, v12, v9
	s_branch .LBB39_1502
.LBB39_1499:
	s_mov_b32 s2, -1
                                        ; implicit-def: $vgpr12
	s_branch .LBB39_1508
.LBB39_1500:
	s_mov_b32 s2, -1
                                        ; implicit-def: $vgpr12
	s_branch .LBB39_1505
.LBB39_1501:
	s_mov_b32 s2, -1
                                        ; implicit-def: $vgpr12
.LBB39_1502:
	s_delay_alu instid0(SALU_CYCLE_1)
	s_and_not1_b32 vcc_lo, exec_lo, s2
	s_cbranch_vccnz .LBB39_1504
; %bb.1503:
	global_load_b32 v9, v[7:8], off
	s_waitcnt vmcnt(0)
	v_cvt_f32_i32_e32 v12, v9
.LBB39_1504:
	s_mov_b32 s2, 0
.LBB39_1505:
	s_delay_alu instid0(SALU_CYCLE_1)
	s_and_not1_b32 vcc_lo, exec_lo, s2
	s_cbranch_vccnz .LBB39_1507
; %bb.1506:
	global_load_i16 v9, v[7:8], off
	s_waitcnt vmcnt(0)
	v_cvt_f32_i32_e32 v12, v9
.LBB39_1507:
	s_mov_b32 s2, 0
.LBB39_1508:
	s_delay_alu instid0(SALU_CYCLE_1)
	s_and_not1_b32 vcc_lo, exec_lo, s2
	s_cbranch_vccnz .LBB39_1514
; %bb.1509:
	v_cmp_lt_i16_e32 vcc_lo, 0, v10
	s_mov_b32 s2, 0
	s_cbranch_vccz .LBB39_1511
; %bb.1510:
	global_load_i8 v9, v[7:8], off
	s_waitcnt vmcnt(0)
	v_cvt_f32_i32_e32 v12, v9
	s_branch .LBB39_1512
.LBB39_1511:
	s_mov_b32 s2, -1
                                        ; implicit-def: $vgpr12
.LBB39_1512:
	s_delay_alu instid0(SALU_CYCLE_1)
	s_and_not1_b32 vcc_lo, exec_lo, s2
	s_cbranch_vccnz .LBB39_1514
; %bb.1513:
	global_load_u8 v7, v[7:8], off
	s_waitcnt vmcnt(0)
	v_cvt_f32_ubyte0_e32 v12, v7
.LBB39_1514:
	s_branch .LBB39_1586
.LBB39_1515:
	s_trap 2
	s_sendmsg_rtn_b32 s0, sendmsg(MSG_RTN_GET_DOORBELL)
	s_mov_b32 ttmp2, m0
	s_waitcnt lgkmcnt(0)
	s_and_b32 s0, s0, 0x3ff
	s_delay_alu instid0(SALU_CYCLE_1) | instskip(NEXT) | instid1(SALU_CYCLE_1)
	s_bitset1_b32 s0, 10
	s_mov_b32 m0, s0
	s_sendmsg sendmsg(MSG_INTERRUPT)
	s_mov_b32 m0, ttmp2
.LBB39_1516:                            ; =>This Inner Loop Header: Depth=1
	s_sethalt 5
	s_branch .LBB39_1516
.LBB39_1517:
	s_mov_b32 s2, -1
.LBB39_1518:
                                        ; implicit-def: $vgpr12
.LBB39_1519:
	s_and_b32 vcc_lo, exec_lo, s9
	s_cbranch_vccz .LBB39_1523
; %bb.1520:
	v_cmp_eq_u16_e32 vcc_lo, 44, v10
	s_cbranch_vccz .LBB39_1522
; %bb.1521:
	global_load_u8 v9, v[7:8], off
	s_mov_b32 s2, 0
	s_mov_b32 s8, -1
	s_waitcnt vmcnt(0)
	v_lshlrev_b32_e32 v12, 23, v9
	v_cmp_ne_u32_e32 vcc_lo, 0xff, v9
	s_delay_alu instid0(VALU_DEP_2) | instskip(SKIP_1) | instid1(VALU_DEP_2)
	v_cndmask_b32_e32 v12, 0x7f800001, v12, vcc_lo
	v_cmp_ne_u32_e32 vcc_lo, 0, v9
	v_cndmask_b32_e32 v12, 0x400000, v12, vcc_lo
	s_branch .LBB39_1523
.LBB39_1522:
	s_mov_b32 s2, -1
                                        ; implicit-def: $vgpr12
.LBB39_1523:
	s_mov_b32 s9, 0
.LBB39_1524:
	s_delay_alu instid0(SALU_CYCLE_1)
	s_and_b32 vcc_lo, exec_lo, s9
	s_cbranch_vccz .LBB39_1528
; %bb.1525:
	v_cmp_eq_u16_e32 vcc_lo, 29, v10
	s_cbranch_vccz .LBB39_1527
; %bb.1526:
	global_load_b64 v[12:13], v[7:8], off
	s_mov_b32 s2, 0
	s_mov_b32 s8, -1
	s_mov_b32 s9, 0
	s_waitcnt vmcnt(0)
	v_clz_i32_u32_e32 v9, v13
	s_delay_alu instid0(VALU_DEP_1) | instskip(NEXT) | instid1(VALU_DEP_1)
	v_min_u32_e32 v9, 32, v9
	v_lshlrev_b64 v[12:13], v9, v[12:13]
	v_sub_nc_u32_e32 v9, 32, v9
	s_delay_alu instid0(VALU_DEP_2) | instskip(NEXT) | instid1(VALU_DEP_1)
	v_min_u32_e32 v12, 1, v12
	v_or_b32_e32 v12, v13, v12
	s_delay_alu instid0(VALU_DEP_1) | instskip(NEXT) | instid1(VALU_DEP_1)
	v_cvt_f32_u32_e32 v12, v12
	v_ldexp_f32 v12, v12, v9
	s_branch .LBB39_1529
.LBB39_1527:
	s_mov_b32 s2, -1
                                        ; implicit-def: $vgpr12
.LBB39_1528:
	s_mov_b32 s9, 0
.LBB39_1529:
	s_delay_alu instid0(SALU_CYCLE_1)
	s_and_b32 vcc_lo, exec_lo, s9
	s_cbranch_vccz .LBB39_1547
; %bb.1530:
	v_cmp_gt_i16_e32 vcc_lo, 27, v10
	s_cbranch_vccnz .LBB39_1533
; %bb.1531:
	v_cmp_lt_i16_e32 vcc_lo, 27, v10
	s_cbranch_vccz .LBB39_1534
; %bb.1532:
	global_load_b32 v9, v[7:8], off
	s_mov_b32 s8, 0
	s_waitcnt vmcnt(0)
	v_cvt_f32_u32_e32 v12, v9
	s_branch .LBB39_1535
.LBB39_1533:
	s_mov_b32 s8, -1
                                        ; implicit-def: $vgpr12
	s_branch .LBB39_1538
.LBB39_1534:
	s_mov_b32 s8, -1
                                        ; implicit-def: $vgpr12
.LBB39_1535:
	s_delay_alu instid0(SALU_CYCLE_1)
	s_and_not1_b32 vcc_lo, exec_lo, s8
	s_cbranch_vccnz .LBB39_1537
; %bb.1536:
	global_load_u16 v9, v[7:8], off
	s_waitcnt vmcnt(0)
	v_cvt_f32_u32_e32 v12, v9
.LBB39_1537:
	s_mov_b32 s8, 0
.LBB39_1538:
	s_delay_alu instid0(SALU_CYCLE_1)
	s_and_not1_b32 vcc_lo, exec_lo, s8
	s_cbranch_vccnz .LBB39_1546
; %bb.1539:
	global_load_u8 v9, v[7:8], off
	s_mov_b32 s8, 0
	s_mov_b32 s13, exec_lo
                                        ; implicit-def: $sgpr9
	s_waitcnt vmcnt(0)
	v_cmpx_lt_i16_e32 0x7f, v9
	s_xor_b32 s13, exec_lo, s13
	s_cbranch_execz .LBB39_1560
; %bb.1540:
	s_mov_b32 s8, -1
	s_mov_b32 s14, exec_lo
                                        ; implicit-def: $sgpr9
	v_cmpx_eq_u16_e32 0x80, v9
; %bb.1541:
	s_mov_b32 s9, 0x7f800001
	s_xor_b32 s8, exec_lo, -1
; %bb.1542:
	s_or_b32 exec_lo, exec_lo, s14
	s_delay_alu instid0(SALU_CYCLE_1)
	s_and_b32 s8, s8, exec_lo
	s_or_saveexec_b32 s13, s13
	v_mov_b32_e32 v12, s9
	s_xor_b32 exec_lo, exec_lo, s13
	s_cbranch_execnz .LBB39_1561
.LBB39_1543:
	s_or_b32 exec_lo, exec_lo, s13
	s_and_saveexec_b32 s9, s8
	s_cbranch_execz .LBB39_1545
.LBB39_1544:
	v_and_b32_e32 v12, 0xffff, v9
	v_lshlrev_b32_e32 v9, 24, v9
	s_delay_alu instid0(VALU_DEP_2) | instskip(NEXT) | instid1(VALU_DEP_2)
	v_and_b32_e32 v13, 7, v12
	v_and_b32_e32 v9, 0x80000000, v9
	s_delay_alu instid0(VALU_DEP_2) | instskip(NEXT) | instid1(VALU_DEP_1)
	v_clz_i32_u32_e32 v14, v13
	v_min_u32_e32 v14, 32, v14
	s_delay_alu instid0(VALU_DEP_1) | instskip(SKIP_1) | instid1(VALU_DEP_2)
	v_subrev_nc_u32_e32 v15, 28, v14
	v_sub_nc_u32_e32 v14, 29, v14
	v_lshlrev_b32_e32 v15, v15, v12
	v_bfe_u32 v12, v12, 3, 4
	s_delay_alu instid0(VALU_DEP_2) | instskip(NEXT) | instid1(VALU_DEP_2)
	v_and_b32_e32 v15, 7, v15
	v_cmp_eq_u32_e32 vcc_lo, 0, v12
	s_delay_alu instid0(VALU_DEP_2) | instskip(NEXT) | instid1(VALU_DEP_1)
	v_dual_cndmask_b32 v12, v12, v14 :: v_dual_cndmask_b32 v13, v13, v15
	v_lshl_add_u32 v12, v12, 23, 0x3b800000
	s_delay_alu instid0(VALU_DEP_2) | instskip(NEXT) | instid1(VALU_DEP_1)
	v_lshlrev_b32_e32 v13, 20, v13
	v_or3_b32 v12, v9, v12, v13
.LBB39_1545:
	s_or_b32 exec_lo, exec_lo, s9
.LBB39_1546:
	s_mov_b32 s8, -1
.LBB39_1547:
	s_mov_b32 s9, 0
.LBB39_1548:
	s_delay_alu instid0(SALU_CYCLE_1)
	s_and_b32 vcc_lo, exec_lo, s9
	s_cbranch_vccz .LBB39_1581
; %bb.1549:
	v_cmp_lt_i16_e32 vcc_lo, 22, v10
	s_cbranch_vccz .LBB39_1559
; %bb.1550:
	v_cmp_gt_i16_e32 vcc_lo, 24, v10
	s_cbranch_vccnz .LBB39_1562
; %bb.1551:
	v_cmp_lt_i16_e32 vcc_lo, 24, v10
	s_cbranch_vccz .LBB39_1563
; %bb.1552:
	global_load_u8 v9, v[7:8], off
	s_mov_b32 s9, exec_lo
                                        ; implicit-def: $sgpr8
	s_waitcnt vmcnt(0)
	v_cmpx_lt_i16_e32 0x7f, v9
	s_xor_b32 s9, exec_lo, s9
	s_cbranch_execz .LBB39_1575
; %bb.1553:
	s_mov_b32 s3, -1
	s_mov_b32 s13, exec_lo
                                        ; implicit-def: $sgpr8
	v_cmpx_eq_u16_e32 0x80, v9
; %bb.1554:
	s_mov_b32 s8, 0x7f800001
	s_xor_b32 s3, exec_lo, -1
; %bb.1555:
	s_or_b32 exec_lo, exec_lo, s13
	s_delay_alu instid0(SALU_CYCLE_1)
	s_and_b32 s3, s3, exec_lo
	s_or_saveexec_b32 s9, s9
	v_mov_b32_e32 v12, s8
	s_xor_b32 exec_lo, exec_lo, s9
	s_cbranch_execnz .LBB39_1576
.LBB39_1556:
	s_or_b32 exec_lo, exec_lo, s9
	s_and_saveexec_b32 s8, s3
	s_cbranch_execz .LBB39_1558
.LBB39_1557:
	v_and_b32_e32 v12, 0xffff, v9
	v_lshlrev_b32_e32 v9, 24, v9
	s_delay_alu instid0(VALU_DEP_2) | instskip(NEXT) | instid1(VALU_DEP_2)
	v_and_b32_e32 v13, 3, v12
	v_and_b32_e32 v9, 0x80000000, v9
	s_delay_alu instid0(VALU_DEP_2) | instskip(NEXT) | instid1(VALU_DEP_1)
	v_clz_i32_u32_e32 v14, v13
	v_min_u32_e32 v14, 32, v14
	s_delay_alu instid0(VALU_DEP_1) | instskip(SKIP_1) | instid1(VALU_DEP_2)
	v_subrev_nc_u32_e32 v15, 29, v14
	v_sub_nc_u32_e32 v14, 30, v14
	v_lshlrev_b32_e32 v15, v15, v12
	v_bfe_u32 v12, v12, 2, 5
	s_delay_alu instid0(VALU_DEP_2) | instskip(NEXT) | instid1(VALU_DEP_2)
	v_and_b32_e32 v15, 3, v15
	v_cmp_eq_u32_e32 vcc_lo, 0, v12
	s_delay_alu instid0(VALU_DEP_2) | instskip(NEXT) | instid1(VALU_DEP_1)
	v_dual_cndmask_b32 v12, v12, v14 :: v_dual_cndmask_b32 v13, v13, v15
	v_lshl_add_u32 v12, v12, 23, 0x37800000
	s_delay_alu instid0(VALU_DEP_2) | instskip(NEXT) | instid1(VALU_DEP_1)
	v_lshlrev_b32_e32 v13, 21, v13
	v_or3_b32 v12, v9, v12, v13
.LBB39_1558:
	s_or_b32 exec_lo, exec_lo, s8
	s_mov_b32 s3, 0
	s_branch .LBB39_1564
.LBB39_1559:
	s_mov_b32 s3, -1
                                        ; implicit-def: $vgpr12
	s_branch .LBB39_1570
.LBB39_1560:
	s_or_saveexec_b32 s13, s13
	v_mov_b32_e32 v12, s9
	s_xor_b32 exec_lo, exec_lo, s13
	s_cbranch_execz .LBB39_1543
.LBB39_1561:
	v_cmp_ne_u16_e32 vcc_lo, 0, v9
	v_mov_b32_e32 v12, 0
	s_and_not1_b32 s8, s8, exec_lo
	s_and_b32 s9, vcc_lo, exec_lo
	s_delay_alu instid0(SALU_CYCLE_1)
	s_or_b32 s8, s8, s9
	s_or_b32 exec_lo, exec_lo, s13
	s_and_saveexec_b32 s9, s8
	s_cbranch_execnz .LBB39_1544
	s_branch .LBB39_1545
.LBB39_1562:
	s_mov_b32 s3, -1
                                        ; implicit-def: $vgpr12
	s_branch .LBB39_1567
.LBB39_1563:
	s_mov_b32 s3, -1
                                        ; implicit-def: $vgpr12
.LBB39_1564:
	s_delay_alu instid0(SALU_CYCLE_1)
	s_and_b32 vcc_lo, exec_lo, s3
	s_cbranch_vccz .LBB39_1566
; %bb.1565:
	global_load_u8 v9, v[7:8], off
	s_waitcnt vmcnt(0)
	v_lshlrev_b32_e32 v9, 24, v9
	s_delay_alu instid0(VALU_DEP_1) | instskip(NEXT) | instid1(VALU_DEP_1)
	v_and_b32_e32 v12, 0x7f000000, v9
	v_clz_i32_u32_e32 v13, v12
	v_cmp_ne_u32_e32 vcc_lo, 0, v12
	v_add_nc_u32_e32 v15, 0x1000000, v12
	s_delay_alu instid0(VALU_DEP_3) | instskip(NEXT) | instid1(VALU_DEP_1)
	v_min_u32_e32 v13, 32, v13
	v_sub_nc_u32_e64 v13, v13, 4 clamp
	s_delay_alu instid0(VALU_DEP_1) | instskip(SKIP_1) | instid1(VALU_DEP_2)
	v_lshlrev_b32_e32 v14, v13, v12
	v_lshlrev_b32_e32 v13, 23, v13
	v_lshrrev_b32_e32 v14, 4, v14
	s_delay_alu instid0(VALU_DEP_1) | instskip(SKIP_1) | instid1(VALU_DEP_2)
	v_sub_nc_u32_e32 v13, v14, v13
	v_ashrrev_i32_e32 v14, 8, v15
	v_add_nc_u32_e32 v13, 0x3c000000, v13
	s_delay_alu instid0(VALU_DEP_1) | instskip(NEXT) | instid1(VALU_DEP_1)
	v_and_or_b32 v13, 0x7f800000, v14, v13
	v_cndmask_b32_e32 v12, 0, v13, vcc_lo
	s_delay_alu instid0(VALU_DEP_1)
	v_and_or_b32 v12, 0x80000000, v9, v12
.LBB39_1566:
	s_mov_b32 s3, 0
.LBB39_1567:
	s_delay_alu instid0(SALU_CYCLE_1)
	s_and_not1_b32 vcc_lo, exec_lo, s3
	s_cbranch_vccnz .LBB39_1569
; %bb.1568:
	global_load_u8 v9, v[7:8], off
	s_waitcnt vmcnt(0)
	v_lshlrev_b32_e32 v12, 25, v9
	v_lshlrev_b16 v9, 8, v9
	s_delay_alu instid0(VALU_DEP_2) | instskip(NEXT) | instid1(VALU_DEP_2)
	v_lshrrev_b32_e32 v13, 4, v12
	v_and_or_b32 v14, 0x7f00, v9, 0.5
	v_cmp_gt_u32_e32 vcc_lo, 0x8000000, v12
	v_bfe_i32 v9, v9, 0, 16
	s_delay_alu instid0(VALU_DEP_4) | instskip(NEXT) | instid1(VALU_DEP_1)
	v_or_b32_e32 v13, 0x70000000, v13
	v_dual_add_f32 v14, -0.5, v14 :: v_dual_mul_f32 v13, 0x7800000, v13
	s_delay_alu instid0(VALU_DEP_1) | instskip(NEXT) | instid1(VALU_DEP_1)
	v_cndmask_b32_e32 v12, v13, v14, vcc_lo
	v_and_or_b32 v12, 0x80000000, v9, v12
.LBB39_1569:
	s_mov_b32 s3, 0
	s_mov_b32 s8, -1
.LBB39_1570:
	s_and_not1_b32 vcc_lo, exec_lo, s3
	s_mov_b32 s3, 0
	s_cbranch_vccnz .LBB39_1581
; %bb.1571:
	v_cmp_lt_i16_e32 vcc_lo, 14, v10
	s_cbranch_vccz .LBB39_1574
; %bb.1572:
	v_cmp_eq_u16_e32 vcc_lo, 15, v10
	s_cbranch_vccz .LBB39_1577
; %bb.1573:
	global_load_u16 v9, v[7:8], off
	s_mov_b32 s2, 0
	s_mov_b32 s8, -1
	s_waitcnt vmcnt(0)
	v_lshlrev_b32_e32 v12, 16, v9
	s_branch .LBB39_1579
.LBB39_1574:
	s_mov_b32 s3, -1
	s_branch .LBB39_1578
.LBB39_1575:
	s_or_saveexec_b32 s9, s9
	v_mov_b32_e32 v12, s8
	s_xor_b32 exec_lo, exec_lo, s9
	s_cbranch_execz .LBB39_1556
.LBB39_1576:
	v_cmp_ne_u16_e32 vcc_lo, 0, v9
	v_mov_b32_e32 v12, 0
	s_and_not1_b32 s3, s3, exec_lo
	s_and_b32 s8, vcc_lo, exec_lo
	s_delay_alu instid0(SALU_CYCLE_1)
	s_or_b32 s3, s3, s8
	s_or_b32 exec_lo, exec_lo, s9
	s_and_saveexec_b32 s8, s3
	s_cbranch_execnz .LBB39_1557
	s_branch .LBB39_1558
.LBB39_1577:
	s_mov_b32 s2, -1
.LBB39_1578:
                                        ; implicit-def: $vgpr12
.LBB39_1579:
	s_and_b32 vcc_lo, exec_lo, s3
	s_mov_b32 s3, 0
	s_cbranch_vccz .LBB39_1581
; %bb.1580:
	v_cmp_ne_u16_e64 s2, 11, v10
	s_mov_b32 s3, -1
                                        ; implicit-def: $vgpr12
.LBB39_1581:
	s_delay_alu instid0(VALU_DEP_1)
	s_and_b32 vcc_lo, exec_lo, s2
	s_cbranch_vccnz .LBB39_1607
; %bb.1582:
	s_and_not1_b32 vcc_lo, exec_lo, s3
	s_cbranch_vccnz .LBB39_1584
.LBB39_1583:
	global_load_u8 v9, v[7:8], off
	s_mov_b32 s8, -1
	s_waitcnt vmcnt(0)
	v_cmp_ne_u16_e32 vcc_lo, 0, v9
	v_cndmask_b32_e64 v12, 0, 1.0, vcc_lo
.LBB39_1584:
.LBB39_1585:
	s_and_not1_b32 vcc_lo, exec_lo, s8
	s_cbranch_vccnz .LBB39_1737
.LBB39_1586:
	v_cmp_ne_u32_e32 vcc_lo, 1, v11
	v_mov_b32_e32 v9, 0
	s_cbranch_vccnz .LBB39_1596
; %bb.1587:
	v_cmp_lt_i64_e64 s2, s[0:1], 1
	v_mov_b32_e32 v9, 1.0
	s_delay_alu instid0(VALU_DEP_2)
	s_and_b32 vcc_lo, exec_lo, s2
	s_cbranch_vccnz .LBB39_1596
; %bb.1588:
	s_cmp_lg_u64 s[0:1], 1
	s_cbranch_scc0 .LBB39_1593
; %bb.1589:
	v_cmp_lt_u64_e64 s2, 0x80, s[0:1]
	v_mov_b32_e32 v9, 0x7fc00000
	s_delay_alu instid0(VALU_DEP_2)
	s_and_b32 vcc_lo, exec_lo, s2
	s_cbranch_vccnz .LBB39_1592
; %bb.1590:
	s_waitcnt vmcnt(0)
	v_dual_add_f32 v7, v12, v12 :: v_dual_mov_b32 v8, 1.0
	s_lshl_b64 s[2:3], s[0:1], 1
	s_mov_b64 s[8:9], 2
	s_delay_alu instid0(VALU_DEP_1)
	v_mov_b32_e32 v9, v7
.LBB39_1591:                            ; =>This Inner Loop Header: Depth=1
	s_clz_i32_u32 s13, s9
	s_delay_alu instid0(SALU_CYCLE_1) | instskip(NEXT) | instid1(SALU_CYCLE_1)
	s_min_u32 s13, s13, 32
	s_lshl_b64 s[14:15], s[8:9], s13
	s_sub_i32 s13, 32, s13
	s_min_u32 s14, s14, 1
	s_delay_alu instid0(SALU_CYCLE_1) | instskip(SKIP_3) | instid1(VALU_DEP_1)
	s_or_b32 s14, s15, s14
	s_add_u32 s8, s8, 2
	v_cvt_f32_u32_e32 v13, s14
	s_addc_u32 s9, s9, 0
	v_ldexp_f32 v13, v13, s13
	v_cmp_lt_u64_e64 s13, s[8:9], s[2:3]
	s_delay_alu instid0(VALU_DEP_2) | instskip(NEXT) | instid1(VALU_DEP_2)
	v_dual_mul_f32 v13, v8, v13 :: v_dual_mov_b32 v8, v9
	s_and_b32 vcc_lo, exec_lo, s13
	s_delay_alu instid0(VALU_DEP_1)
	v_fma_f32 v9, v7, v9, -v13
	s_cbranch_vccnz .LBB39_1591
.LBB39_1592:
	s_mov_b32 s2, 0
	s_branch .LBB39_1594
.LBB39_1593:
	s_mov_b32 s2, -1
                                        ; implicit-def: $vgpr9
.LBB39_1594:
	s_delay_alu instid0(SALU_CYCLE_1)
	s_and_not1_b32 vcc_lo, exec_lo, s2
	s_cbranch_vccnz .LBB39_1596
; %bb.1595:
	s_waitcnt vmcnt(0)
	v_add_f32_e32 v9, v12, v12
.LBB39_1596:
	v_cmp_gt_i16_e32 vcc_lo, 11, v10
	v_add_co_u32 v7, s2, s6, v5
	s_delay_alu instid0(VALU_DEP_1)
	v_add_co_ci_u32_e64 v8, null, s7, 0, s2
	s_mov_b32 s6, 0
	s_cbranch_vccnz .LBB39_1603
; %bb.1597:
	v_cmp_lt_i16_e32 vcc_lo, 25, v10
	s_mov_b32 s3, 0
	s_cbranch_vccz .LBB39_1604
; %bb.1598:
	v_cmp_lt_i16_e32 vcc_lo, 28, v10
	s_cbranch_vccz .LBB39_1605
; %bb.1599:
	v_cmp_lt_i16_e32 vcc_lo, 43, v10
	;; [unrolled: 3-line block ×3, first 2 shown]
	s_cbranch_vccz .LBB39_1609
; %bb.1601:
	v_cmp_eq_u16_e32 vcc_lo, 46, v10
	s_mov_b32 s7, 0
	s_cbranch_vccz .LBB39_1612
; %bb.1602:
	global_load_b32 v5, v[7:8], off
	s_mov_b32 s2, 0
	s_mov_b32 s6, -1
	s_waitcnt vmcnt(0)
	v_lshlrev_b32_e32 v5, 16, v5
	s_branch .LBB39_1614
.LBB39_1603:
	s_mov_b32 s2, -1
                                        ; implicit-def: $vgpr5
	s_branch .LBB39_1680
.LBB39_1604:
	s_mov_b32 s7, -1
	s_mov_b32 s2, 0
                                        ; implicit-def: $vgpr5
	s_branch .LBB39_1643
.LBB39_1605:
	s_mov_b32 s7, -1
	s_mov_b32 s2, 0
                                        ; implicit-def: $vgpr5
	s_branch .LBB39_1624
.LBB39_1606:
	s_mov_b32 s7, -1
	s_mov_b32 s2, 0
                                        ; implicit-def: $vgpr5
	s_branch .LBB39_1619
.LBB39_1607:
	s_cbranch_execnz .LBB39_1610
; %bb.1608:
	s_or_b32 s12, s12, exec_lo
                                        ; implicit-def: $vgpr12
	s_cbranch_execz .LBB39_1583
	s_branch .LBB39_1584
.LBB39_1609:
	s_mov_b32 s7, -1
	s_mov_b32 s2, 0
	s_branch .LBB39_1613
.LBB39_1610:
	s_trap 2
	s_sendmsg_rtn_b32 s0, sendmsg(MSG_RTN_GET_DOORBELL)
	s_mov_b32 ttmp2, m0
	s_waitcnt lgkmcnt(0)
	s_and_b32 s0, s0, 0x3ff
	s_delay_alu instid0(SALU_CYCLE_1) | instskip(NEXT) | instid1(SALU_CYCLE_1)
	s_bitset1_b32 s0, 10
	s_mov_b32 m0, s0
	s_sendmsg sendmsg(MSG_INTERRUPT)
	s_mov_b32 m0, ttmp2
.LBB39_1611:                            ; =>This Inner Loop Header: Depth=1
	s_sethalt 5
	s_branch .LBB39_1611
.LBB39_1612:
	s_mov_b32 s2, -1
.LBB39_1613:
                                        ; implicit-def: $vgpr5
.LBB39_1614:
	s_and_b32 vcc_lo, exec_lo, s7
	s_cbranch_vccz .LBB39_1618
; %bb.1615:
	v_cmp_eq_u16_e32 vcc_lo, 44, v10
	s_cbranch_vccz .LBB39_1617
; %bb.1616:
	global_load_u8 v5, v[7:8], off
	s_mov_b32 s2, 0
	s_mov_b32 s6, -1
	s_waitcnt vmcnt(0)
	v_lshlrev_b32_e32 v12, 23, v5
	v_cmp_ne_u32_e32 vcc_lo, 0xff, v5
	s_delay_alu instid0(VALU_DEP_2) | instskip(SKIP_1) | instid1(VALU_DEP_2)
	v_cndmask_b32_e32 v12, 0x7f800001, v12, vcc_lo
	v_cmp_ne_u32_e32 vcc_lo, 0, v5
	v_cndmask_b32_e32 v5, 0x400000, v12, vcc_lo
	s_branch .LBB39_1618
.LBB39_1617:
	s_mov_b32 s2, -1
                                        ; implicit-def: $vgpr5
.LBB39_1618:
	s_mov_b32 s7, 0
.LBB39_1619:
	s_delay_alu instid0(SALU_CYCLE_1)
	s_and_b32 vcc_lo, exec_lo, s7
	s_cbranch_vccz .LBB39_1623
; %bb.1620:
	v_cmp_eq_u16_e32 vcc_lo, 29, v10
	s_cbranch_vccz .LBB39_1622
; %bb.1621:
	global_load_b64 v[12:13], v[7:8], off
	s_mov_b32 s2, 0
	s_mov_b32 s6, -1
	s_mov_b32 s7, 0
	s_waitcnt vmcnt(0)
	v_clz_i32_u32_e32 v5, v13
	s_delay_alu instid0(VALU_DEP_1) | instskip(NEXT) | instid1(VALU_DEP_1)
	v_min_u32_e32 v5, 32, v5
	v_lshlrev_b64 v[12:13], v5, v[12:13]
	v_sub_nc_u32_e32 v5, 32, v5
	s_delay_alu instid0(VALU_DEP_2) | instskip(NEXT) | instid1(VALU_DEP_1)
	v_min_u32_e32 v12, 1, v12
	v_or_b32_e32 v12, v13, v12
	s_delay_alu instid0(VALU_DEP_1) | instskip(NEXT) | instid1(VALU_DEP_1)
	v_cvt_f32_u32_e32 v12, v12
	v_ldexp_f32 v5, v12, v5
	s_branch .LBB39_1624
.LBB39_1622:
	s_mov_b32 s2, -1
                                        ; implicit-def: $vgpr5
.LBB39_1623:
	s_mov_b32 s7, 0
.LBB39_1624:
	s_delay_alu instid0(SALU_CYCLE_1)
	s_and_b32 vcc_lo, exec_lo, s7
	s_cbranch_vccz .LBB39_1642
; %bb.1625:
	v_cmp_gt_i16_e32 vcc_lo, 27, v10
	s_cbranch_vccnz .LBB39_1628
; %bb.1626:
	v_cmp_lt_i16_e32 vcc_lo, 27, v10
	s_cbranch_vccz .LBB39_1629
; %bb.1627:
	global_load_b32 v5, v[7:8], off
	s_mov_b32 s6, 0
	s_waitcnt vmcnt(0)
	v_cvt_f32_u32_e32 v5, v5
	s_branch .LBB39_1630
.LBB39_1628:
	s_mov_b32 s6, -1
                                        ; implicit-def: $vgpr5
	s_branch .LBB39_1633
.LBB39_1629:
	s_mov_b32 s6, -1
                                        ; implicit-def: $vgpr5
.LBB39_1630:
	s_delay_alu instid0(SALU_CYCLE_1)
	s_and_not1_b32 vcc_lo, exec_lo, s6
	s_cbranch_vccnz .LBB39_1632
; %bb.1631:
	global_load_u16 v5, v[7:8], off
	s_waitcnt vmcnt(0)
	v_cvt_f32_u32_e32 v5, v5
.LBB39_1632:
	s_mov_b32 s6, 0
.LBB39_1633:
	s_delay_alu instid0(SALU_CYCLE_1)
	s_and_not1_b32 vcc_lo, exec_lo, s6
	s_cbranch_vccnz .LBB39_1641
; %bb.1634:
	global_load_u8 v12, v[7:8], off
	s_mov_b32 s6, 0
	s_mov_b32 s8, exec_lo
                                        ; implicit-def: $sgpr7
	s_waitcnt vmcnt(0)
	v_cmpx_lt_i16_e32 0x7f, v12
	s_xor_b32 s8, exec_lo, s8
	s_cbranch_execz .LBB39_1655
; %bb.1635:
	s_mov_b32 s6, -1
	s_mov_b32 s9, exec_lo
                                        ; implicit-def: $sgpr7
	v_cmpx_eq_u16_e32 0x80, v12
; %bb.1636:
	s_mov_b32 s7, 0x7f800001
	s_xor_b32 s6, exec_lo, -1
; %bb.1637:
	s_or_b32 exec_lo, exec_lo, s9
	s_delay_alu instid0(SALU_CYCLE_1)
	s_and_b32 s6, s6, exec_lo
	s_or_saveexec_b32 s8, s8
	v_mov_b32_e32 v5, s7
	s_xor_b32 exec_lo, exec_lo, s8
	s_cbranch_execnz .LBB39_1656
.LBB39_1638:
	s_or_b32 exec_lo, exec_lo, s8
	s_and_saveexec_b32 s7, s6
	s_cbranch_execz .LBB39_1640
.LBB39_1639:
	v_and_b32_e32 v5, 0xffff, v12
	s_delay_alu instid0(VALU_DEP_1) | instskip(NEXT) | instid1(VALU_DEP_1)
	v_and_b32_e32 v13, 7, v5
	v_clz_i32_u32_e32 v14, v13
	s_delay_alu instid0(VALU_DEP_1) | instskip(NEXT) | instid1(VALU_DEP_1)
	v_min_u32_e32 v14, 32, v14
	v_subrev_nc_u32_e32 v15, 28, v14
	v_sub_nc_u32_e32 v14, 29, v14
	s_delay_alu instid0(VALU_DEP_2) | instskip(SKIP_1) | instid1(VALU_DEP_2)
	v_lshlrev_b32_e32 v15, v15, v5
	v_bfe_u32 v5, v5, 3, 4
	v_and_b32_e32 v15, 7, v15
	s_delay_alu instid0(VALU_DEP_2) | instskip(SKIP_1) | instid1(VALU_DEP_1)
	v_cmp_eq_u32_e32 vcc_lo, 0, v5
	v_dual_cndmask_b32 v5, v5, v14 :: v_dual_lshlrev_b32 v12, 24, v12
	v_dual_cndmask_b32 v13, v13, v15 :: v_dual_and_b32 v12, 0x80000000, v12
	s_delay_alu instid0(VALU_DEP_2) | instskip(NEXT) | instid1(VALU_DEP_2)
	v_lshl_add_u32 v5, v5, 23, 0x3b800000
	v_lshlrev_b32_e32 v13, 20, v13
	s_delay_alu instid0(VALU_DEP_1)
	v_or3_b32 v5, v12, v5, v13
.LBB39_1640:
	s_or_b32 exec_lo, exec_lo, s7
.LBB39_1641:
	s_mov_b32 s6, -1
.LBB39_1642:
	s_mov_b32 s7, 0
.LBB39_1643:
	s_delay_alu instid0(SALU_CYCLE_1)
	s_and_b32 vcc_lo, exec_lo, s7
	s_cbranch_vccz .LBB39_1676
; %bb.1644:
	v_cmp_lt_i16_e32 vcc_lo, 22, v10
	s_cbranch_vccz .LBB39_1654
; %bb.1645:
	v_cmp_gt_i16_e32 vcc_lo, 24, v10
	s_cbranch_vccnz .LBB39_1657
; %bb.1646:
	v_cmp_lt_i16_e32 vcc_lo, 24, v10
	s_cbranch_vccz .LBB39_1658
; %bb.1647:
	global_load_u8 v12, v[7:8], off
	s_mov_b32 s7, exec_lo
                                        ; implicit-def: $sgpr6
	s_waitcnt vmcnt(0)
	v_cmpx_lt_i16_e32 0x7f, v12
	s_xor_b32 s7, exec_lo, s7
	s_cbranch_execz .LBB39_1670
; %bb.1648:
	s_mov_b32 s3, -1
	s_mov_b32 s8, exec_lo
                                        ; implicit-def: $sgpr6
	v_cmpx_eq_u16_e32 0x80, v12
; %bb.1649:
	s_mov_b32 s6, 0x7f800001
	s_xor_b32 s3, exec_lo, -1
; %bb.1650:
	s_or_b32 exec_lo, exec_lo, s8
	s_delay_alu instid0(SALU_CYCLE_1)
	s_and_b32 s3, s3, exec_lo
	s_or_saveexec_b32 s7, s7
	v_mov_b32_e32 v5, s6
	s_xor_b32 exec_lo, exec_lo, s7
	s_cbranch_execnz .LBB39_1671
.LBB39_1651:
	s_or_b32 exec_lo, exec_lo, s7
	s_and_saveexec_b32 s6, s3
	s_cbranch_execz .LBB39_1653
.LBB39_1652:
	v_and_b32_e32 v5, 0xffff, v12
	s_delay_alu instid0(VALU_DEP_1) | instskip(NEXT) | instid1(VALU_DEP_1)
	v_and_b32_e32 v13, 3, v5
	v_clz_i32_u32_e32 v14, v13
	s_delay_alu instid0(VALU_DEP_1) | instskip(NEXT) | instid1(VALU_DEP_1)
	v_min_u32_e32 v14, 32, v14
	v_subrev_nc_u32_e32 v15, 29, v14
	v_sub_nc_u32_e32 v14, 30, v14
	s_delay_alu instid0(VALU_DEP_2) | instskip(SKIP_1) | instid1(VALU_DEP_2)
	v_lshlrev_b32_e32 v15, v15, v5
	v_bfe_u32 v5, v5, 2, 5
	v_and_b32_e32 v15, 3, v15
	s_delay_alu instid0(VALU_DEP_2) | instskip(SKIP_1) | instid1(VALU_DEP_1)
	v_cmp_eq_u32_e32 vcc_lo, 0, v5
	v_dual_cndmask_b32 v5, v5, v14 :: v_dual_lshlrev_b32 v12, 24, v12
	v_dual_cndmask_b32 v13, v13, v15 :: v_dual_and_b32 v12, 0x80000000, v12
	s_delay_alu instid0(VALU_DEP_2) | instskip(NEXT) | instid1(VALU_DEP_2)
	v_lshl_add_u32 v5, v5, 23, 0x37800000
	v_lshlrev_b32_e32 v13, 21, v13
	s_delay_alu instid0(VALU_DEP_1)
	v_or3_b32 v5, v12, v5, v13
.LBB39_1653:
	s_or_b32 exec_lo, exec_lo, s6
	s_mov_b32 s3, 0
	s_branch .LBB39_1659
.LBB39_1654:
	s_mov_b32 s3, -1
                                        ; implicit-def: $vgpr5
	s_branch .LBB39_1665
.LBB39_1655:
	s_or_saveexec_b32 s8, s8
	v_mov_b32_e32 v5, s7
	s_xor_b32 exec_lo, exec_lo, s8
	s_cbranch_execz .LBB39_1638
.LBB39_1656:
	v_cmp_ne_u16_e32 vcc_lo, 0, v12
	v_mov_b32_e32 v5, 0
	s_and_not1_b32 s6, s6, exec_lo
	s_and_b32 s7, vcc_lo, exec_lo
	s_delay_alu instid0(SALU_CYCLE_1)
	s_or_b32 s6, s6, s7
	s_or_b32 exec_lo, exec_lo, s8
	s_and_saveexec_b32 s7, s6
	s_cbranch_execnz .LBB39_1639
	s_branch .LBB39_1640
.LBB39_1657:
	s_mov_b32 s3, -1
                                        ; implicit-def: $vgpr5
	s_branch .LBB39_1662
.LBB39_1658:
	s_mov_b32 s3, -1
                                        ; implicit-def: $vgpr5
.LBB39_1659:
	s_delay_alu instid0(SALU_CYCLE_1)
	s_and_b32 vcc_lo, exec_lo, s3
	s_cbranch_vccz .LBB39_1661
; %bb.1660:
	global_load_u8 v5, v[7:8], off
	s_waitcnt vmcnt(0)
	v_lshlrev_b32_e32 v5, 24, v5
	s_delay_alu instid0(VALU_DEP_1) | instskip(NEXT) | instid1(VALU_DEP_1)
	v_and_b32_e32 v12, 0x7f000000, v5
	v_clz_i32_u32_e32 v13, v12
	v_cmp_ne_u32_e32 vcc_lo, 0, v12
	v_add_nc_u32_e32 v15, 0x1000000, v12
	s_delay_alu instid0(VALU_DEP_3) | instskip(NEXT) | instid1(VALU_DEP_1)
	v_min_u32_e32 v13, 32, v13
	v_sub_nc_u32_e64 v13, v13, 4 clamp
	s_delay_alu instid0(VALU_DEP_1) | instskip(SKIP_1) | instid1(VALU_DEP_2)
	v_lshlrev_b32_e32 v14, v13, v12
	v_lshlrev_b32_e32 v13, 23, v13
	v_lshrrev_b32_e32 v14, 4, v14
	s_delay_alu instid0(VALU_DEP_1) | instskip(SKIP_1) | instid1(VALU_DEP_2)
	v_sub_nc_u32_e32 v13, v14, v13
	v_ashrrev_i32_e32 v14, 8, v15
	v_add_nc_u32_e32 v13, 0x3c000000, v13
	s_delay_alu instid0(VALU_DEP_1) | instskip(NEXT) | instid1(VALU_DEP_1)
	v_and_or_b32 v13, 0x7f800000, v14, v13
	v_cndmask_b32_e32 v12, 0, v13, vcc_lo
	s_delay_alu instid0(VALU_DEP_1)
	v_and_or_b32 v5, 0x80000000, v5, v12
.LBB39_1661:
	s_mov_b32 s3, 0
.LBB39_1662:
	s_delay_alu instid0(SALU_CYCLE_1)
	s_and_not1_b32 vcc_lo, exec_lo, s3
	s_cbranch_vccnz .LBB39_1664
; %bb.1663:
	global_load_u8 v5, v[7:8], off
	s_waitcnt vmcnt(0)
	v_lshlrev_b32_e32 v12, 25, v5
	v_lshlrev_b16 v5, 8, v5
	s_delay_alu instid0(VALU_DEP_2) | instskip(NEXT) | instid1(VALU_DEP_2)
	v_lshrrev_b32_e32 v13, 4, v12
	v_and_or_b32 v14, 0x7f00, v5, 0.5
	v_cmp_gt_u32_e32 vcc_lo, 0x8000000, v12
	v_bfe_i32 v5, v5, 0, 16
	s_delay_alu instid0(VALU_DEP_4) | instskip(NEXT) | instid1(VALU_DEP_1)
	v_or_b32_e32 v13, 0x70000000, v13
	v_dual_add_f32 v14, -0.5, v14 :: v_dual_mul_f32 v13, 0x7800000, v13
	s_delay_alu instid0(VALU_DEP_1) | instskip(NEXT) | instid1(VALU_DEP_1)
	v_cndmask_b32_e32 v12, v13, v14, vcc_lo
	v_and_or_b32 v5, 0x80000000, v5, v12
.LBB39_1664:
	s_mov_b32 s3, 0
	s_mov_b32 s6, -1
.LBB39_1665:
	s_and_not1_b32 vcc_lo, exec_lo, s3
	s_mov_b32 s3, 0
	s_cbranch_vccnz .LBB39_1676
; %bb.1666:
	v_cmp_lt_i16_e32 vcc_lo, 14, v10
	s_cbranch_vccz .LBB39_1669
; %bb.1667:
	v_cmp_eq_u16_e32 vcc_lo, 15, v10
	s_cbranch_vccz .LBB39_1672
; %bb.1668:
	global_load_u16 v5, v[7:8], off
	s_mov_b32 s2, 0
	s_mov_b32 s6, -1
	s_waitcnt vmcnt(0)
	v_lshlrev_b32_e32 v5, 16, v5
	s_branch .LBB39_1674
.LBB39_1669:
	s_mov_b32 s3, -1
	s_branch .LBB39_1673
.LBB39_1670:
	s_or_saveexec_b32 s7, s7
	v_mov_b32_e32 v5, s6
	s_xor_b32 exec_lo, exec_lo, s7
	s_cbranch_execz .LBB39_1651
.LBB39_1671:
	v_cmp_ne_u16_e32 vcc_lo, 0, v12
	v_mov_b32_e32 v5, 0
	s_and_not1_b32 s3, s3, exec_lo
	s_and_b32 s6, vcc_lo, exec_lo
	s_delay_alu instid0(SALU_CYCLE_1)
	s_or_b32 s3, s3, s6
	s_or_b32 exec_lo, exec_lo, s7
	s_and_saveexec_b32 s6, s3
	s_cbranch_execnz .LBB39_1652
	s_branch .LBB39_1653
.LBB39_1672:
	s_mov_b32 s2, -1
.LBB39_1673:
                                        ; implicit-def: $vgpr5
.LBB39_1674:
	s_and_b32 vcc_lo, exec_lo, s3
	s_mov_b32 s3, 0
	s_cbranch_vccz .LBB39_1676
; %bb.1675:
	v_cmp_ne_u16_e64 s2, 11, v10
	s_mov_b32 s3, -1
                                        ; implicit-def: $vgpr5
.LBB39_1676:
	s_delay_alu instid0(VALU_DEP_1)
	s_and_b32 vcc_lo, exec_lo, s2
	s_cbranch_vccnz .LBB39_1794
; %bb.1677:
	s_and_not1_b32 vcc_lo, exec_lo, s3
	s_cbranch_vccnz .LBB39_1679
.LBB39_1678:
	global_load_u8 v5, v[7:8], off
	s_mov_b32 s6, -1
	s_waitcnt vmcnt(0)
	v_cmp_ne_u16_e32 vcc_lo, 0, v5
	v_cndmask_b32_e64 v5, 0, 1.0, vcc_lo
.LBB39_1679:
	s_mov_b32 s2, 0
.LBB39_1680:
	s_delay_alu instid0(SALU_CYCLE_1)
	s_and_b32 vcc_lo, exec_lo, s2
	s_cbranch_vccz .LBB39_1729
; %bb.1681:
	v_cmp_gt_i16_e32 vcc_lo, 5, v10
	s_cbranch_vccnz .LBB39_1686
; %bb.1682:
	v_cmp_gt_i16_e32 vcc_lo, 8, v10
	s_cbranch_vccnz .LBB39_1687
	;; [unrolled: 3-line block ×3, first 2 shown]
; %bb.1684:
	v_cmp_lt_i16_e32 vcc_lo, 9, v10
	s_cbranch_vccz .LBB39_1689
; %bb.1685:
	global_load_b64 v[12:13], v[7:8], off
	s_mov_b32 s2, 0
	s_waitcnt vmcnt(0)
	v_cvt_f32_f64_e32 v5, v[12:13]
	s_branch .LBB39_1690
.LBB39_1686:
	s_mov_b32 s2, -1
                                        ; implicit-def: $vgpr5
	s_branch .LBB39_1708
.LBB39_1687:
	s_mov_b32 s2, -1
                                        ; implicit-def: $vgpr5
	s_branch .LBB39_1696
.LBB39_1688:
	s_mov_b32 s2, -1
                                        ; implicit-def: $vgpr5
	s_branch .LBB39_1693
.LBB39_1689:
	s_mov_b32 s2, -1
                                        ; implicit-def: $vgpr5
.LBB39_1690:
	s_delay_alu instid0(SALU_CYCLE_1)
	s_and_not1_b32 vcc_lo, exec_lo, s2
	s_cbranch_vccnz .LBB39_1692
; %bb.1691:
	global_load_b32 v5, v[7:8], off
.LBB39_1692:
	s_mov_b32 s2, 0
.LBB39_1693:
	s_delay_alu instid0(SALU_CYCLE_1)
	s_and_not1_b32 vcc_lo, exec_lo, s2
	s_cbranch_vccnz .LBB39_1695
; %bb.1694:
	global_load_b32 v5, v[7:8], off
	s_waitcnt vmcnt(0)
	v_cvt_f32_f16_e32 v5, v5
.LBB39_1695:
	s_mov_b32 s2, 0
.LBB39_1696:
	s_delay_alu instid0(SALU_CYCLE_1)
	s_and_not1_b32 vcc_lo, exec_lo, s2
	s_cbranch_vccnz .LBB39_1707
; %bb.1697:
	v_cmp_gt_i16_e32 vcc_lo, 6, v10
	s_cbranch_vccnz .LBB39_1700
; %bb.1698:
	v_cmp_lt_i16_e32 vcc_lo, 6, v10
	s_cbranch_vccz .LBB39_1701
; %bb.1699:
	global_load_b64 v[12:13], v[7:8], off
	s_mov_b32 s2, 0
	s_waitcnt vmcnt(0)
	v_cvt_f32_f64_e32 v5, v[12:13]
	s_branch .LBB39_1702
.LBB39_1700:
	s_mov_b32 s2, -1
                                        ; implicit-def: $vgpr5
	s_branch .LBB39_1705
.LBB39_1701:
	s_mov_b32 s2, -1
                                        ; implicit-def: $vgpr5
.LBB39_1702:
	s_delay_alu instid0(SALU_CYCLE_1)
	s_and_not1_b32 vcc_lo, exec_lo, s2
	s_cbranch_vccnz .LBB39_1704
; %bb.1703:
	global_load_b32 v5, v[7:8], off
.LBB39_1704:
	s_mov_b32 s2, 0
.LBB39_1705:
	s_delay_alu instid0(SALU_CYCLE_1)
	s_and_not1_b32 vcc_lo, exec_lo, s2
	s_cbranch_vccnz .LBB39_1707
; %bb.1706:
	global_load_u16 v5, v[7:8], off
	s_waitcnt vmcnt(0)
	v_cvt_f32_f16_e32 v5, v5
.LBB39_1707:
	s_mov_b32 s2, 0
.LBB39_1708:
	s_delay_alu instid0(SALU_CYCLE_1)
	s_and_not1_b32 vcc_lo, exec_lo, s2
	s_cbranch_vccnz .LBB39_1728
; %bb.1709:
	v_cmp_gt_i16_e32 vcc_lo, 2, v10
	s_cbranch_vccnz .LBB39_1713
; %bb.1710:
	v_cmp_gt_i16_e32 vcc_lo, 3, v10
	s_cbranch_vccnz .LBB39_1714
; %bb.1711:
	v_cmp_lt_i16_e32 vcc_lo, 3, v10
	s_cbranch_vccz .LBB39_1715
; %bb.1712:
	global_load_b64 v[12:13], v[7:8], off
	s_mov_b32 s2, 0
	s_waitcnt vmcnt(0)
	v_xor_b32_e32 v5, v12, v13
	v_cls_i32_e32 v14, v13
	s_delay_alu instid0(VALU_DEP_2) | instskip(NEXT) | instid1(VALU_DEP_2)
	v_ashrrev_i32_e32 v5, 31, v5
	v_add_nc_u32_e32 v14, -1, v14
	s_delay_alu instid0(VALU_DEP_2) | instskip(NEXT) | instid1(VALU_DEP_1)
	v_add_nc_u32_e32 v5, 32, v5
	v_min_u32_e32 v5, v14, v5
	s_delay_alu instid0(VALU_DEP_1) | instskip(SKIP_1) | instid1(VALU_DEP_2)
	v_lshlrev_b64 v[12:13], v5, v[12:13]
	v_sub_nc_u32_e32 v5, 32, v5
	v_min_u32_e32 v12, 1, v12
	s_delay_alu instid0(VALU_DEP_1) | instskip(NEXT) | instid1(VALU_DEP_1)
	v_or_b32_e32 v12, v13, v12
	v_cvt_f32_i32_e32 v12, v12
	s_delay_alu instid0(VALU_DEP_1)
	v_ldexp_f32 v5, v12, v5
	s_branch .LBB39_1716
.LBB39_1713:
	s_mov_b32 s2, -1
                                        ; implicit-def: $vgpr5
	s_branch .LBB39_1722
.LBB39_1714:
	s_mov_b32 s2, -1
                                        ; implicit-def: $vgpr5
	s_branch .LBB39_1719
.LBB39_1715:
	s_mov_b32 s2, -1
                                        ; implicit-def: $vgpr5
.LBB39_1716:
	s_delay_alu instid0(SALU_CYCLE_1)
	s_and_not1_b32 vcc_lo, exec_lo, s2
	s_cbranch_vccnz .LBB39_1718
; %bb.1717:
	global_load_b32 v5, v[7:8], off
	s_waitcnt vmcnt(0)
	v_cvt_f32_i32_e32 v5, v5
.LBB39_1718:
	s_mov_b32 s2, 0
.LBB39_1719:
	s_delay_alu instid0(SALU_CYCLE_1)
	s_and_not1_b32 vcc_lo, exec_lo, s2
	s_cbranch_vccnz .LBB39_1721
; %bb.1720:
	global_load_i16 v5, v[7:8], off
	s_waitcnt vmcnt(0)
	v_cvt_f32_i32_e32 v5, v5
.LBB39_1721:
	s_mov_b32 s2, 0
.LBB39_1722:
	s_delay_alu instid0(SALU_CYCLE_1)
	s_and_not1_b32 vcc_lo, exec_lo, s2
	s_cbranch_vccnz .LBB39_1728
; %bb.1723:
	v_cmp_lt_i16_e32 vcc_lo, 0, v10
	s_mov_b32 s2, 0
	s_cbranch_vccz .LBB39_1725
; %bb.1724:
	global_load_i8 v5, v[7:8], off
	s_waitcnt vmcnt(0)
	v_cvt_f32_i32_e32 v5, v5
	s_branch .LBB39_1726
.LBB39_1725:
	s_mov_b32 s2, -1
                                        ; implicit-def: $vgpr5
.LBB39_1726:
	s_delay_alu instid0(SALU_CYCLE_1)
	s_and_not1_b32 vcc_lo, exec_lo, s2
	s_cbranch_vccnz .LBB39_1728
; %bb.1727:
	global_load_u8 v5, v[7:8], off
	s_waitcnt vmcnt(0)
	v_cvt_f32_ubyte0_e32 v5, v5
.LBB39_1728:
	s_mov_b32 s6, -1
.LBB39_1729:
	s_delay_alu instid0(SALU_CYCLE_1)
	s_and_not1_b32 vcc_lo, exec_lo, s6
	s_cbranch_vccnz .LBB39_1737
; %bb.1730:
	v_cmp_ne_u32_e32 vcc_lo, 1, v11
	v_mov_b32_e32 v8, 0
	s_cbranch_vccnz .LBB39_1785
; %bb.1731:
	v_cmp_lt_i64_e64 s2, s[0:1], 1
	v_mov_b32_e32 v8, 1.0
	s_delay_alu instid0(VALU_DEP_2)
	s_and_b32 vcc_lo, exec_lo, s2
	s_cbranch_vccnz .LBB39_1785
; %bb.1732:
	s_cmp_lg_u64 s[0:1], 1
	s_cbranch_scc0 .LBB39_1782
; %bb.1733:
	v_cmp_lt_u64_e64 s2, 0x80, s[0:1]
	v_mov_b32_e32 v8, 0x7fc00000
	s_delay_alu instid0(VALU_DEP_2)
	s_and_b32 vcc_lo, exec_lo, s2
	s_cbranch_vccnz .LBB39_1736
; %bb.1734:
	s_waitcnt vmcnt(0)
	v_dual_add_f32 v7, v5, v5 :: v_dual_mov_b32 v10, 1.0
	s_lshl_b64 s[0:1], s[0:1], 1
	s_mov_b64 s[2:3], 2
	s_delay_alu instid0(VALU_DEP_1)
	v_mov_b32_e32 v8, v7
.LBB39_1735:                            ; =>This Inner Loop Header: Depth=1
	s_clz_i32_u32 s6, s3
	s_delay_alu instid0(SALU_CYCLE_1) | instskip(NEXT) | instid1(SALU_CYCLE_1)
	s_min_u32 s8, s6, 32
	s_lshl_b64 s[6:7], s[2:3], s8
	s_delay_alu instid0(SALU_CYCLE_1) | instskip(NEXT) | instid1(SALU_CYCLE_1)
	s_min_u32 s6, s6, 1
	s_or_b32 s6, s7, s6
	s_delay_alu instid0(SALU_CYCLE_1) | instskip(SKIP_3) | instid1(VALU_DEP_1)
	v_cvt_f32_u32_e32 v11, s6
	s_sub_i32 s6, 32, s8
	s_add_u32 s2, s2, 2
	s_addc_u32 s3, s3, 0
	v_ldexp_f32 v11, v11, s6
	v_cmp_lt_u64_e64 s6, s[2:3], s[0:1]
	s_delay_alu instid0(VALU_DEP_2) | instskip(NEXT) | instid1(VALU_DEP_2)
	v_dual_mul_f32 v11, v10, v11 :: v_dual_mov_b32 v10, v8
	s_and_b32 vcc_lo, exec_lo, s6
	s_delay_alu instid0(VALU_DEP_1)
	v_fma_f32 v8, v7, v8, -v11
	s_cbranch_vccnz .LBB39_1735
.LBB39_1736:
	s_mov_b32 s0, 0
	s_branch .LBB39_1783
.LBB39_1737:
	s_mov_b32 s0, 0
	s_mov_b32 s1, 0
                                        ; implicit-def: $vgpr0_vgpr1
                                        ; implicit-def: $sgpr2
                                        ; implicit-def: $vgpr8
.LBB39_1738:
	s_and_b32 s3, s0, exec_lo
	s_and_not1_b32 s0, s10, exec_lo
	s_and_b32 s4, s12, exec_lo
	s_and_b32 s33, s1, exec_lo
	s_or_b32 s10, s0, s4
.LBB39_1739:
	s_or_b32 exec_lo, exec_lo, s11
	s_and_saveexec_b32 s0, s10
	s_cbranch_execz .LBB39_1742
; %bb.1740:
	; divergent unreachable
	s_or_b32 exec_lo, exec_lo, s0
	s_and_saveexec_b32 s0, s33
	s_delay_alu instid0(SALU_CYCLE_1)
	s_xor_b32 s0, exec_lo, s0
	s_cbranch_execnz .LBB39_1743
.LBB39_1741:
	s_or_b32 exec_lo, exec_lo, s0
	s_and_saveexec_b32 s0, s3
	s_cbranch_execnz .LBB39_1744
	s_branch .LBB39_1781
.LBB39_1742:
	s_or_b32 exec_lo, exec_lo, s0
	s_and_saveexec_b32 s0, s33
	s_delay_alu instid0(SALU_CYCLE_1)
	s_xor_b32 s0, exec_lo, s0
	s_cbranch_execz .LBB39_1741
.LBB39_1743:
	v_cmp_neq_f32_e32 vcc_lo, 0, v8
	v_cndmask_b32_e64 v2, 0, 1, vcc_lo
	global_store_b8 v[0:1], v2, off
	s_or_b32 exec_lo, exec_lo, s0
	s_and_saveexec_b32 s0, s3
	s_cbranch_execz .LBB39_1781
.LBB39_1744:
	v_cmp_lt_i16_e64 s0, s2, 5
	s_delay_alu instid0(VALU_DEP_1)
	s_and_b32 vcc_lo, exec_lo, s0
	s_mov_b32 s0, -1
	s_cbranch_vccnz .LBB39_1765
; %bb.1745:
	v_cmp_lt_i16_e64 s0, s2, 8
	s_delay_alu instid0(VALU_DEP_1)
	s_and_b32 vcc_lo, exec_lo, s0
	s_mov_b32 s0, -1
	s_cbranch_vccnz .LBB39_1755
; %bb.1746:
	v_cmp_lt_i16_e64 s0, s2, 9
	s_delay_alu instid0(VALU_DEP_1)
	s_and_b32 vcc_lo, exec_lo, s0
	s_mov_b32 s0, -1
	s_cbranch_vccnz .LBB39_1752
; %bb.1747:
	v_cmp_gt_i16_e64 s0, s2, 9
	s_delay_alu instid0(VALU_DEP_1)
	s_and_b32 vcc_lo, exec_lo, s0
	s_mov_b32 s0, -1
	s_cbranch_vccz .LBB39_1749
; %bb.1748:
	s_waitcnt vmcnt(0)
	v_cvt_f64_f32_e32 v[2:3], v8
	v_mov_b32_e32 v4, 0
	s_mov_b32 s0, 0
	s_delay_alu instid0(VALU_DEP_1)
	v_mov_b32_e32 v5, v4
	global_store_b128 v[0:1], v[2:5], off
.LBB39_1749:
	s_and_not1_b32 vcc_lo, exec_lo, s0
	s_cbranch_vccnz .LBB39_1751
; %bb.1750:
	v_mov_b32_e32 v9, 0
	global_store_b64 v[0:1], v[8:9], off
.LBB39_1751:
	s_mov_b32 s0, 0
.LBB39_1752:
	s_delay_alu instid0(SALU_CYCLE_1)
	s_and_not1_b32 vcc_lo, exec_lo, s0
	s_cbranch_vccnz .LBB39_1754
; %bb.1753:
	v_cvt_f16_f32_e32 v2, v8
	s_delay_alu instid0(VALU_DEP_1)
	v_and_b32_e32 v2, 0xffff, v2
	global_store_b32 v[0:1], v2, off
.LBB39_1754:
	s_mov_b32 s0, 0
.LBB39_1755:
	s_delay_alu instid0(SALU_CYCLE_1)
	s_and_not1_b32 vcc_lo, exec_lo, s0
	s_cbranch_vccnz .LBB39_1764
; %bb.1756:
	v_cmp_lt_i16_e64 s0, s2, 6
	s_delay_alu instid0(VALU_DEP_1)
	s_and_b32 vcc_lo, exec_lo, s0
	s_mov_b32 s0, -1
	s_cbranch_vccnz .LBB39_1762
; %bb.1757:
	v_cmp_gt_i16_e64 s0, s2, 6
	s_delay_alu instid0(VALU_DEP_1)
	s_and_b32 vcc_lo, exec_lo, s0
	s_mov_b32 s0, -1
	s_cbranch_vccz .LBB39_1759
; %bb.1758:
	s_waitcnt vmcnt(0)
	v_cvt_f64_f32_e32 v[2:3], v8
	s_mov_b32 s0, 0
	global_store_b64 v[0:1], v[2:3], off
.LBB39_1759:
	s_and_not1_b32 vcc_lo, exec_lo, s0
	s_cbranch_vccnz .LBB39_1761
; %bb.1760:
	global_store_b32 v[0:1], v8, off
.LBB39_1761:
	s_mov_b32 s0, 0
.LBB39_1762:
	s_delay_alu instid0(SALU_CYCLE_1)
	s_and_not1_b32 vcc_lo, exec_lo, s0
	s_cbranch_vccnz .LBB39_1764
; %bb.1763:
	v_cvt_f16_f32_e32 v2, v8
	global_store_b16 v[0:1], v2, off
.LBB39_1764:
	s_mov_b32 s0, 0
.LBB39_1765:
	s_delay_alu instid0(SALU_CYCLE_1)
	s_and_not1_b32 vcc_lo, exec_lo, s0
	s_cbranch_vccnz .LBB39_1781
; %bb.1766:
	v_cmp_lt_i16_e64 s0, s2, 2
	s_delay_alu instid0(VALU_DEP_1)
	s_and_b32 vcc_lo, exec_lo, s0
	s_mov_b32 s0, -1
	s_cbranch_vccnz .LBB39_1776
; %bb.1767:
	v_cmp_lt_i16_e64 s0, s2, 3
	s_delay_alu instid0(VALU_DEP_1)
	s_and_b32 vcc_lo, exec_lo, s0
	s_mov_b32 s0, -1
	s_cbranch_vccnz .LBB39_1773
; %bb.1768:
	v_cmp_gt_i16_e64 s0, s2, 3
	s_delay_alu instid0(VALU_DEP_1)
	s_and_b32 vcc_lo, exec_lo, s0
	s_mov_b32 s0, -1
	s_cbranch_vccz .LBB39_1770
; %bb.1769:
	v_trunc_f32_e32 v2, v8
	s_mov_b32 s0, 0
	s_waitcnt vmcnt(0)
	s_delay_alu instid0(VALU_DEP_1) | instskip(SKIP_1) | instid1(VALU_DEP_2)
	v_mul_f32_e64 v3, 0x2f800000, |v2|
	v_ashrrev_i32_e32 v5, 31, v2
	v_floor_f32_e32 v3, v3
	s_delay_alu instid0(VALU_DEP_1) | instskip(SKIP_1) | instid1(VALU_DEP_2)
	v_fma_f32 v4, 0xcf800000, v3, |v2|
	v_cvt_u32_f32_e32 v3, v3
	v_cvt_u32_f32_e32 v2, v4
	s_delay_alu instid0(VALU_DEP_2) | instskip(NEXT) | instid1(VALU_DEP_2)
	v_xor_b32_e32 v3, v3, v5
	v_xor_b32_e32 v2, v2, v5
	s_delay_alu instid0(VALU_DEP_1) | instskip(NEXT) | instid1(VALU_DEP_3)
	v_sub_co_u32 v2, vcc_lo, v2, v5
	v_sub_co_ci_u32_e32 v3, vcc_lo, v3, v5, vcc_lo
	global_store_b64 v[0:1], v[2:3], off
.LBB39_1770:
	s_and_not1_b32 vcc_lo, exec_lo, s0
	s_cbranch_vccnz .LBB39_1772
; %bb.1771:
	v_cvt_i32_f32_e32 v2, v8
	global_store_b32 v[0:1], v2, off
.LBB39_1772:
	s_mov_b32 s0, 0
.LBB39_1773:
	s_delay_alu instid0(SALU_CYCLE_1)
	s_and_not1_b32 vcc_lo, exec_lo, s0
	s_cbranch_vccnz .LBB39_1775
; %bb.1774:
	v_cvt_i32_f32_e32 v2, v8
	global_store_b16 v[0:1], v2, off
.LBB39_1775:
	s_mov_b32 s0, 0
.LBB39_1776:
	s_delay_alu instid0(SALU_CYCLE_1)
	s_and_not1_b32 vcc_lo, exec_lo, s0
	s_cbranch_vccnz .LBB39_1781
; %bb.1777:
	v_cmp_gt_i16_e64 s0, s2, 0
	s_delay_alu instid0(VALU_DEP_1)
	s_and_b32 vcc_lo, exec_lo, s0
	s_mov_b32 s0, -1
	s_cbranch_vccz .LBB39_1779
; %bb.1778:
	v_cvt_i32_f32_e32 v2, v8
	s_mov_b32 s0, 0
	global_store_b8 v[0:1], v2, off
.LBB39_1779:
	s_and_not1_b32 vcc_lo, exec_lo, s0
	s_cbranch_vccnz .LBB39_1781
; %bb.1780:
	v_trunc_f32_e32 v2, v8
	s_waitcnt vmcnt(0)
	s_delay_alu instid0(VALU_DEP_1) | instskip(NEXT) | instid1(VALU_DEP_1)
	v_mul_f32_e64 v3, 0x2f800000, |v2|
	v_floor_f32_e32 v3, v3
	s_delay_alu instid0(VALU_DEP_1) | instskip(SKIP_1) | instid1(VALU_DEP_2)
	v_fma_f32 v3, 0xcf800000, v3, |v2|
	v_ashrrev_i32_e32 v2, 31, v2
	v_cvt_u32_f32_e32 v3, v3
	s_delay_alu instid0(VALU_DEP_1) | instskip(NEXT) | instid1(VALU_DEP_1)
	v_xor_b32_e32 v3, v3, v2
	v_sub_nc_u32_e32 v2, v3, v2
	global_store_b8 v[0:1], v2, off
	s_nop 0
	s_sendmsg sendmsg(MSG_DEALLOC_VGPRS)
	s_endpgm
.LBB39_1781:
	s_nop 0
	s_sendmsg sendmsg(MSG_DEALLOC_VGPRS)
	s_endpgm
.LBB39_1782:
	s_mov_b32 s0, -1
                                        ; implicit-def: $vgpr8
.LBB39_1783:
	s_delay_alu instid0(SALU_CYCLE_1)
	s_and_not1_b32 vcc_lo, exec_lo, s0
	s_cbranch_vccnz .LBB39_1785
; %bb.1784:
	s_waitcnt vmcnt(0)
	v_add_f32_e32 v8, v5, v5
.LBB39_1785:
	s_load_b32 s0, s[16:17], 0x160
	v_add_co_u32 v10, s1, s4, v3
	s_delay_alu instid0(VALU_DEP_1) | instskip(SKIP_3) | instid1(SALU_CYCLE_1)
	v_add_co_ci_u32_e64 v11, null, s5, 0, s1
	s_mov_b32 s3, 0
	s_waitcnt lgkmcnt(0)
	s_and_b32 s2, s0, 0xff
	v_cmp_lt_i16_e64 s0, s2, 11
	s_delay_alu instid0(VALU_DEP_1)
	s_and_b32 vcc_lo, exec_lo, s0
	s_mov_b32 s0, -1
	s_cbranch_vccnz .LBB39_1868
; %bb.1786:
	v_cmp_gt_i16_e64 s0, s2, 25
	s_mov_b32 s6, -1
	s_mov_b32 s1, 0
	s_delay_alu instid0(VALU_DEP_1)
	s_and_b32 vcc_lo, exec_lo, s0
	s_mov_b32 s0, 0
	s_cbranch_vccz .LBB39_1824
; %bb.1787:
	v_cmp_gt_i16_e64 s0, s2, 28
	s_delay_alu instid0(VALU_DEP_1)
	s_and_b32 vcc_lo, exec_lo, s0
	s_cbranch_vccz .LBB39_1792
; %bb.1788:
	v_cmp_gt_i16_e64 s0, s2, 43
	s_delay_alu instid0(VALU_DEP_1)
	s_and_b32 vcc_lo, exec_lo, s0
	;; [unrolled: 5-line block ×3, first 2 shown]
	s_cbranch_vccz .LBB39_1796
; %bb.1790:
	v_cmp_eq_u16_e64 s3, s2, 46
	s_mov_b32 s0, -1
	s_mov_b32 s6, 0
	s_delay_alu instid0(VALU_DEP_1)
	s_and_b32 vcc_lo, exec_lo, s3
	s_mov_b32 s3, 0
	s_cbranch_vccz .LBB39_1797
; %bb.1791:
	v_bfe_u32 v3, v4, 16, 1
	v_cmp_o_f32_e32 vcc_lo, v4, v4
	s_mov_b32 s0, 0
	s_mov_b32 s3, -1
	s_delay_alu instid0(VALU_DEP_2) | instskip(NEXT) | instid1(VALU_DEP_1)
	v_add3_u32 v3, v4, v3, 0x7fff
	v_lshrrev_b32_e32 v3, 16, v3
	s_delay_alu instid0(VALU_DEP_1)
	v_cndmask_b32_e32 v3, 0x7fc0, v3, vcc_lo
	global_store_b32 v[10:11], v3, off
	s_branch .LBB39_1797
.LBB39_1792:
	s_mov_b32 s0, 0
	s_branch .LBB39_1807
.LBB39_1793:
	s_mov_b32 s0, 0
	s_branch .LBB39_1803
.LBB39_1794:
	s_cbranch_execnz .LBB39_1919
; %bb.1795:
	s_or_b32 s12, s12, exec_lo
                                        ; implicit-def: $vgpr5
	s_cbranch_execz .LBB39_1678
	s_branch .LBB39_1679
.LBB39_1796:
	s_mov_b32 s0, 0
.LBB39_1797:
	s_and_b32 vcc_lo, exec_lo, s6
	s_cbranch_vccz .LBB39_1802
; %bb.1798:
	v_cmp_eq_u16_e64 s0, s2, 44
	s_delay_alu instid0(VALU_DEP_1)
	s_and_b32 vcc_lo, exec_lo, s0
	s_mov_b32 s0, -1
	s_cbranch_vccz .LBB39_1802
; %bb.1799:
	s_waitcnt vmcnt(0)
	v_bfe_u32 v5, v4, 23, 8
	v_mov_b32_e32 v3, 0xff
	s_mov_b32 s3, exec_lo
	s_delay_alu instid0(VALU_DEP_2)
	v_cmpx_ne_u32_e32 0xff, v5
; %bb.1800:
	v_and_b32_e32 v3, 0x400000, v4
	v_and_or_b32 v5, 0x3fffff, v4, v5
	s_delay_alu instid0(VALU_DEP_2) | instskip(NEXT) | instid1(VALU_DEP_2)
	v_cmp_ne_u32_e32 vcc_lo, 0, v3
	v_cmp_ne_u32_e64 s0, 0, v5
	v_lshrrev_b32_e32 v3, 23, v4
	s_delay_alu instid0(VALU_DEP_2) | instskip(NEXT) | instid1(SALU_CYCLE_1)
	s_and_b32 s0, vcc_lo, s0
	v_cndmask_b32_e64 v5, 0, 1, s0
	s_delay_alu instid0(VALU_DEP_1)
	v_add_nc_u32_e32 v3, v3, v5
; %bb.1801:
	s_or_b32 exec_lo, exec_lo, s3
	s_mov_b32 s0, 0
	s_mov_b32 s3, -1
	global_store_b8 v[10:11], v3, off
.LBB39_1802:
	s_mov_b32 s6, 0
.LBB39_1803:
	s_delay_alu instid0(SALU_CYCLE_1)
	s_and_b32 vcc_lo, exec_lo, s6
	s_cbranch_vccz .LBB39_1806
; %bb.1804:
	v_cmp_eq_u16_e64 s0, s2, 29
	s_delay_alu instid0(VALU_DEP_1)
	s_and_b32 vcc_lo, exec_lo, s0
	s_mov_b32 s0, -1
	s_cbranch_vccz .LBB39_1806
; %bb.1805:
	v_trunc_f32_e32 v3, v4
	s_mov_b32 s0, 0
	s_mov_b32 s3, -1
	s_mov_b32 s6, 0
	s_waitcnt vmcnt(0)
	v_mul_f32_e32 v5, 0x2f800000, v3
	s_delay_alu instid0(VALU_DEP_1) | instskip(NEXT) | instid1(VALU_DEP_1)
	v_floor_f32_e32 v5, v5
	v_fmamk_f32 v3, v5, 0xcf800000, v3
	v_cvt_u32_f32_e32 v13, v5
	s_delay_alu instid0(VALU_DEP_2)
	v_cvt_u32_f32_e32 v12, v3
	global_store_b64 v[10:11], v[12:13], off
	s_branch .LBB39_1807
.LBB39_1806:
	s_mov_b32 s6, 0
.LBB39_1807:
	s_delay_alu instid0(SALU_CYCLE_1)
	s_and_b32 vcc_lo, exec_lo, s6
	s_cbranch_vccz .LBB39_1823
; %bb.1808:
	v_cmp_lt_i16_e64 s3, s2, 27
	s_delay_alu instid0(VALU_DEP_1)
	s_and_b32 vcc_lo, exec_lo, s3
	s_mov_b32 s3, -1
	s_cbranch_vccnz .LBB39_1814
; %bb.1809:
	v_cmp_gt_i16_e64 s3, s2, 27
	v_cvt_u32_f32_e32 v3, v4
	s_delay_alu instid0(VALU_DEP_2)
	s_and_b32 vcc_lo, exec_lo, s3
	s_mov_b32 s3, -1
	s_cbranch_vccz .LBB39_1811
; %bb.1810:
	s_mov_b32 s3, 0
	global_store_b32 v[10:11], v3, off
.LBB39_1811:
	s_and_not1_b32 vcc_lo, exec_lo, s3
	s_cbranch_vccnz .LBB39_1813
; %bb.1812:
	global_store_b16 v[10:11], v3, off
.LBB39_1813:
	s_mov_b32 s3, 0
.LBB39_1814:
	s_delay_alu instid0(SALU_CYCLE_1)
	s_and_not1_b32 vcc_lo, exec_lo, s3
	s_cbranch_vccnz .LBB39_1822
; %bb.1815:
	v_and_b32_e32 v3, 0x7fffffff, v4
	s_waitcnt vmcnt(0)
	v_mov_b32_e32 v5, 0x80
	s_mov_b32 s3, exec_lo
	s_delay_alu instid0(VALU_DEP_2)
	v_cmpx_gt_u32_e32 0x43800000, v3
	s_cbranch_execz .LBB39_1821
; %bb.1816:
	v_cmp_lt_u32_e32 vcc_lo, 0x3bffffff, v3
	s_mov_b32 s6, 0
                                        ; implicit-def: $vgpr3
	s_and_saveexec_b32 s7, vcc_lo
	s_delay_alu instid0(SALU_CYCLE_1)
	s_xor_b32 s7, exec_lo, s7
	s_cbranch_execz .LBB39_1916
; %bb.1817:
	v_bfe_u32 v3, v4, 20, 1
	s_mov_b32 s6, exec_lo
	s_delay_alu instid0(VALU_DEP_1) | instskip(NEXT) | instid1(VALU_DEP_1)
	v_add3_u32 v3, v4, v3, 0x487ffff
	v_lshrrev_b32_e32 v3, 20, v3
	s_or_saveexec_b32 s7, s7
                                        ; implicit-def: $sgpr8
	s_delay_alu instid0(SALU_CYCLE_1)
	s_xor_b32 exec_lo, exec_lo, s7
	s_cbranch_execnz .LBB39_1917
.LBB39_1818:
	s_or_b32 exec_lo, exec_lo, s7
	v_mov_b32_e32 v5, s8
	s_and_saveexec_b32 s7, s6
.LBB39_1819:
	v_lshrrev_b32_e32 v5, 24, v4
	s_delay_alu instid0(VALU_DEP_1)
	v_and_or_b32 v5, 0x80, v5, v3
.LBB39_1820:
	s_or_b32 exec_lo, exec_lo, s7
.LBB39_1821:
	s_delay_alu instid0(SALU_CYCLE_1)
	s_or_b32 exec_lo, exec_lo, s3
	global_store_b8 v[10:11], v5, off
.LBB39_1822:
	s_mov_b32 s3, -1
.LBB39_1823:
	s_mov_b32 s6, 0
.LBB39_1824:
	s_delay_alu instid0(SALU_CYCLE_1)
	s_and_b32 vcc_lo, exec_lo, s6
	s_cbranch_vccz .LBB39_1864
; %bb.1825:
	v_cmp_gt_i16_e64 s1, s2, 22
	s_delay_alu instid0(VALU_DEP_1)
	s_and_b32 vcc_lo, exec_lo, s1
	s_mov_b32 s1, -1
	s_cbranch_vccz .LBB39_1857
; %bb.1826:
	v_cmp_lt_i16_e64 s1, s2, 24
	s_delay_alu instid0(VALU_DEP_1)
	s_and_b32 vcc_lo, exec_lo, s1
	s_mov_b32 s1, -1
	s_cbranch_vccnz .LBB39_1846
; %bb.1827:
	v_cmp_gt_i16_e64 s1, s2, 24
	s_delay_alu instid0(VALU_DEP_1)
	s_and_b32 vcc_lo, exec_lo, s1
	s_mov_b32 s1, -1
	s_cbranch_vccz .LBB39_1835
; %bb.1828:
	v_and_b32_e32 v3, 0x7fffffff, v4
	s_waitcnt vmcnt(0)
	v_mov_b32_e32 v5, 0x80
	s_mov_b32 s1, exec_lo
	s_delay_alu instid0(VALU_DEP_2)
	v_cmpx_gt_u32_e32 0x47800000, v3
	s_cbranch_execz .LBB39_1834
; %bb.1829:
	v_cmp_lt_u32_e32 vcc_lo, 0x37ffffff, v3
	s_mov_b32 s3, 0
                                        ; implicit-def: $vgpr3
	s_and_saveexec_b32 s6, vcc_lo
	s_delay_alu instid0(SALU_CYCLE_1)
	s_xor_b32 s6, exec_lo, s6
	s_cbranch_execz .LBB39_1923
; %bb.1830:
	v_bfe_u32 v3, v4, 21, 1
	s_mov_b32 s3, exec_lo
	s_delay_alu instid0(VALU_DEP_1) | instskip(NEXT) | instid1(VALU_DEP_1)
	v_add3_u32 v3, v4, v3, 0x88fffff
	v_lshrrev_b32_e32 v3, 21, v3
	s_or_saveexec_b32 s6, s6
                                        ; implicit-def: $sgpr7
	s_delay_alu instid0(SALU_CYCLE_1)
	s_xor_b32 exec_lo, exec_lo, s6
	s_cbranch_execnz .LBB39_1924
.LBB39_1831:
	s_or_b32 exec_lo, exec_lo, s6
	v_mov_b32_e32 v5, s7
	s_and_saveexec_b32 s6, s3
.LBB39_1832:
	v_lshrrev_b32_e32 v5, 24, v4
	s_delay_alu instid0(VALU_DEP_1)
	v_and_or_b32 v5, 0x80, v5, v3
.LBB39_1833:
	s_or_b32 exec_lo, exec_lo, s6
.LBB39_1834:
	s_delay_alu instid0(SALU_CYCLE_1)
	s_or_b32 exec_lo, exec_lo, s1
	s_mov_b32 s1, 0
	global_store_b8 v[10:11], v5, off
.LBB39_1835:
	s_and_b32 vcc_lo, exec_lo, s1
	s_cbranch_vccz .LBB39_1845
; %bb.1836:
	s_waitcnt vmcnt(0)
	v_and_b32_e32 v5, 0x7fffffff, v4
	s_mov_b32 s1, exec_lo
                                        ; implicit-def: $vgpr3
	s_delay_alu instid0(VALU_DEP_1)
	v_cmpx_gt_u32_e32 0x43f00000, v5
	s_xor_b32 s1, exec_lo, s1
	s_cbranch_execz .LBB39_1842
; %bb.1837:
	s_mov_b32 s3, exec_lo
                                        ; implicit-def: $vgpr3
	v_cmpx_lt_u32_e32 0x3c7fffff, v5
	s_xor_b32 s3, exec_lo, s3
; %bb.1838:
	v_bfe_u32 v3, v4, 20, 1
	s_delay_alu instid0(VALU_DEP_1) | instskip(NEXT) | instid1(VALU_DEP_1)
	v_add3_u32 v3, v4, v3, 0x407ffff
	v_and_b32_e32 v5, 0xff00000, v3
	v_lshrrev_b32_e32 v3, 20, v3
	s_delay_alu instid0(VALU_DEP_2) | instskip(NEXT) | instid1(VALU_DEP_2)
	v_cmp_ne_u32_e32 vcc_lo, 0x7f00000, v5
	v_cndmask_b32_e32 v3, 0x7e, v3, vcc_lo
; %bb.1839:
	s_and_not1_saveexec_b32 s3, s3
; %bb.1840:
	v_add_f32_e64 v3, 0x46800000, |v4|
; %bb.1841:
	s_or_b32 exec_lo, exec_lo, s3
                                        ; implicit-def: $vgpr5
.LBB39_1842:
	s_and_not1_saveexec_b32 s1, s1
; %bb.1843:
	v_mov_b32_e32 v3, 0x7f
	v_cmp_lt_u32_e32 vcc_lo, 0x7f800000, v5
	s_delay_alu instid0(VALU_DEP_2)
	v_cndmask_b32_e32 v3, 0x7e, v3, vcc_lo
; %bb.1844:
	s_or_b32 exec_lo, exec_lo, s1
	v_lshrrev_b32_e32 v5, 24, v4
	s_delay_alu instid0(VALU_DEP_1)
	v_and_or_b32 v3, 0x80, v5, v3
	global_store_b8 v[10:11], v3, off
.LBB39_1845:
	s_mov_b32 s1, 0
.LBB39_1846:
	s_delay_alu instid0(SALU_CYCLE_1)
	s_and_not1_b32 vcc_lo, exec_lo, s1
	s_cbranch_vccnz .LBB39_1856
; %bb.1847:
	s_waitcnt vmcnt(0)
	v_and_b32_e32 v5, 0x7fffffff, v4
	s_mov_b32 s1, exec_lo
                                        ; implicit-def: $vgpr3
	s_delay_alu instid0(VALU_DEP_1)
	v_cmpx_gt_u32_e32 0x47800000, v5
	s_xor_b32 s1, exec_lo, s1
	s_cbranch_execz .LBB39_1853
; %bb.1848:
	s_mov_b32 s3, exec_lo
                                        ; implicit-def: $vgpr3
	v_cmpx_lt_u32_e32 0x387fffff, v5
	s_xor_b32 s3, exec_lo, s3
; %bb.1849:
	v_bfe_u32 v3, v4, 21, 1
	s_delay_alu instid0(VALU_DEP_1) | instskip(NEXT) | instid1(VALU_DEP_1)
	v_add3_u32 v3, v4, v3, 0x80fffff
	v_lshrrev_b32_e32 v3, 21, v3
; %bb.1850:
	s_and_not1_saveexec_b32 s3, s3
; %bb.1851:
	v_add_f32_e64 v3, 0x43000000, |v4|
; %bb.1852:
	s_or_b32 exec_lo, exec_lo, s3
                                        ; implicit-def: $vgpr5
.LBB39_1853:
	s_and_not1_saveexec_b32 s1, s1
; %bb.1854:
	v_mov_b32_e32 v3, 0x7f
	v_cmp_lt_u32_e32 vcc_lo, 0x7f800000, v5
	s_delay_alu instid0(VALU_DEP_2)
	v_cndmask_b32_e32 v3, 0x7c, v3, vcc_lo
; %bb.1855:
	s_or_b32 exec_lo, exec_lo, s1
	v_lshrrev_b32_e32 v5, 24, v4
	s_delay_alu instid0(VALU_DEP_1)
	v_and_or_b32 v3, 0x80, v5, v3
	global_store_b8 v[10:11], v3, off
.LBB39_1856:
	s_mov_b32 s1, 0
	s_mov_b32 s3, -1
.LBB39_1857:
	s_and_not1_b32 vcc_lo, exec_lo, s1
	s_mov_b32 s1, 0
	s_cbranch_vccnz .LBB39_1864
; %bb.1858:
	v_cmp_gt_i16_e64 s1, s2, 14
	s_delay_alu instid0(VALU_DEP_1)
	s_and_b32 vcc_lo, exec_lo, s1
	s_mov_b32 s1, -1
	s_cbranch_vccz .LBB39_1862
; %bb.1859:
	v_cmp_eq_u16_e64 s0, s2, 15
	s_delay_alu instid0(VALU_DEP_1)
	s_and_b32 vcc_lo, exec_lo, s0
	s_mov_b32 s0, -1
	s_cbranch_vccz .LBB39_1861
; %bb.1860:
	v_bfe_u32 v3, v4, 16, 1
	v_cmp_o_f32_e32 vcc_lo, v4, v4
	s_mov_b32 s0, 0
	s_mov_b32 s3, -1
	s_delay_alu instid0(VALU_DEP_2) | instskip(NEXT) | instid1(VALU_DEP_1)
	v_add3_u32 v3, v4, v3, 0x7fff
	v_lshrrev_b32_e32 v3, 16, v3
	s_delay_alu instid0(VALU_DEP_1)
	v_cndmask_b32_e32 v3, 0x7fc0, v3, vcc_lo
	global_store_b16 v[10:11], v3, off
.LBB39_1861:
	s_mov_b32 s1, 0
.LBB39_1862:
	s_delay_alu instid0(SALU_CYCLE_1)
	s_and_b32 vcc_lo, exec_lo, s1
	s_mov_b32 s1, 0
	s_cbranch_vccz .LBB39_1864
; %bb.1863:
	v_cmp_ne_u16_e64 s0, s2, 11
	s_mov_b32 s1, -1
.LBB39_1864:
	s_delay_alu instid0(VALU_DEP_1)
	s_and_b32 vcc_lo, exec_lo, s0
	s_cbranch_vccnz .LBB39_1921
; %bb.1865:
	s_and_not1_b32 vcc_lo, exec_lo, s1
	s_cbranch_vccnz .LBB39_1867
.LBB39_1866:
	v_cmp_neq_f32_e32 vcc_lo, 0, v4
	s_mov_b32 s3, -1
	v_cndmask_b32_e64 v3, 0, 1, vcc_lo
	global_store_b8 v[10:11], v3, off
.LBB39_1867:
	s_mov_b32 s0, 0
.LBB39_1868:
	s_delay_alu instid0(SALU_CYCLE_1)
	s_and_b32 vcc_lo, exec_lo, s0
	s_cbranch_vccz .LBB39_1907
; %bb.1869:
	v_cmp_lt_i16_e64 s0, s2, 5
	s_delay_alu instid0(VALU_DEP_1)
	s_and_b32 vcc_lo, exec_lo, s0
	s_mov_b32 s0, -1
	s_cbranch_vccnz .LBB39_1890
; %bb.1870:
	v_cmp_lt_i16_e64 s0, s2, 8
	s_delay_alu instid0(VALU_DEP_1)
	s_and_b32 vcc_lo, exec_lo, s0
	s_mov_b32 s0, -1
	s_cbranch_vccnz .LBB39_1880
	;; [unrolled: 6-line block ×3, first 2 shown]
; %bb.1872:
	v_cmp_gt_i16_e64 s0, s2, 9
	s_delay_alu instid0(VALU_DEP_1)
	s_and_b32 vcc_lo, exec_lo, s0
	s_mov_b32 s0, -1
	s_cbranch_vccz .LBB39_1874
; %bb.1873:
	s_waitcnt vmcnt(0)
	v_cvt_f64_f32_e32 v[12:13], v4
	v_mov_b32_e32 v14, 0
	s_mov_b32 s0, 0
	s_delay_alu instid0(VALU_DEP_1)
	v_mov_b32_e32 v15, v14
	global_store_b128 v[10:11], v[12:15], off
.LBB39_1874:
	s_and_not1_b32 vcc_lo, exec_lo, s0
	s_cbranch_vccnz .LBB39_1876
; %bb.1875:
	s_waitcnt vmcnt(0)
	v_mov_b32_e32 v5, 0
	global_store_b64 v[10:11], v[4:5], off
.LBB39_1876:
	s_mov_b32 s0, 0
.LBB39_1877:
	s_delay_alu instid0(SALU_CYCLE_1)
	s_and_not1_b32 vcc_lo, exec_lo, s0
	s_cbranch_vccnz .LBB39_1879
; %bb.1878:
	v_cvt_f16_f32_e32 v3, v4
	s_delay_alu instid0(VALU_DEP_1)
	v_and_b32_e32 v3, 0xffff, v3
	global_store_b32 v[10:11], v3, off
.LBB39_1879:
	s_mov_b32 s0, 0
.LBB39_1880:
	s_delay_alu instid0(SALU_CYCLE_1)
	s_and_not1_b32 vcc_lo, exec_lo, s0
	s_cbranch_vccnz .LBB39_1889
; %bb.1881:
	v_cmp_lt_i16_e64 s0, s2, 6
	s_delay_alu instid0(VALU_DEP_1)
	s_and_b32 vcc_lo, exec_lo, s0
	s_mov_b32 s0, -1
	s_cbranch_vccnz .LBB39_1887
; %bb.1882:
	v_cmp_gt_i16_e64 s0, s2, 6
	s_delay_alu instid0(VALU_DEP_1)
	s_and_b32 vcc_lo, exec_lo, s0
	s_mov_b32 s0, -1
	s_cbranch_vccz .LBB39_1884
; %bb.1883:
	s_waitcnt vmcnt(0)
	v_cvt_f64_f32_e32 v[12:13], v4
	s_mov_b32 s0, 0
	global_store_b64 v[10:11], v[12:13], off
.LBB39_1884:
	s_and_not1_b32 vcc_lo, exec_lo, s0
	s_cbranch_vccnz .LBB39_1886
; %bb.1885:
	global_store_b32 v[10:11], v4, off
.LBB39_1886:
	s_mov_b32 s0, 0
.LBB39_1887:
	s_delay_alu instid0(SALU_CYCLE_1)
	s_and_not1_b32 vcc_lo, exec_lo, s0
	s_cbranch_vccnz .LBB39_1889
; %bb.1888:
	v_cvt_f16_f32_e32 v3, v4
	global_store_b16 v[10:11], v3, off
.LBB39_1889:
	s_mov_b32 s0, 0
.LBB39_1890:
	s_delay_alu instid0(SALU_CYCLE_1)
	s_and_not1_b32 vcc_lo, exec_lo, s0
	s_cbranch_vccnz .LBB39_1906
; %bb.1891:
	v_cmp_lt_i16_e64 s0, s2, 2
	s_delay_alu instid0(VALU_DEP_1)
	s_and_b32 vcc_lo, exec_lo, s0
	s_mov_b32 s0, -1
	s_cbranch_vccnz .LBB39_1901
; %bb.1892:
	v_cmp_lt_i16_e64 s0, s2, 3
	s_delay_alu instid0(VALU_DEP_1)
	s_and_b32 vcc_lo, exec_lo, s0
	s_mov_b32 s0, -1
	s_cbranch_vccnz .LBB39_1898
; %bb.1893:
	v_cmp_gt_i16_e64 s0, s2, 3
	s_delay_alu instid0(VALU_DEP_1)
	s_and_b32 vcc_lo, exec_lo, s0
	s_mov_b32 s0, -1
	s_cbranch_vccz .LBB39_1895
; %bb.1894:
	v_trunc_f32_e32 v3, v4
	s_mov_b32 s0, 0
	s_waitcnt vmcnt(0)
	s_delay_alu instid0(VALU_DEP_1) | instskip(NEXT) | instid1(VALU_DEP_1)
	v_mul_f32_e64 v5, 0x2f800000, |v3|
	v_floor_f32_e32 v5, v5
	s_delay_alu instid0(VALU_DEP_1) | instskip(SKIP_2) | instid1(VALU_DEP_3)
	v_fma_f32 v7, 0xcf800000, v5, |v3|
	v_ashrrev_i32_e32 v3, 31, v3
	v_cvt_u32_f32_e32 v5, v5
	v_cvt_u32_f32_e32 v7, v7
	s_delay_alu instid0(VALU_DEP_2) | instskip(NEXT) | instid1(VALU_DEP_2)
	v_xor_b32_e32 v5, v5, v3
	v_xor_b32_e32 v7, v7, v3
	s_delay_alu instid0(VALU_DEP_1) | instskip(NEXT) | instid1(VALU_DEP_3)
	v_sub_co_u32 v12, vcc_lo, v7, v3
	v_sub_co_ci_u32_e32 v13, vcc_lo, v5, v3, vcc_lo
	global_store_b64 v[10:11], v[12:13], off
.LBB39_1895:
	s_and_not1_b32 vcc_lo, exec_lo, s0
	s_cbranch_vccnz .LBB39_1897
; %bb.1896:
	v_cvt_i32_f32_e32 v3, v4
	global_store_b32 v[10:11], v3, off
.LBB39_1897:
	s_mov_b32 s0, 0
.LBB39_1898:
	s_delay_alu instid0(SALU_CYCLE_1)
	s_and_not1_b32 vcc_lo, exec_lo, s0
	s_cbranch_vccnz .LBB39_1900
; %bb.1899:
	v_cvt_i32_f32_e32 v3, v4
	global_store_b16 v[10:11], v3, off
.LBB39_1900:
	s_mov_b32 s0, 0
.LBB39_1901:
	s_delay_alu instid0(SALU_CYCLE_1)
	s_and_not1_b32 vcc_lo, exec_lo, s0
	s_cbranch_vccnz .LBB39_1906
; %bb.1902:
	v_cmp_gt_i16_e64 s0, s2, 0
	s_delay_alu instid0(VALU_DEP_1)
	s_and_b32 vcc_lo, exec_lo, s0
	s_mov_b32 s0, -1
	s_cbranch_vccz .LBB39_1904
; %bb.1903:
	v_cvt_i32_f32_e32 v3, v4
	s_mov_b32 s0, 0
	global_store_b8 v[10:11], v3, off
.LBB39_1904:
	s_and_not1_b32 vcc_lo, exec_lo, s0
	s_cbranch_vccnz .LBB39_1906
; %bb.1905:
	v_trunc_f32_e32 v3, v4
	s_delay_alu instid0(VALU_DEP_1) | instskip(NEXT) | instid1(VALU_DEP_1)
	v_mul_f32_e64 v4, 0x2f800000, |v3|
	v_floor_f32_e32 v4, v4
	s_delay_alu instid0(VALU_DEP_1) | instskip(SKIP_1) | instid1(VALU_DEP_2)
	v_fma_f32 v4, 0xcf800000, v4, |v3|
	v_ashrrev_i32_e32 v3, 31, v3
	v_cvt_u32_f32_e32 v4, v4
	s_delay_alu instid0(VALU_DEP_1) | instskip(NEXT) | instid1(VALU_DEP_1)
	v_xor_b32_e32 v4, v4, v3
	v_sub_nc_u32_e32 v3, v4, v3
	global_store_b8 v[10:11], v3, off
.LBB39_1906:
	s_mov_b32 s3, -1
.LBB39_1907:
	s_delay_alu instid0(SALU_CYCLE_1)
	s_and_not1_b32 vcc_lo, exec_lo, s3
	s_cbranch_vccnz .LBB39_2174
; %bb.1908:
	v_cmp_lt_i16_e64 s0, s2, 11
	v_add_co_u32 v2, s1, s4, v2
	s_delay_alu instid0(VALU_DEP_1) | instskip(SKIP_1) | instid1(VALU_DEP_3)
	v_add_co_ci_u32_e64 v3, null, s5, 0, s1
	s_mov_b32 s3, 0
	s_and_b32 vcc_lo, exec_lo, s0
	s_mov_b32 s0, -1
	s_cbranch_vccnz .LBB39_1997
; %bb.1909:
	v_cmp_gt_i16_e64 s0, s2, 25
	s_mov_b32 s6, -1
	s_mov_b32 s1, 0
	s_delay_alu instid0(VALU_DEP_1)
	s_and_b32 vcc_lo, exec_lo, s0
	s_mov_b32 s0, 0
	s_cbranch_vccz .LBB39_1953
; %bb.1910:
	v_cmp_gt_i16_e64 s0, s2, 28
	s_delay_alu instid0(VALU_DEP_1)
	s_and_b32 vcc_lo, exec_lo, s0
	s_cbranch_vccz .LBB39_1915
; %bb.1911:
	v_cmp_gt_i16_e64 s0, s2, 43
	s_delay_alu instid0(VALU_DEP_1)
	s_and_b32 vcc_lo, exec_lo, s0
	;; [unrolled: 5-line block ×3, first 2 shown]
	s_cbranch_vccz .LBB39_1925
; %bb.1913:
	v_cmp_eq_u16_e64 s3, s2, 46
	s_mov_b32 s0, -1
	s_mov_b32 s6, 0
	s_delay_alu instid0(VALU_DEP_1)
	s_and_b32 vcc_lo, exec_lo, s3
	s_mov_b32 s3, 0
	s_cbranch_vccz .LBB39_1926
; %bb.1914:
	v_bfe_u32 v4, v6, 16, 1
	v_cmp_o_f32_e32 vcc_lo, v6, v6
	s_mov_b32 s0, 0
	s_mov_b32 s3, -1
	s_delay_alu instid0(VALU_DEP_2) | instskip(NEXT) | instid1(VALU_DEP_1)
	v_add3_u32 v4, v6, v4, 0x7fff
	v_lshrrev_b32_e32 v4, 16, v4
	s_delay_alu instid0(VALU_DEP_1)
	v_cndmask_b32_e32 v4, 0x7fc0, v4, vcc_lo
	global_store_b32 v[2:3], v4, off
	s_branch .LBB39_1926
.LBB39_1915:
	s_mov_b32 s0, 0
	s_branch .LBB39_1936
.LBB39_1916:
	s_or_saveexec_b32 s7, s7
                                        ; implicit-def: $sgpr8
	s_delay_alu instid0(SALU_CYCLE_1)
	s_xor_b32 exec_lo, exec_lo, s7
	s_cbranch_execz .LBB39_1818
.LBB39_1917:
	v_add_f32_e64 v3, 0x46000000, |v4|
	s_and_not1_b32 s6, s6, exec_lo
	s_mov_b32 s8, 0
	s_delay_alu instid0(VALU_DEP_1) | instskip(NEXT) | instid1(VALU_DEP_1)
	v_and_b32_e32 v3, 0xff, v3
	v_cmp_ne_u32_e32 vcc_lo, 0, v3
	s_and_b32 s9, vcc_lo, exec_lo
	s_delay_alu instid0(SALU_CYCLE_1)
	s_or_b32 s6, s6, s9
	s_or_b32 exec_lo, exec_lo, s7
	v_mov_b32_e32 v5, s8
	s_and_saveexec_b32 s7, s6
	s_cbranch_execnz .LBB39_1819
	s_branch .LBB39_1820
.LBB39_1918:
	s_mov_b32 s0, 0
	s_branch .LBB39_1932
.LBB39_1919:
	s_trap 2
	s_sendmsg_rtn_b32 s0, sendmsg(MSG_RTN_GET_DOORBELL)
	s_mov_b32 ttmp2, m0
	s_waitcnt lgkmcnt(0)
	s_and_b32 s0, s0, 0x3ff
	s_delay_alu instid0(SALU_CYCLE_1) | instskip(NEXT) | instid1(SALU_CYCLE_1)
	s_bitset1_b32 s0, 10
	s_mov_b32 m0, s0
	s_sendmsg sendmsg(MSG_INTERRUPT)
	s_mov_b32 m0, ttmp2
.LBB39_1920:                            ; =>This Inner Loop Header: Depth=1
	s_sethalt 5
	s_branch .LBB39_1920
.LBB39_1921:
	s_cbranch_execnz .LBB39_2048
; %bb.1922:
	s_or_b32 s12, s12, exec_lo
	s_cbranch_execz .LBB39_1866
	s_branch .LBB39_1867
.LBB39_1923:
	s_or_saveexec_b32 s6, s6
                                        ; implicit-def: $sgpr7
	s_delay_alu instid0(SALU_CYCLE_1)
	s_xor_b32 exec_lo, exec_lo, s6
	s_cbranch_execz .LBB39_1831
.LBB39_1924:
	v_add_f32_e64 v3, 0x42800000, |v4|
	s_and_not1_b32 s3, s3, exec_lo
	s_mov_b32 s7, 0
	s_delay_alu instid0(VALU_DEP_1) | instskip(NEXT) | instid1(VALU_DEP_1)
	v_and_b32_e32 v3, 0xff, v3
	v_cmp_ne_u32_e32 vcc_lo, 0, v3
	s_and_b32 s8, vcc_lo, exec_lo
	s_delay_alu instid0(SALU_CYCLE_1)
	s_or_b32 s3, s3, s8
	s_or_b32 exec_lo, exec_lo, s6
	v_mov_b32_e32 v5, s7
	s_and_saveexec_b32 s6, s3
	s_cbranch_execnz .LBB39_1832
	s_branch .LBB39_1833
.LBB39_1925:
	s_mov_b32 s0, 0
.LBB39_1926:
	s_and_b32 vcc_lo, exec_lo, s6
	s_cbranch_vccz .LBB39_1931
; %bb.1927:
	v_cmp_eq_u16_e64 s0, s2, 44
	s_delay_alu instid0(VALU_DEP_1)
	s_and_b32 vcc_lo, exec_lo, s0
	s_mov_b32 s0, -1
	s_cbranch_vccz .LBB39_1931
; %bb.1928:
	s_waitcnt vmcnt(0)
	v_bfe_u32 v5, v6, 23, 8
	v_mov_b32_e32 v4, 0xff
	s_mov_b32 s3, exec_lo
	s_delay_alu instid0(VALU_DEP_2)
	v_cmpx_ne_u32_e32 0xff, v5
; %bb.1929:
	v_and_b32_e32 v4, 0x400000, v6
	v_and_or_b32 v5, 0x3fffff, v6, v5
	s_delay_alu instid0(VALU_DEP_2) | instskip(NEXT) | instid1(VALU_DEP_2)
	v_cmp_ne_u32_e32 vcc_lo, 0, v4
	v_cmp_ne_u32_e64 s0, 0, v5
	v_lshrrev_b32_e32 v4, 23, v6
	s_delay_alu instid0(VALU_DEP_2) | instskip(NEXT) | instid1(SALU_CYCLE_1)
	s_and_b32 s0, vcc_lo, s0
	v_cndmask_b32_e64 v5, 0, 1, s0
	s_delay_alu instid0(VALU_DEP_1)
	v_add_nc_u32_e32 v4, v4, v5
; %bb.1930:
	s_or_b32 exec_lo, exec_lo, s3
	s_mov_b32 s0, 0
	s_mov_b32 s3, -1
	global_store_b8 v[2:3], v4, off
.LBB39_1931:
	s_mov_b32 s6, 0
.LBB39_1932:
	s_delay_alu instid0(SALU_CYCLE_1)
	s_and_b32 vcc_lo, exec_lo, s6
	s_cbranch_vccz .LBB39_1935
; %bb.1933:
	v_cmp_eq_u16_e64 s0, s2, 29
	s_delay_alu instid0(VALU_DEP_1)
	s_and_b32 vcc_lo, exec_lo, s0
	s_mov_b32 s0, -1
	s_cbranch_vccz .LBB39_1935
; %bb.1934:
	v_trunc_f32_e32 v4, v6
	s_mov_b32 s0, 0
	s_mov_b32 s3, -1
	s_mov_b32 s6, 0
	s_waitcnt vmcnt(0)
	v_mul_f32_e32 v5, 0x2f800000, v4
	s_delay_alu instid0(VALU_DEP_1) | instskip(NEXT) | instid1(VALU_DEP_1)
	v_floor_f32_e32 v5, v5
	v_fmamk_f32 v4, v5, 0xcf800000, v4
	v_cvt_u32_f32_e32 v5, v5
	s_delay_alu instid0(VALU_DEP_2)
	v_cvt_u32_f32_e32 v4, v4
	global_store_b64 v[2:3], v[4:5], off
	s_branch .LBB39_1936
.LBB39_1935:
	s_mov_b32 s6, 0
.LBB39_1936:
	s_delay_alu instid0(SALU_CYCLE_1)
	s_and_b32 vcc_lo, exec_lo, s6
	s_cbranch_vccz .LBB39_1952
; %bb.1937:
	v_cmp_lt_i16_e64 s3, s2, 27
	s_delay_alu instid0(VALU_DEP_1)
	s_and_b32 vcc_lo, exec_lo, s3
	s_mov_b32 s3, -1
	s_cbranch_vccnz .LBB39_1943
; %bb.1938:
	v_cmp_gt_i16_e64 s3, s2, 27
	v_cvt_u32_f32_e32 v4, v6
	s_delay_alu instid0(VALU_DEP_2)
	s_and_b32 vcc_lo, exec_lo, s3
	s_mov_b32 s3, -1
	s_cbranch_vccz .LBB39_1940
; %bb.1939:
	s_mov_b32 s3, 0
	global_store_b32 v[2:3], v4, off
.LBB39_1940:
	s_and_not1_b32 vcc_lo, exec_lo, s3
	s_cbranch_vccnz .LBB39_1942
; %bb.1941:
	global_store_b16 v[2:3], v4, off
.LBB39_1942:
	s_mov_b32 s3, 0
.LBB39_1943:
	s_delay_alu instid0(SALU_CYCLE_1)
	s_and_not1_b32 vcc_lo, exec_lo, s3
	s_cbranch_vccnz .LBB39_1951
; %bb.1944:
	v_and_b32_e32 v4, 0x7fffffff, v6
	s_waitcnt vmcnt(0)
	v_mov_b32_e32 v5, 0x80
	s_mov_b32 s3, exec_lo
	s_delay_alu instid0(VALU_DEP_2)
	v_cmpx_gt_u32_e32 0x43800000, v4
	s_cbranch_execz .LBB39_1950
; %bb.1945:
	v_cmp_lt_u32_e32 vcc_lo, 0x3bffffff, v4
	s_mov_b32 s6, 0
                                        ; implicit-def: $vgpr4
	s_and_saveexec_b32 s7, vcc_lo
	s_delay_alu instid0(SALU_CYCLE_1)
	s_xor_b32 s7, exec_lo, s7
	s_cbranch_execz .LBB39_2045
; %bb.1946:
	v_bfe_u32 v4, v6, 20, 1
	s_mov_b32 s6, exec_lo
	s_delay_alu instid0(VALU_DEP_1) | instskip(NEXT) | instid1(VALU_DEP_1)
	v_add3_u32 v4, v6, v4, 0x487ffff
	v_lshrrev_b32_e32 v4, 20, v4
	s_or_saveexec_b32 s7, s7
                                        ; implicit-def: $sgpr8
	s_delay_alu instid0(SALU_CYCLE_1)
	s_xor_b32 exec_lo, exec_lo, s7
	s_cbranch_execnz .LBB39_2046
.LBB39_1947:
	s_or_b32 exec_lo, exec_lo, s7
	v_mov_b32_e32 v5, s8
	s_and_saveexec_b32 s7, s6
.LBB39_1948:
	v_lshrrev_b32_e32 v5, 24, v6
	s_delay_alu instid0(VALU_DEP_1)
	v_and_or_b32 v5, 0x80, v5, v4
.LBB39_1949:
	s_or_b32 exec_lo, exec_lo, s7
.LBB39_1950:
	s_delay_alu instid0(SALU_CYCLE_1)
	s_or_b32 exec_lo, exec_lo, s3
	global_store_b8 v[2:3], v5, off
.LBB39_1951:
	s_mov_b32 s3, -1
.LBB39_1952:
	s_mov_b32 s6, 0
.LBB39_1953:
	s_delay_alu instid0(SALU_CYCLE_1)
	s_and_b32 vcc_lo, exec_lo, s6
	s_cbranch_vccz .LBB39_1993
; %bb.1954:
	v_cmp_gt_i16_e64 s1, s2, 22
	s_delay_alu instid0(VALU_DEP_1)
	s_and_b32 vcc_lo, exec_lo, s1
	s_mov_b32 s1, -1
	s_cbranch_vccz .LBB39_1986
; %bb.1955:
	v_cmp_lt_i16_e64 s1, s2, 24
	s_delay_alu instid0(VALU_DEP_1)
	s_and_b32 vcc_lo, exec_lo, s1
	s_mov_b32 s1, -1
	s_cbranch_vccnz .LBB39_1975
; %bb.1956:
	v_cmp_gt_i16_e64 s1, s2, 24
	s_delay_alu instid0(VALU_DEP_1)
	s_and_b32 vcc_lo, exec_lo, s1
	s_mov_b32 s1, -1
	s_cbranch_vccz .LBB39_1964
; %bb.1957:
	v_and_b32_e32 v4, 0x7fffffff, v6
	s_waitcnt vmcnt(0)
	v_mov_b32_e32 v5, 0x80
	s_mov_b32 s1, exec_lo
	s_delay_alu instid0(VALU_DEP_2)
	v_cmpx_gt_u32_e32 0x47800000, v4
	s_cbranch_execz .LBB39_1963
; %bb.1958:
	v_cmp_lt_u32_e32 vcc_lo, 0x37ffffff, v4
	s_mov_b32 s3, 0
                                        ; implicit-def: $vgpr4
	s_and_saveexec_b32 s6, vcc_lo
	s_delay_alu instid0(SALU_CYCLE_1)
	s_xor_b32 s6, exec_lo, s6
	s_cbranch_execz .LBB39_2052
; %bb.1959:
	v_bfe_u32 v4, v6, 21, 1
	s_mov_b32 s3, exec_lo
	s_delay_alu instid0(VALU_DEP_1) | instskip(NEXT) | instid1(VALU_DEP_1)
	v_add3_u32 v4, v6, v4, 0x88fffff
	v_lshrrev_b32_e32 v4, 21, v4
	s_or_saveexec_b32 s6, s6
                                        ; implicit-def: $sgpr7
	s_delay_alu instid0(SALU_CYCLE_1)
	s_xor_b32 exec_lo, exec_lo, s6
	s_cbranch_execnz .LBB39_2053
.LBB39_1960:
	s_or_b32 exec_lo, exec_lo, s6
	v_mov_b32_e32 v5, s7
	s_and_saveexec_b32 s6, s3
.LBB39_1961:
	v_lshrrev_b32_e32 v5, 24, v6
	s_delay_alu instid0(VALU_DEP_1)
	v_and_or_b32 v5, 0x80, v5, v4
.LBB39_1962:
	s_or_b32 exec_lo, exec_lo, s6
.LBB39_1963:
	s_delay_alu instid0(SALU_CYCLE_1)
	s_or_b32 exec_lo, exec_lo, s1
	s_mov_b32 s1, 0
	global_store_b8 v[2:3], v5, off
.LBB39_1964:
	s_and_b32 vcc_lo, exec_lo, s1
	s_cbranch_vccz .LBB39_1974
; %bb.1965:
	s_waitcnt vmcnt(0)
	v_and_b32_e32 v5, 0x7fffffff, v6
	s_mov_b32 s1, exec_lo
                                        ; implicit-def: $vgpr4
	s_delay_alu instid0(VALU_DEP_1)
	v_cmpx_gt_u32_e32 0x43f00000, v5
	s_xor_b32 s1, exec_lo, s1
	s_cbranch_execz .LBB39_1971
; %bb.1966:
	s_mov_b32 s3, exec_lo
                                        ; implicit-def: $vgpr4
	v_cmpx_lt_u32_e32 0x3c7fffff, v5
	s_xor_b32 s3, exec_lo, s3
; %bb.1967:
	v_bfe_u32 v4, v6, 20, 1
	s_delay_alu instid0(VALU_DEP_1) | instskip(NEXT) | instid1(VALU_DEP_1)
	v_add3_u32 v4, v6, v4, 0x407ffff
	v_and_b32_e32 v5, 0xff00000, v4
	v_lshrrev_b32_e32 v4, 20, v4
	s_delay_alu instid0(VALU_DEP_2) | instskip(NEXT) | instid1(VALU_DEP_2)
	v_cmp_ne_u32_e32 vcc_lo, 0x7f00000, v5
	v_cndmask_b32_e32 v4, 0x7e, v4, vcc_lo
; %bb.1968:
	s_and_not1_saveexec_b32 s3, s3
; %bb.1969:
	v_add_f32_e64 v4, 0x46800000, |v6|
; %bb.1970:
	s_or_b32 exec_lo, exec_lo, s3
                                        ; implicit-def: $vgpr5
.LBB39_1971:
	s_and_not1_saveexec_b32 s1, s1
; %bb.1972:
	v_mov_b32_e32 v4, 0x7f
	v_cmp_lt_u32_e32 vcc_lo, 0x7f800000, v5
	s_delay_alu instid0(VALU_DEP_2)
	v_cndmask_b32_e32 v4, 0x7e, v4, vcc_lo
; %bb.1973:
	s_or_b32 exec_lo, exec_lo, s1
	v_lshrrev_b32_e32 v5, 24, v6
	s_delay_alu instid0(VALU_DEP_1)
	v_and_or_b32 v4, 0x80, v5, v4
	global_store_b8 v[2:3], v4, off
.LBB39_1974:
	s_mov_b32 s1, 0
.LBB39_1975:
	s_delay_alu instid0(SALU_CYCLE_1)
	s_and_not1_b32 vcc_lo, exec_lo, s1
	s_cbranch_vccnz .LBB39_1985
; %bb.1976:
	s_waitcnt vmcnt(0)
	v_and_b32_e32 v5, 0x7fffffff, v6
	s_mov_b32 s1, exec_lo
                                        ; implicit-def: $vgpr4
	s_delay_alu instid0(VALU_DEP_1)
	v_cmpx_gt_u32_e32 0x47800000, v5
	s_xor_b32 s1, exec_lo, s1
	s_cbranch_execz .LBB39_1982
; %bb.1977:
	s_mov_b32 s3, exec_lo
                                        ; implicit-def: $vgpr4
	v_cmpx_lt_u32_e32 0x387fffff, v5
	s_xor_b32 s3, exec_lo, s3
; %bb.1978:
	v_bfe_u32 v4, v6, 21, 1
	s_delay_alu instid0(VALU_DEP_1) | instskip(NEXT) | instid1(VALU_DEP_1)
	v_add3_u32 v4, v6, v4, 0x80fffff
	v_lshrrev_b32_e32 v4, 21, v4
; %bb.1979:
	s_and_not1_saveexec_b32 s3, s3
; %bb.1980:
	v_add_f32_e64 v4, 0x43000000, |v6|
; %bb.1981:
	s_or_b32 exec_lo, exec_lo, s3
                                        ; implicit-def: $vgpr5
.LBB39_1982:
	s_and_not1_saveexec_b32 s1, s1
; %bb.1983:
	v_mov_b32_e32 v4, 0x7f
	v_cmp_lt_u32_e32 vcc_lo, 0x7f800000, v5
	s_delay_alu instid0(VALU_DEP_2)
	v_cndmask_b32_e32 v4, 0x7c, v4, vcc_lo
; %bb.1984:
	s_or_b32 exec_lo, exec_lo, s1
	v_lshrrev_b32_e32 v5, 24, v6
	s_delay_alu instid0(VALU_DEP_1)
	v_and_or_b32 v4, 0x80, v5, v4
	global_store_b8 v[2:3], v4, off
.LBB39_1985:
	s_mov_b32 s1, 0
	s_mov_b32 s3, -1
.LBB39_1986:
	s_and_not1_b32 vcc_lo, exec_lo, s1
	s_mov_b32 s1, 0
	s_cbranch_vccnz .LBB39_1993
; %bb.1987:
	v_cmp_gt_i16_e64 s1, s2, 14
	s_delay_alu instid0(VALU_DEP_1)
	s_and_b32 vcc_lo, exec_lo, s1
	s_mov_b32 s1, -1
	s_cbranch_vccz .LBB39_1991
; %bb.1988:
	v_cmp_eq_u16_e64 s0, s2, 15
	s_delay_alu instid0(VALU_DEP_1)
	s_and_b32 vcc_lo, exec_lo, s0
	s_mov_b32 s0, -1
	s_cbranch_vccz .LBB39_1990
; %bb.1989:
	v_bfe_u32 v4, v6, 16, 1
	v_cmp_o_f32_e32 vcc_lo, v6, v6
	s_mov_b32 s0, 0
	s_mov_b32 s3, -1
	s_delay_alu instid0(VALU_DEP_2) | instskip(NEXT) | instid1(VALU_DEP_1)
	v_add3_u32 v4, v6, v4, 0x7fff
	v_lshrrev_b32_e32 v4, 16, v4
	s_delay_alu instid0(VALU_DEP_1)
	v_cndmask_b32_e32 v4, 0x7fc0, v4, vcc_lo
	global_store_b16 v[2:3], v4, off
.LBB39_1990:
	s_mov_b32 s1, 0
.LBB39_1991:
	s_delay_alu instid0(SALU_CYCLE_1)
	s_and_b32 vcc_lo, exec_lo, s1
	s_mov_b32 s1, 0
	s_cbranch_vccz .LBB39_1993
; %bb.1992:
	v_cmp_ne_u16_e64 s0, s2, 11
	s_mov_b32 s1, -1
.LBB39_1993:
	s_delay_alu instid0(VALU_DEP_1)
	s_and_b32 vcc_lo, exec_lo, s0
	s_cbranch_vccnz .LBB39_2050
; %bb.1994:
	s_and_not1_b32 vcc_lo, exec_lo, s1
	s_cbranch_vccnz .LBB39_1996
.LBB39_1995:
	v_cmp_neq_f32_e32 vcc_lo, 0, v6
	s_mov_b32 s3, -1
	v_cndmask_b32_e64 v4, 0, 1, vcc_lo
	global_store_b8 v[2:3], v4, off
.LBB39_1996:
	s_mov_b32 s0, 0
.LBB39_1997:
	s_delay_alu instid0(SALU_CYCLE_1)
	s_and_b32 vcc_lo, exec_lo, s0
	s_cbranch_vccz .LBB39_2036
; %bb.1998:
	v_cmp_lt_i16_e64 s0, s2, 5
	s_delay_alu instid0(VALU_DEP_1)
	s_and_b32 vcc_lo, exec_lo, s0
	s_mov_b32 s0, -1
	s_cbranch_vccnz .LBB39_2019
; %bb.1999:
	v_cmp_lt_i16_e64 s0, s2, 8
	s_delay_alu instid0(VALU_DEP_1)
	s_and_b32 vcc_lo, exec_lo, s0
	s_mov_b32 s0, -1
	s_cbranch_vccnz .LBB39_2009
; %bb.2000:
	v_cmp_lt_i16_e64 s0, s2, 9
	s_delay_alu instid0(VALU_DEP_1)
	s_and_b32 vcc_lo, exec_lo, s0
	s_mov_b32 s0, -1
	s_cbranch_vccnz .LBB39_2006
; %bb.2001:
	v_cmp_gt_i16_e64 s0, s2, 9
	s_delay_alu instid0(VALU_DEP_1)
	s_and_b32 vcc_lo, exec_lo, s0
	s_mov_b32 s0, -1
	s_cbranch_vccz .LBB39_2003
; %bb.2002:
	v_cvt_f64_f32_e32 v[10:11], v6
	s_waitcnt vmcnt(0)
	v_mov_b32_e32 v12, 0
	s_mov_b32 s0, 0
	s_delay_alu instid0(VALU_DEP_1)
	v_mov_b32_e32 v13, v12
	global_store_b128 v[2:3], v[10:13], off
.LBB39_2003:
	s_and_not1_b32 vcc_lo, exec_lo, s0
	s_cbranch_vccnz .LBB39_2005
; %bb.2004:
	v_mov_b32_e32 v7, 0
	global_store_b64 v[2:3], v[6:7], off
.LBB39_2005:
	s_mov_b32 s0, 0
.LBB39_2006:
	s_delay_alu instid0(SALU_CYCLE_1)
	s_and_not1_b32 vcc_lo, exec_lo, s0
	s_cbranch_vccnz .LBB39_2008
; %bb.2007:
	v_cvt_f16_f32_e32 v4, v6
	s_delay_alu instid0(VALU_DEP_1)
	v_and_b32_e32 v4, 0xffff, v4
	global_store_b32 v[2:3], v4, off
.LBB39_2008:
	s_mov_b32 s0, 0
.LBB39_2009:
	s_delay_alu instid0(SALU_CYCLE_1)
	s_and_not1_b32 vcc_lo, exec_lo, s0
	s_cbranch_vccnz .LBB39_2018
; %bb.2010:
	v_cmp_lt_i16_e64 s0, s2, 6
	s_delay_alu instid0(VALU_DEP_1)
	s_and_b32 vcc_lo, exec_lo, s0
	s_mov_b32 s0, -1
	s_cbranch_vccnz .LBB39_2016
; %bb.2011:
	v_cmp_gt_i16_e64 s0, s2, 6
	s_delay_alu instid0(VALU_DEP_1)
	s_and_b32 vcc_lo, exec_lo, s0
	s_mov_b32 s0, -1
	s_cbranch_vccz .LBB39_2013
; %bb.2012:
	s_waitcnt vmcnt(0)
	v_cvt_f64_f32_e32 v[4:5], v6
	s_mov_b32 s0, 0
	global_store_b64 v[2:3], v[4:5], off
.LBB39_2013:
	s_and_not1_b32 vcc_lo, exec_lo, s0
	s_cbranch_vccnz .LBB39_2015
; %bb.2014:
	global_store_b32 v[2:3], v6, off
.LBB39_2015:
	s_mov_b32 s0, 0
.LBB39_2016:
	s_delay_alu instid0(SALU_CYCLE_1)
	s_and_not1_b32 vcc_lo, exec_lo, s0
	s_cbranch_vccnz .LBB39_2018
; %bb.2017:
	v_cvt_f16_f32_e32 v4, v6
	global_store_b16 v[2:3], v4, off
.LBB39_2018:
	s_mov_b32 s0, 0
.LBB39_2019:
	s_delay_alu instid0(SALU_CYCLE_1)
	s_and_not1_b32 vcc_lo, exec_lo, s0
	s_cbranch_vccnz .LBB39_2035
; %bb.2020:
	v_cmp_lt_i16_e64 s0, s2, 2
	s_delay_alu instid0(VALU_DEP_1)
	s_and_b32 vcc_lo, exec_lo, s0
	s_mov_b32 s0, -1
	s_cbranch_vccnz .LBB39_2030
; %bb.2021:
	v_cmp_lt_i16_e64 s0, s2, 3
	s_delay_alu instid0(VALU_DEP_1)
	s_and_b32 vcc_lo, exec_lo, s0
	s_mov_b32 s0, -1
	s_cbranch_vccnz .LBB39_2027
; %bb.2022:
	v_cmp_gt_i16_e64 s0, s2, 3
	s_delay_alu instid0(VALU_DEP_1)
	s_and_b32 vcc_lo, exec_lo, s0
	s_mov_b32 s0, -1
	s_cbranch_vccz .LBB39_2024
; %bb.2023:
	v_trunc_f32_e32 v4, v6
	s_mov_b32 s0, 0
	s_waitcnt vmcnt(0)
	s_delay_alu instid0(VALU_DEP_1) | instskip(SKIP_1) | instid1(VALU_DEP_2)
	v_mul_f32_e64 v5, 0x2f800000, |v4|
	v_ashrrev_i32_e32 v10, 31, v4
	v_floor_f32_e32 v5, v5
	s_delay_alu instid0(VALU_DEP_1) | instskip(SKIP_1) | instid1(VALU_DEP_2)
	v_fma_f32 v7, 0xcf800000, v5, |v4|
	v_cvt_u32_f32_e32 v5, v5
	v_cvt_u32_f32_e32 v4, v7
	s_delay_alu instid0(VALU_DEP_2) | instskip(NEXT) | instid1(VALU_DEP_2)
	v_xor_b32_e32 v5, v5, v10
	v_xor_b32_e32 v4, v4, v10
	s_delay_alu instid0(VALU_DEP_1) | instskip(NEXT) | instid1(VALU_DEP_3)
	v_sub_co_u32 v4, vcc_lo, v4, v10
	v_sub_co_ci_u32_e32 v5, vcc_lo, v5, v10, vcc_lo
	global_store_b64 v[2:3], v[4:5], off
.LBB39_2024:
	s_and_not1_b32 vcc_lo, exec_lo, s0
	s_cbranch_vccnz .LBB39_2026
; %bb.2025:
	v_cvt_i32_f32_e32 v4, v6
	global_store_b32 v[2:3], v4, off
.LBB39_2026:
	s_mov_b32 s0, 0
.LBB39_2027:
	s_delay_alu instid0(SALU_CYCLE_1)
	s_and_not1_b32 vcc_lo, exec_lo, s0
	s_cbranch_vccnz .LBB39_2029
; %bb.2028:
	v_cvt_i32_f32_e32 v4, v6
	global_store_b16 v[2:3], v4, off
.LBB39_2029:
	s_mov_b32 s0, 0
.LBB39_2030:
	s_delay_alu instid0(SALU_CYCLE_1)
	s_and_not1_b32 vcc_lo, exec_lo, s0
	s_cbranch_vccnz .LBB39_2035
; %bb.2031:
	v_cmp_gt_i16_e64 s0, s2, 0
	s_delay_alu instid0(VALU_DEP_1)
	s_and_b32 vcc_lo, exec_lo, s0
	s_mov_b32 s0, -1
	s_cbranch_vccz .LBB39_2033
; %bb.2032:
	v_cvt_i32_f32_e32 v4, v6
	s_mov_b32 s0, 0
	global_store_b8 v[2:3], v4, off
.LBB39_2033:
	s_and_not1_b32 vcc_lo, exec_lo, s0
	s_cbranch_vccnz .LBB39_2035
; %bb.2034:
	v_trunc_f32_e32 v4, v6
	s_waitcnt vmcnt(0)
	s_delay_alu instid0(VALU_DEP_1) | instskip(NEXT) | instid1(VALU_DEP_1)
	v_mul_f32_e64 v5, 0x2f800000, |v4|
	v_floor_f32_e32 v5, v5
	s_delay_alu instid0(VALU_DEP_1) | instskip(SKIP_1) | instid1(VALU_DEP_2)
	v_fma_f32 v5, 0xcf800000, v5, |v4|
	v_ashrrev_i32_e32 v4, 31, v4
	v_cvt_u32_f32_e32 v5, v5
	s_delay_alu instid0(VALU_DEP_1) | instskip(NEXT) | instid1(VALU_DEP_1)
	v_xor_b32_e32 v5, v5, v4
	v_sub_nc_u32_e32 v4, v5, v4
	global_store_b8 v[2:3], v4, off
.LBB39_2035:
	s_mov_b32 s3, -1
.LBB39_2036:
	s_delay_alu instid0(SALU_CYCLE_1)
	s_and_not1_b32 vcc_lo, exec_lo, s3
	s_cbranch_vccnz .LBB39_2174
; %bb.2037:
	v_cmp_lt_i16_e64 s0, s2, 11
	v_add_co_u32 v1, s1, s4, v1
	s_delay_alu instid0(VALU_DEP_1) | instskip(SKIP_1) | instid1(VALU_DEP_3)
	v_add_co_ci_u32_e64 v2, null, s5, 0, s1
	s_mov_b32 s3, 0
	s_and_b32 vcc_lo, exec_lo, s0
	s_mov_b32 s0, -1
	s_cbranch_vccnz .LBB39_2126
; %bb.2038:
	v_cmp_gt_i16_e64 s0, s2, 25
	s_mov_b32 s6, -1
	s_mov_b32 s1, 0
	s_delay_alu instid0(VALU_DEP_1)
	s_and_b32 vcc_lo, exec_lo, s0
	s_mov_b32 s0, 0
	s_cbranch_vccz .LBB39_2082
; %bb.2039:
	v_cmp_gt_i16_e64 s0, s2, 28
	s_delay_alu instid0(VALU_DEP_1)
	s_and_b32 vcc_lo, exec_lo, s0
	s_cbranch_vccz .LBB39_2044
; %bb.2040:
	v_cmp_gt_i16_e64 s0, s2, 43
	s_delay_alu instid0(VALU_DEP_1)
	s_and_b32 vcc_lo, exec_lo, s0
	;; [unrolled: 5-line block ×3, first 2 shown]
	s_cbranch_vccz .LBB39_2054
; %bb.2042:
	v_cmp_eq_u16_e64 s3, s2, 46
	s_mov_b32 s0, -1
	s_mov_b32 s6, 0
	s_delay_alu instid0(VALU_DEP_1)
	s_and_b32 vcc_lo, exec_lo, s3
	s_mov_b32 s3, 0
	s_cbranch_vccz .LBB39_2055
; %bb.2043:
	v_bfe_u32 v3, v9, 16, 1
	v_cmp_o_f32_e32 vcc_lo, v9, v9
	s_mov_b32 s0, 0
	s_mov_b32 s3, -1
	s_delay_alu instid0(VALU_DEP_2) | instskip(NEXT) | instid1(VALU_DEP_1)
	v_add3_u32 v3, v9, v3, 0x7fff
	v_lshrrev_b32_e32 v3, 16, v3
	s_delay_alu instid0(VALU_DEP_1)
	v_cndmask_b32_e32 v3, 0x7fc0, v3, vcc_lo
	global_store_b32 v[1:2], v3, off
	s_branch .LBB39_2055
.LBB39_2044:
	s_mov_b32 s0, 0
	s_branch .LBB39_2065
.LBB39_2045:
	s_or_saveexec_b32 s7, s7
                                        ; implicit-def: $sgpr8
	s_delay_alu instid0(SALU_CYCLE_1)
	s_xor_b32 exec_lo, exec_lo, s7
	s_cbranch_execz .LBB39_1947
.LBB39_2046:
	v_add_f32_e64 v4, 0x46000000, |v6|
	s_and_not1_b32 s6, s6, exec_lo
	s_mov_b32 s8, 0
	s_delay_alu instid0(VALU_DEP_1) | instskip(NEXT) | instid1(VALU_DEP_1)
	v_and_b32_e32 v4, 0xff, v4
	v_cmp_ne_u32_e32 vcc_lo, 0, v4
	s_and_b32 s9, vcc_lo, exec_lo
	s_delay_alu instid0(SALU_CYCLE_1)
	s_or_b32 s6, s6, s9
	s_or_b32 exec_lo, exec_lo, s7
	v_mov_b32_e32 v5, s8
	s_and_saveexec_b32 s7, s6
	s_cbranch_execnz .LBB39_1948
	s_branch .LBB39_1949
.LBB39_2047:
	s_mov_b32 s0, 0
	s_branch .LBB39_2061
.LBB39_2048:
	s_trap 2
	s_sendmsg_rtn_b32 s0, sendmsg(MSG_RTN_GET_DOORBELL)
	s_mov_b32 ttmp2, m0
	s_waitcnt lgkmcnt(0)
	s_and_b32 s0, s0, 0x3ff
	s_delay_alu instid0(SALU_CYCLE_1) | instskip(NEXT) | instid1(SALU_CYCLE_1)
	s_bitset1_b32 s0, 10
	s_mov_b32 m0, s0
	s_sendmsg sendmsg(MSG_INTERRUPT)
	s_mov_b32 m0, ttmp2
.LBB39_2049:                            ; =>This Inner Loop Header: Depth=1
	s_sethalt 5
	s_branch .LBB39_2049
.LBB39_2050:
	s_cbranch_execnz .LBB39_2179
; %bb.2051:
	s_or_b32 s12, s12, exec_lo
	s_cbranch_execz .LBB39_1995
	s_branch .LBB39_1996
.LBB39_2052:
	s_or_saveexec_b32 s6, s6
                                        ; implicit-def: $sgpr7
	s_delay_alu instid0(SALU_CYCLE_1)
	s_xor_b32 exec_lo, exec_lo, s6
	s_cbranch_execz .LBB39_1960
.LBB39_2053:
	v_add_f32_e64 v4, 0x42800000, |v6|
	s_and_not1_b32 s3, s3, exec_lo
	s_mov_b32 s7, 0
	s_delay_alu instid0(VALU_DEP_1) | instskip(NEXT) | instid1(VALU_DEP_1)
	v_and_b32_e32 v4, 0xff, v4
	v_cmp_ne_u32_e32 vcc_lo, 0, v4
	s_and_b32 s8, vcc_lo, exec_lo
	s_delay_alu instid0(SALU_CYCLE_1)
	s_or_b32 s3, s3, s8
	s_or_b32 exec_lo, exec_lo, s6
	v_mov_b32_e32 v5, s7
	s_and_saveexec_b32 s6, s3
	s_cbranch_execnz .LBB39_1961
	s_branch .LBB39_1962
.LBB39_2054:
	s_mov_b32 s0, 0
.LBB39_2055:
	s_and_b32 vcc_lo, exec_lo, s6
	s_cbranch_vccz .LBB39_2060
; %bb.2056:
	v_cmp_eq_u16_e64 s0, s2, 44
	s_delay_alu instid0(VALU_DEP_1)
	s_and_b32 vcc_lo, exec_lo, s0
	s_mov_b32 s0, -1
	s_cbranch_vccz .LBB39_2060
; %bb.2057:
	v_bfe_u32 v4, v9, 23, 8
	v_mov_b32_e32 v3, 0xff
	s_mov_b32 s3, exec_lo
	s_delay_alu instid0(VALU_DEP_2)
	v_cmpx_ne_u32_e32 0xff, v4
; %bb.2058:
	v_and_b32_e32 v3, 0x400000, v9
	v_and_or_b32 v4, 0x3fffff, v9, v4
	s_delay_alu instid0(VALU_DEP_2) | instskip(NEXT) | instid1(VALU_DEP_2)
	v_cmp_ne_u32_e32 vcc_lo, 0, v3
	v_cmp_ne_u32_e64 s0, 0, v4
	v_lshrrev_b32_e32 v3, 23, v9
	s_delay_alu instid0(VALU_DEP_2) | instskip(NEXT) | instid1(SALU_CYCLE_1)
	s_and_b32 s0, vcc_lo, s0
	v_cndmask_b32_e64 v4, 0, 1, s0
	s_delay_alu instid0(VALU_DEP_1)
	v_add_nc_u32_e32 v3, v3, v4
; %bb.2059:
	s_or_b32 exec_lo, exec_lo, s3
	s_mov_b32 s0, 0
	s_mov_b32 s3, -1
	global_store_b8 v[1:2], v3, off
.LBB39_2060:
	s_mov_b32 s6, 0
.LBB39_2061:
	s_delay_alu instid0(SALU_CYCLE_1)
	s_and_b32 vcc_lo, exec_lo, s6
	s_cbranch_vccz .LBB39_2064
; %bb.2062:
	v_cmp_eq_u16_e64 s0, s2, 29
	s_delay_alu instid0(VALU_DEP_1)
	s_and_b32 vcc_lo, exec_lo, s0
	s_mov_b32 s0, -1
	s_cbranch_vccz .LBB39_2064
; %bb.2063:
	v_trunc_f32_e32 v3, v9
	s_mov_b32 s0, 0
	s_mov_b32 s3, -1
	s_mov_b32 s6, 0
	s_delay_alu instid0(VALU_DEP_1) | instskip(NEXT) | instid1(VALU_DEP_1)
	v_mul_f32_e32 v4, 0x2f800000, v3
	v_floor_f32_e32 v4, v4
	s_delay_alu instid0(VALU_DEP_1) | instskip(SKIP_1) | instid1(VALU_DEP_2)
	v_fmamk_f32 v3, v4, 0xcf800000, v3
	v_cvt_u32_f32_e32 v4, v4
	v_cvt_u32_f32_e32 v3, v3
	global_store_b64 v[1:2], v[3:4], off
	s_branch .LBB39_2065
.LBB39_2064:
	s_mov_b32 s6, 0
.LBB39_2065:
	s_delay_alu instid0(SALU_CYCLE_1)
	s_and_b32 vcc_lo, exec_lo, s6
	s_cbranch_vccz .LBB39_2081
; %bb.2066:
	v_cmp_lt_i16_e64 s3, s2, 27
	s_delay_alu instid0(VALU_DEP_1)
	s_and_b32 vcc_lo, exec_lo, s3
	s_mov_b32 s3, -1
	s_cbranch_vccnz .LBB39_2072
; %bb.2067:
	v_cmp_gt_i16_e64 s3, s2, 27
	v_cvt_u32_f32_e32 v3, v9
	s_delay_alu instid0(VALU_DEP_2)
	s_and_b32 vcc_lo, exec_lo, s3
	s_mov_b32 s3, -1
	s_cbranch_vccz .LBB39_2069
; %bb.2068:
	s_mov_b32 s3, 0
	global_store_b32 v[1:2], v3, off
.LBB39_2069:
	s_and_not1_b32 vcc_lo, exec_lo, s3
	s_cbranch_vccnz .LBB39_2071
; %bb.2070:
	global_store_b16 v[1:2], v3, off
.LBB39_2071:
	s_mov_b32 s3, 0
.LBB39_2072:
	s_delay_alu instid0(SALU_CYCLE_1)
	s_and_not1_b32 vcc_lo, exec_lo, s3
	s_cbranch_vccnz .LBB39_2080
; %bb.2073:
	v_and_b32_e32 v3, 0x7fffffff, v9
	v_mov_b32_e32 v4, 0x80
	s_mov_b32 s3, exec_lo
	s_delay_alu instid0(VALU_DEP_2)
	v_cmpx_gt_u32_e32 0x43800000, v3
	s_cbranch_execz .LBB39_2079
; %bb.2074:
	v_cmp_lt_u32_e32 vcc_lo, 0x3bffffff, v3
	s_mov_b32 s6, 0
                                        ; implicit-def: $vgpr3
	s_and_saveexec_b32 s7, vcc_lo
	s_delay_alu instid0(SALU_CYCLE_1)
	s_xor_b32 s7, exec_lo, s7
	s_cbranch_execz .LBB39_2176
; %bb.2075:
	v_bfe_u32 v3, v9, 20, 1
	s_mov_b32 s6, exec_lo
	s_delay_alu instid0(VALU_DEP_1) | instskip(NEXT) | instid1(VALU_DEP_1)
	v_add3_u32 v3, v9, v3, 0x487ffff
	v_lshrrev_b32_e32 v3, 20, v3
	s_or_saveexec_b32 s7, s7
                                        ; implicit-def: $sgpr8
	s_delay_alu instid0(SALU_CYCLE_1)
	s_xor_b32 exec_lo, exec_lo, s7
	s_cbranch_execnz .LBB39_2177
.LBB39_2076:
	s_or_b32 exec_lo, exec_lo, s7
	v_mov_b32_e32 v4, s8
	s_and_saveexec_b32 s7, s6
.LBB39_2077:
	v_lshrrev_b32_e32 v4, 24, v9
	s_delay_alu instid0(VALU_DEP_1)
	v_and_or_b32 v4, 0x80, v4, v3
.LBB39_2078:
	s_or_b32 exec_lo, exec_lo, s7
.LBB39_2079:
	s_delay_alu instid0(SALU_CYCLE_1)
	s_or_b32 exec_lo, exec_lo, s3
	global_store_b8 v[1:2], v4, off
.LBB39_2080:
	s_mov_b32 s3, -1
.LBB39_2081:
	s_mov_b32 s6, 0
.LBB39_2082:
	s_delay_alu instid0(SALU_CYCLE_1)
	s_and_b32 vcc_lo, exec_lo, s6
	s_cbranch_vccz .LBB39_2122
; %bb.2083:
	v_cmp_gt_i16_e64 s1, s2, 22
	s_delay_alu instid0(VALU_DEP_1)
	s_and_b32 vcc_lo, exec_lo, s1
	s_mov_b32 s1, -1
	s_cbranch_vccz .LBB39_2115
; %bb.2084:
	v_cmp_lt_i16_e64 s1, s2, 24
	s_delay_alu instid0(VALU_DEP_1)
	s_and_b32 vcc_lo, exec_lo, s1
	s_mov_b32 s1, -1
	s_cbranch_vccnz .LBB39_2104
; %bb.2085:
	v_cmp_gt_i16_e64 s1, s2, 24
	s_delay_alu instid0(VALU_DEP_1)
	s_and_b32 vcc_lo, exec_lo, s1
	s_mov_b32 s1, -1
	s_cbranch_vccz .LBB39_2093
; %bb.2086:
	v_and_b32_e32 v3, 0x7fffffff, v9
	v_mov_b32_e32 v4, 0x80
	s_mov_b32 s1, exec_lo
	s_delay_alu instid0(VALU_DEP_2)
	v_cmpx_gt_u32_e32 0x47800000, v3
	s_cbranch_execz .LBB39_2092
; %bb.2087:
	v_cmp_lt_u32_e32 vcc_lo, 0x37ffffff, v3
	s_mov_b32 s3, 0
                                        ; implicit-def: $vgpr3
	s_and_saveexec_b32 s6, vcc_lo
	s_delay_alu instid0(SALU_CYCLE_1)
	s_xor_b32 s6, exec_lo, s6
	s_cbranch_execz .LBB39_2183
; %bb.2088:
	v_bfe_u32 v3, v9, 21, 1
	s_mov_b32 s3, exec_lo
	s_delay_alu instid0(VALU_DEP_1) | instskip(NEXT) | instid1(VALU_DEP_1)
	v_add3_u32 v3, v9, v3, 0x88fffff
	v_lshrrev_b32_e32 v3, 21, v3
	s_or_saveexec_b32 s6, s6
                                        ; implicit-def: $sgpr7
	s_delay_alu instid0(SALU_CYCLE_1)
	s_xor_b32 exec_lo, exec_lo, s6
	s_cbranch_execnz .LBB39_2184
.LBB39_2089:
	s_or_b32 exec_lo, exec_lo, s6
	v_mov_b32_e32 v4, s7
	s_and_saveexec_b32 s6, s3
.LBB39_2090:
	v_lshrrev_b32_e32 v4, 24, v9
	s_delay_alu instid0(VALU_DEP_1)
	v_and_or_b32 v4, 0x80, v4, v3
.LBB39_2091:
	s_or_b32 exec_lo, exec_lo, s6
.LBB39_2092:
	s_delay_alu instid0(SALU_CYCLE_1)
	s_or_b32 exec_lo, exec_lo, s1
	s_mov_b32 s1, 0
	global_store_b8 v[1:2], v4, off
.LBB39_2093:
	s_and_b32 vcc_lo, exec_lo, s1
	s_cbranch_vccz .LBB39_2103
; %bb.2094:
	v_and_b32_e32 v4, 0x7fffffff, v9
	s_mov_b32 s1, exec_lo
                                        ; implicit-def: $vgpr3
	s_delay_alu instid0(VALU_DEP_1)
	v_cmpx_gt_u32_e32 0x43f00000, v4
	s_xor_b32 s1, exec_lo, s1
	s_cbranch_execz .LBB39_2100
; %bb.2095:
	s_mov_b32 s3, exec_lo
                                        ; implicit-def: $vgpr3
	v_cmpx_lt_u32_e32 0x3c7fffff, v4
	s_xor_b32 s3, exec_lo, s3
; %bb.2096:
	v_bfe_u32 v3, v9, 20, 1
	s_delay_alu instid0(VALU_DEP_1) | instskip(NEXT) | instid1(VALU_DEP_1)
	v_add3_u32 v3, v9, v3, 0x407ffff
	v_and_b32_e32 v4, 0xff00000, v3
	v_lshrrev_b32_e32 v3, 20, v3
	s_delay_alu instid0(VALU_DEP_2) | instskip(NEXT) | instid1(VALU_DEP_2)
	v_cmp_ne_u32_e32 vcc_lo, 0x7f00000, v4
	v_cndmask_b32_e32 v3, 0x7e, v3, vcc_lo
; %bb.2097:
	s_and_not1_saveexec_b32 s3, s3
; %bb.2098:
	v_add_f32_e64 v3, 0x46800000, |v9|
; %bb.2099:
	s_or_b32 exec_lo, exec_lo, s3
                                        ; implicit-def: $vgpr4
.LBB39_2100:
	s_and_not1_saveexec_b32 s1, s1
; %bb.2101:
	v_mov_b32_e32 v3, 0x7f
	v_cmp_lt_u32_e32 vcc_lo, 0x7f800000, v4
	s_delay_alu instid0(VALU_DEP_2)
	v_cndmask_b32_e32 v3, 0x7e, v3, vcc_lo
; %bb.2102:
	s_or_b32 exec_lo, exec_lo, s1
	v_lshrrev_b32_e32 v4, 24, v9
	s_delay_alu instid0(VALU_DEP_1)
	v_and_or_b32 v3, 0x80, v4, v3
	global_store_b8 v[1:2], v3, off
.LBB39_2103:
	s_mov_b32 s1, 0
.LBB39_2104:
	s_delay_alu instid0(SALU_CYCLE_1)
	s_and_not1_b32 vcc_lo, exec_lo, s1
	s_cbranch_vccnz .LBB39_2114
; %bb.2105:
	v_and_b32_e32 v4, 0x7fffffff, v9
	s_mov_b32 s1, exec_lo
                                        ; implicit-def: $vgpr3
	s_delay_alu instid0(VALU_DEP_1)
	v_cmpx_gt_u32_e32 0x47800000, v4
	s_xor_b32 s1, exec_lo, s1
	s_cbranch_execz .LBB39_2111
; %bb.2106:
	s_mov_b32 s3, exec_lo
                                        ; implicit-def: $vgpr3
	v_cmpx_lt_u32_e32 0x387fffff, v4
	s_xor_b32 s3, exec_lo, s3
; %bb.2107:
	v_bfe_u32 v3, v9, 21, 1
	s_delay_alu instid0(VALU_DEP_1) | instskip(NEXT) | instid1(VALU_DEP_1)
	v_add3_u32 v3, v9, v3, 0x80fffff
	v_lshrrev_b32_e32 v3, 21, v3
; %bb.2108:
	s_and_not1_saveexec_b32 s3, s3
; %bb.2109:
	v_add_f32_e64 v3, 0x43000000, |v9|
; %bb.2110:
	s_or_b32 exec_lo, exec_lo, s3
                                        ; implicit-def: $vgpr4
.LBB39_2111:
	s_and_not1_saveexec_b32 s1, s1
; %bb.2112:
	v_mov_b32_e32 v3, 0x7f
	v_cmp_lt_u32_e32 vcc_lo, 0x7f800000, v4
	s_delay_alu instid0(VALU_DEP_2)
	v_cndmask_b32_e32 v3, 0x7c, v3, vcc_lo
; %bb.2113:
	s_or_b32 exec_lo, exec_lo, s1
	v_lshrrev_b32_e32 v4, 24, v9
	s_delay_alu instid0(VALU_DEP_1)
	v_and_or_b32 v3, 0x80, v4, v3
	global_store_b8 v[1:2], v3, off
.LBB39_2114:
	s_mov_b32 s1, 0
	s_mov_b32 s3, -1
.LBB39_2115:
	s_and_not1_b32 vcc_lo, exec_lo, s1
	s_mov_b32 s1, 0
	s_cbranch_vccnz .LBB39_2122
; %bb.2116:
	v_cmp_gt_i16_e64 s1, s2, 14
	s_delay_alu instid0(VALU_DEP_1)
	s_and_b32 vcc_lo, exec_lo, s1
	s_mov_b32 s1, -1
	s_cbranch_vccz .LBB39_2120
; %bb.2117:
	v_cmp_eq_u16_e64 s0, s2, 15
	s_delay_alu instid0(VALU_DEP_1)
	s_and_b32 vcc_lo, exec_lo, s0
	s_mov_b32 s0, -1
	s_cbranch_vccz .LBB39_2119
; %bb.2118:
	v_bfe_u32 v3, v9, 16, 1
	v_cmp_o_f32_e32 vcc_lo, v9, v9
	s_mov_b32 s0, 0
	s_mov_b32 s3, -1
	s_delay_alu instid0(VALU_DEP_2) | instskip(NEXT) | instid1(VALU_DEP_1)
	v_add3_u32 v3, v9, v3, 0x7fff
	v_lshrrev_b32_e32 v3, 16, v3
	s_delay_alu instid0(VALU_DEP_1)
	v_cndmask_b32_e32 v3, 0x7fc0, v3, vcc_lo
	global_store_b16 v[1:2], v3, off
.LBB39_2119:
	s_mov_b32 s1, 0
.LBB39_2120:
	s_delay_alu instid0(SALU_CYCLE_1)
	s_and_b32 vcc_lo, exec_lo, s1
	s_mov_b32 s1, 0
	s_cbranch_vccz .LBB39_2122
; %bb.2121:
	v_cmp_ne_u16_e64 s0, s2, 11
	s_mov_b32 s1, -1
.LBB39_2122:
	s_delay_alu instid0(VALU_DEP_1)
	s_and_b32 vcc_lo, exec_lo, s0
	s_cbranch_vccnz .LBB39_2181
; %bb.2123:
	s_and_not1_b32 vcc_lo, exec_lo, s1
	s_cbranch_vccnz .LBB39_2125
.LBB39_2124:
	v_cmp_neq_f32_e32 vcc_lo, 0, v9
	s_mov_b32 s3, -1
	v_cndmask_b32_e64 v3, 0, 1, vcc_lo
	global_store_b8 v[1:2], v3, off
.LBB39_2125:
	s_mov_b32 s0, 0
.LBB39_2126:
	s_delay_alu instid0(SALU_CYCLE_1)
	s_and_b32 vcc_lo, exec_lo, s0
	s_cbranch_vccz .LBB39_2165
; %bb.2127:
	v_cmp_lt_i16_e64 s0, s2, 5
	s_delay_alu instid0(VALU_DEP_1)
	s_and_b32 vcc_lo, exec_lo, s0
	s_mov_b32 s0, -1
	s_cbranch_vccnz .LBB39_2148
; %bb.2128:
	v_cmp_lt_i16_e64 s0, s2, 8
	s_delay_alu instid0(VALU_DEP_1)
	s_and_b32 vcc_lo, exec_lo, s0
	s_mov_b32 s0, -1
	s_cbranch_vccnz .LBB39_2138
	;; [unrolled: 6-line block ×3, first 2 shown]
; %bb.2130:
	v_cmp_gt_i16_e64 s0, s2, 9
	s_delay_alu instid0(VALU_DEP_1)
	s_and_b32 vcc_lo, exec_lo, s0
	s_mov_b32 s0, -1
	s_cbranch_vccz .LBB39_2132
; %bb.2131:
	v_cvt_f64_f32_e32 v[3:4], v9
	s_waitcnt vmcnt(0)
	v_mov_b32_e32 v5, 0
	s_mov_b32 s0, 0
	s_delay_alu instid0(VALU_DEP_1)
	v_mov_b32_e32 v6, v5
	global_store_b128 v[1:2], v[3:6], off
.LBB39_2132:
	s_and_not1_b32 vcc_lo, exec_lo, s0
	s_cbranch_vccnz .LBB39_2134
; %bb.2133:
	v_mov_b32_e32 v10, 0
	global_store_b64 v[1:2], v[9:10], off
.LBB39_2134:
	s_mov_b32 s0, 0
.LBB39_2135:
	s_delay_alu instid0(SALU_CYCLE_1)
	s_and_not1_b32 vcc_lo, exec_lo, s0
	s_cbranch_vccnz .LBB39_2137
; %bb.2136:
	v_cvt_f16_f32_e32 v3, v9
	s_delay_alu instid0(VALU_DEP_1)
	v_and_b32_e32 v3, 0xffff, v3
	global_store_b32 v[1:2], v3, off
.LBB39_2137:
	s_mov_b32 s0, 0
.LBB39_2138:
	s_delay_alu instid0(SALU_CYCLE_1)
	s_and_not1_b32 vcc_lo, exec_lo, s0
	s_cbranch_vccnz .LBB39_2147
; %bb.2139:
	v_cmp_lt_i16_e64 s0, s2, 6
	s_delay_alu instid0(VALU_DEP_1)
	s_and_b32 vcc_lo, exec_lo, s0
	s_mov_b32 s0, -1
	s_cbranch_vccnz .LBB39_2145
; %bb.2140:
	v_cmp_gt_i16_e64 s0, s2, 6
	s_delay_alu instid0(VALU_DEP_1)
	s_and_b32 vcc_lo, exec_lo, s0
	s_mov_b32 s0, -1
	s_cbranch_vccz .LBB39_2142
; %bb.2141:
	v_cvt_f64_f32_e32 v[3:4], v9
	s_mov_b32 s0, 0
	global_store_b64 v[1:2], v[3:4], off
.LBB39_2142:
	s_and_not1_b32 vcc_lo, exec_lo, s0
	s_cbranch_vccnz .LBB39_2144
; %bb.2143:
	global_store_b32 v[1:2], v9, off
.LBB39_2144:
	s_mov_b32 s0, 0
.LBB39_2145:
	s_delay_alu instid0(SALU_CYCLE_1)
	s_and_not1_b32 vcc_lo, exec_lo, s0
	s_cbranch_vccnz .LBB39_2147
; %bb.2146:
	v_cvt_f16_f32_e32 v3, v9
	global_store_b16 v[1:2], v3, off
.LBB39_2147:
	s_mov_b32 s0, 0
.LBB39_2148:
	s_delay_alu instid0(SALU_CYCLE_1)
	s_and_not1_b32 vcc_lo, exec_lo, s0
	s_cbranch_vccnz .LBB39_2164
; %bb.2149:
	v_cmp_lt_i16_e64 s0, s2, 2
	s_delay_alu instid0(VALU_DEP_1)
	s_and_b32 vcc_lo, exec_lo, s0
	s_mov_b32 s0, -1
	s_cbranch_vccnz .LBB39_2159
; %bb.2150:
	v_cmp_lt_i16_e64 s0, s2, 3
	s_delay_alu instid0(VALU_DEP_1)
	s_and_b32 vcc_lo, exec_lo, s0
	s_mov_b32 s0, -1
	s_cbranch_vccnz .LBB39_2156
; %bb.2151:
	v_cmp_gt_i16_e64 s0, s2, 3
	s_delay_alu instid0(VALU_DEP_1)
	s_and_b32 vcc_lo, exec_lo, s0
	s_mov_b32 s0, -1
	s_cbranch_vccz .LBB39_2153
; %bb.2152:
	v_trunc_f32_e32 v3, v9
	s_mov_b32 s0, 0
	s_delay_alu instid0(VALU_DEP_1) | instskip(SKIP_1) | instid1(VALU_DEP_2)
	v_mul_f32_e64 v4, 0x2f800000, |v3|
	v_ashrrev_i32_e32 v6, 31, v3
	v_floor_f32_e32 v4, v4
	s_waitcnt vmcnt(0)
	s_delay_alu instid0(VALU_DEP_1) | instskip(SKIP_1) | instid1(VALU_DEP_2)
	v_fma_f32 v5, 0xcf800000, v4, |v3|
	v_cvt_u32_f32_e32 v4, v4
	v_cvt_u32_f32_e32 v3, v5
	s_delay_alu instid0(VALU_DEP_2) | instskip(NEXT) | instid1(VALU_DEP_2)
	v_xor_b32_e32 v4, v4, v6
	v_xor_b32_e32 v3, v3, v6
	s_delay_alu instid0(VALU_DEP_1) | instskip(NEXT) | instid1(VALU_DEP_3)
	v_sub_co_u32 v3, vcc_lo, v3, v6
	v_sub_co_ci_u32_e32 v4, vcc_lo, v4, v6, vcc_lo
	global_store_b64 v[1:2], v[3:4], off
.LBB39_2153:
	s_and_not1_b32 vcc_lo, exec_lo, s0
	s_cbranch_vccnz .LBB39_2155
; %bb.2154:
	v_cvt_i32_f32_e32 v3, v9
	global_store_b32 v[1:2], v3, off
.LBB39_2155:
	s_mov_b32 s0, 0
.LBB39_2156:
	s_delay_alu instid0(SALU_CYCLE_1)
	s_and_not1_b32 vcc_lo, exec_lo, s0
	s_cbranch_vccnz .LBB39_2158
; %bb.2157:
	v_cvt_i32_f32_e32 v3, v9
	global_store_b16 v[1:2], v3, off
.LBB39_2158:
	s_mov_b32 s0, 0
.LBB39_2159:
	s_delay_alu instid0(SALU_CYCLE_1)
	s_and_not1_b32 vcc_lo, exec_lo, s0
	s_cbranch_vccnz .LBB39_2164
; %bb.2160:
	v_cmp_gt_i16_e64 s0, s2, 0
	s_delay_alu instid0(VALU_DEP_1)
	s_and_b32 vcc_lo, exec_lo, s0
	s_mov_b32 s0, -1
	s_cbranch_vccz .LBB39_2162
; %bb.2161:
	v_cvt_i32_f32_e32 v3, v9
	s_mov_b32 s0, 0
	global_store_b8 v[1:2], v3, off
.LBB39_2162:
	s_and_not1_b32 vcc_lo, exec_lo, s0
	s_cbranch_vccnz .LBB39_2164
; %bb.2163:
	v_trunc_f32_e32 v3, v9
	s_delay_alu instid0(VALU_DEP_1) | instskip(NEXT) | instid1(VALU_DEP_1)
	v_mul_f32_e64 v4, 0x2f800000, |v3|
	v_floor_f32_e32 v4, v4
	s_delay_alu instid0(VALU_DEP_1) | instskip(SKIP_1) | instid1(VALU_DEP_2)
	v_fma_f32 v4, 0xcf800000, v4, |v3|
	v_ashrrev_i32_e32 v3, 31, v3
	v_cvt_u32_f32_e32 v4, v4
	s_delay_alu instid0(VALU_DEP_1) | instskip(NEXT) | instid1(VALU_DEP_1)
	v_xor_b32_e32 v4, v4, v3
	v_sub_nc_u32_e32 v3, v4, v3
	global_store_b8 v[1:2], v3, off
.LBB39_2164:
	s_mov_b32 s3, -1
.LBB39_2165:
	s_delay_alu instid0(SALU_CYCLE_1)
	s_and_not1_b32 vcc_lo, exec_lo, s3
	s_cbranch_vccnz .LBB39_2174
; %bb.2166:
	v_cmp_lt_i16_e64 s0, s2, 11
	v_add_co_u32 v0, s3, s4, v0
	s_delay_alu instid0(VALU_DEP_1) | instskip(SKIP_1) | instid1(VALU_DEP_3)
	v_add_co_ci_u32_e64 v1, null, s5, 0, s3
	s_mov_b32 s1, 0
	s_and_b32 vcc_lo, exec_lo, s0
	s_mov_b32 s0, -1
	s_cbranch_vccnz .LBB39_1738
; %bb.2167:
	v_cmp_gt_i16_e64 s0, s2, 25
	s_mov_b32 s3, -1
	s_delay_alu instid0(VALU_DEP_1)
	s_and_b32 vcc_lo, exec_lo, s0
	s_mov_b32 s0, 0
	s_cbranch_vccz .LBB39_2212
; %bb.2168:
	v_cmp_gt_i16_e64 s0, s2, 28
	s_delay_alu instid0(VALU_DEP_1)
	s_and_b32 vcc_lo, exec_lo, s0
	s_cbranch_vccz .LBB39_2175
; %bb.2169:
	v_cmp_gt_i16_e64 s0, s2, 43
	s_delay_alu instid0(VALU_DEP_1)
	s_and_b32 vcc_lo, exec_lo, s0
	s_cbranch_vccz .LBB39_2178
; %bb.2170:
	v_cmp_gt_i16_e64 s0, s2, 45
	s_delay_alu instid0(VALU_DEP_1)
	s_and_b32 vcc_lo, exec_lo, s0
	s_cbranch_vccz .LBB39_2185
; %bb.2171:
	v_cmp_eq_u16_e64 s0, s2, 46
	s_delay_alu instid0(VALU_DEP_1)
	s_and_b32 vcc_lo, exec_lo, s0
	s_mov_b32 s0, -1
	s_cbranch_vccz .LBB39_2173
; %bb.2172:
	v_bfe_u32 v2, v8, 16, 1
	v_cmp_o_f32_e32 vcc_lo, v8, v8
	s_mov_b32 s0, 0
	s_delay_alu instid0(VALU_DEP_2) | instskip(NEXT) | instid1(VALU_DEP_1)
	v_add3_u32 v2, v8, v2, 0x7fff
	v_lshrrev_b32_e32 v2, 16, v2
	s_delay_alu instid0(VALU_DEP_1)
	v_cndmask_b32_e32 v2, 0x7fc0, v2, vcc_lo
	global_store_b32 v[0:1], v2, off
.LBB39_2173:
	s_mov_b32 s3, 0
	s_branch .LBB39_2186
.LBB39_2174:
	s_mov_b32 s0, 0
	s_mov_b32 s1, 0
                                        ; implicit-def: $vgpr0_vgpr1
                                        ; implicit-def: $sgpr2
	s_branch .LBB39_1738
.LBB39_2175:
	s_mov_b32 s0, 0
	s_branch .LBB39_2196
.LBB39_2176:
	s_or_saveexec_b32 s7, s7
                                        ; implicit-def: $sgpr8
	s_delay_alu instid0(SALU_CYCLE_1)
	s_xor_b32 exec_lo, exec_lo, s7
	s_cbranch_execz .LBB39_2076
.LBB39_2177:
	v_add_f32_e64 v3, 0x46000000, |v9|
	s_and_not1_b32 s6, s6, exec_lo
	s_mov_b32 s8, 0
	s_delay_alu instid0(VALU_DEP_1) | instskip(NEXT) | instid1(VALU_DEP_1)
	v_and_b32_e32 v3, 0xff, v3
	v_cmp_ne_u32_e32 vcc_lo, 0, v3
	s_and_b32 s9, vcc_lo, exec_lo
	s_delay_alu instid0(SALU_CYCLE_1)
	s_or_b32 s6, s6, s9
	s_or_b32 exec_lo, exec_lo, s7
	v_mov_b32_e32 v4, s8
	s_and_saveexec_b32 s7, s6
	s_cbranch_execnz .LBB39_2077
	s_branch .LBB39_2078
.LBB39_2178:
	s_mov_b32 s0, 0
	s_branch .LBB39_2192
.LBB39_2179:
	s_trap 2
	s_sendmsg_rtn_b32 s0, sendmsg(MSG_RTN_GET_DOORBELL)
	s_mov_b32 ttmp2, m0
	s_waitcnt lgkmcnt(0)
	s_and_b32 s0, s0, 0x3ff
	s_delay_alu instid0(SALU_CYCLE_1) | instskip(NEXT) | instid1(SALU_CYCLE_1)
	s_bitset1_b32 s0, 10
	s_mov_b32 m0, s0
	s_sendmsg sendmsg(MSG_INTERRUPT)
	s_mov_b32 m0, ttmp2
.LBB39_2180:                            ; =>This Inner Loop Header: Depth=1
	s_sethalt 5
	s_branch .LBB39_2180
.LBB39_2181:
	s_cbranch_execnz .LBB39_2256
; %bb.2182:
	s_or_b32 s12, s12, exec_lo
	s_cbranch_execz .LBB39_2124
	s_branch .LBB39_2125
.LBB39_2183:
	s_or_saveexec_b32 s6, s6
                                        ; implicit-def: $sgpr7
	s_delay_alu instid0(SALU_CYCLE_1)
	s_xor_b32 exec_lo, exec_lo, s6
	s_cbranch_execz .LBB39_2089
.LBB39_2184:
	v_add_f32_e64 v3, 0x42800000, |v9|
	s_and_not1_b32 s3, s3, exec_lo
	s_mov_b32 s7, 0
	s_delay_alu instid0(VALU_DEP_1) | instskip(NEXT) | instid1(VALU_DEP_1)
	v_and_b32_e32 v3, 0xff, v3
	v_cmp_ne_u32_e32 vcc_lo, 0, v3
	s_and_b32 s8, vcc_lo, exec_lo
	s_delay_alu instid0(SALU_CYCLE_1)
	s_or_b32 s3, s3, s8
	s_or_b32 exec_lo, exec_lo, s6
	v_mov_b32_e32 v4, s7
	s_and_saveexec_b32 s6, s3
	s_cbranch_execnz .LBB39_2090
	s_branch .LBB39_2091
.LBB39_2185:
	s_mov_b32 s0, 0
.LBB39_2186:
	s_and_b32 vcc_lo, exec_lo, s3
	s_cbranch_vccz .LBB39_2191
; %bb.2187:
	v_cmp_eq_u16_e64 s0, s2, 44
	s_delay_alu instid0(VALU_DEP_1)
	s_and_b32 vcc_lo, exec_lo, s0
	s_mov_b32 s0, -1
	s_cbranch_vccz .LBB39_2191
; %bb.2188:
	v_bfe_u32 v3, v8, 23, 8
	v_mov_b32_e32 v2, 0xff
	s_mov_b32 s3, exec_lo
	s_delay_alu instid0(VALU_DEP_2)
	v_cmpx_ne_u32_e32 0xff, v3
; %bb.2189:
	v_and_b32_e32 v2, 0x400000, v8
	v_and_or_b32 v3, 0x3fffff, v8, v3
	s_delay_alu instid0(VALU_DEP_2) | instskip(NEXT) | instid1(VALU_DEP_2)
	v_cmp_ne_u32_e32 vcc_lo, 0, v2
	v_cmp_ne_u32_e64 s0, 0, v3
	v_lshrrev_b32_e32 v2, 23, v8
	s_delay_alu instid0(VALU_DEP_2) | instskip(NEXT) | instid1(SALU_CYCLE_1)
	s_and_b32 s0, vcc_lo, s0
	v_cndmask_b32_e64 v3, 0, 1, s0
	s_delay_alu instid0(VALU_DEP_1)
	v_add_nc_u32_e32 v2, v2, v3
; %bb.2190:
	s_or_b32 exec_lo, exec_lo, s3
	s_mov_b32 s0, 0
	global_store_b8 v[0:1], v2, off
.LBB39_2191:
	s_mov_b32 s3, 0
.LBB39_2192:
	s_delay_alu instid0(SALU_CYCLE_1)
	s_and_b32 vcc_lo, exec_lo, s3
	s_cbranch_vccz .LBB39_2195
; %bb.2193:
	v_cmp_eq_u16_e64 s0, s2, 29
	s_delay_alu instid0(VALU_DEP_1)
	s_and_b32 vcc_lo, exec_lo, s0
	s_mov_b32 s0, -1
	s_cbranch_vccz .LBB39_2195
; %bb.2194:
	v_trunc_f32_e32 v2, v8
	s_mov_b32 s0, 0
	s_delay_alu instid0(VALU_DEP_1) | instskip(NEXT) | instid1(VALU_DEP_1)
	v_mul_f32_e32 v3, 0x2f800000, v2
	v_floor_f32_e32 v3, v3
	s_delay_alu instid0(VALU_DEP_1) | instskip(SKIP_1) | instid1(VALU_DEP_2)
	v_fmamk_f32 v2, v3, 0xcf800000, v2
	v_cvt_u32_f32_e32 v3, v3
	v_cvt_u32_f32_e32 v2, v2
	global_store_b64 v[0:1], v[2:3], off
.LBB39_2195:
	s_mov_b32 s3, 0
.LBB39_2196:
	s_delay_alu instid0(SALU_CYCLE_1)
	s_and_b32 vcc_lo, exec_lo, s3
	s_cbranch_vccz .LBB39_2211
; %bb.2197:
	v_cmp_lt_i16_e64 s3, s2, 27
	s_delay_alu instid0(VALU_DEP_1)
	s_and_b32 vcc_lo, exec_lo, s3
	s_mov_b32 s3, -1
	s_cbranch_vccnz .LBB39_2203
; %bb.2198:
	v_cmp_gt_i16_e64 s3, s2, 27
	v_cvt_u32_f32_e32 v2, v8
	s_delay_alu instid0(VALU_DEP_2)
	s_and_b32 vcc_lo, exec_lo, s3
	s_mov_b32 s3, -1
	s_cbranch_vccz .LBB39_2200
; %bb.2199:
	s_mov_b32 s3, 0
	global_store_b32 v[0:1], v2, off
.LBB39_2200:
	s_and_not1_b32 vcc_lo, exec_lo, s3
	s_cbranch_vccnz .LBB39_2202
; %bb.2201:
	global_store_b16 v[0:1], v2, off
.LBB39_2202:
	s_mov_b32 s3, 0
.LBB39_2203:
	s_delay_alu instid0(SALU_CYCLE_1)
	s_and_not1_b32 vcc_lo, exec_lo, s3
	s_cbranch_vccnz .LBB39_2211
; %bb.2204:
	v_and_b32_e32 v2, 0x7fffffff, v8
	v_mov_b32_e32 v3, 0x80
	s_mov_b32 s3, exec_lo
	s_delay_alu instid0(VALU_DEP_2)
	v_cmpx_gt_u32_e32 0x43800000, v2
	s_cbranch_execz .LBB39_2210
; %bb.2205:
	v_cmp_lt_u32_e32 vcc_lo, 0x3bffffff, v2
	s_mov_b32 s4, 0
                                        ; implicit-def: $vgpr2
	s_and_saveexec_b32 s5, vcc_lo
	s_delay_alu instid0(SALU_CYCLE_1)
	s_xor_b32 s5, exec_lo, s5
	s_cbranch_execz .LBB39_2254
; %bb.2206:
	v_bfe_u32 v2, v8, 20, 1
	s_mov_b32 s4, exec_lo
	s_delay_alu instid0(VALU_DEP_1) | instskip(NEXT) | instid1(VALU_DEP_1)
	v_add3_u32 v2, v8, v2, 0x487ffff
	v_lshrrev_b32_e32 v2, 20, v2
	s_or_saveexec_b32 s5, s5
                                        ; implicit-def: $sgpr6
	s_delay_alu instid0(SALU_CYCLE_1)
	s_xor_b32 exec_lo, exec_lo, s5
	s_cbranch_execnz .LBB39_2255
.LBB39_2207:
	s_or_b32 exec_lo, exec_lo, s5
	v_mov_b32_e32 v3, s6
	s_and_saveexec_b32 s5, s4
.LBB39_2208:
	v_lshrrev_b32_e32 v3, 24, v8
	s_delay_alu instid0(VALU_DEP_1)
	v_and_or_b32 v3, 0x80, v3, v2
.LBB39_2209:
	s_or_b32 exec_lo, exec_lo, s5
.LBB39_2210:
	s_delay_alu instid0(SALU_CYCLE_1)
	s_or_b32 exec_lo, exec_lo, s3
	global_store_b8 v[0:1], v3, off
.LBB39_2211:
	s_mov_b32 s3, 0
.LBB39_2212:
	s_delay_alu instid0(SALU_CYCLE_1)
	s_and_b32 vcc_lo, exec_lo, s3
	s_cbranch_vccz .LBB39_2252
; %bb.2213:
	v_cmp_gt_i16_e64 s1, s2, 22
	s_delay_alu instid0(VALU_DEP_1)
	s_and_b32 vcc_lo, exec_lo, s1
	s_mov_b32 s1, -1
	s_cbranch_vccz .LBB39_2245
; %bb.2214:
	v_cmp_lt_i16_e64 s1, s2, 24
	s_delay_alu instid0(VALU_DEP_1)
	s_and_b32 vcc_lo, exec_lo, s1
	s_mov_b32 s1, -1
	s_cbranch_vccnz .LBB39_2234
; %bb.2215:
	v_cmp_gt_i16_e64 s1, s2, 24
	s_delay_alu instid0(VALU_DEP_1)
	s_and_b32 vcc_lo, exec_lo, s1
	s_mov_b32 s1, -1
	s_cbranch_vccz .LBB39_2223
; %bb.2216:
	v_and_b32_e32 v2, 0x7fffffff, v8
	v_mov_b32_e32 v3, 0x80
	s_mov_b32 s1, exec_lo
	s_delay_alu instid0(VALU_DEP_2)
	v_cmpx_gt_u32_e32 0x47800000, v2
	s_cbranch_execz .LBB39_2222
; %bb.2217:
	v_cmp_lt_u32_e32 vcc_lo, 0x37ffffff, v2
	s_mov_b32 s3, 0
                                        ; implicit-def: $vgpr2
	s_and_saveexec_b32 s4, vcc_lo
	s_delay_alu instid0(SALU_CYCLE_1)
	s_xor_b32 s4, exec_lo, s4
	s_cbranch_execz .LBB39_2260
; %bb.2218:
	v_bfe_u32 v2, v8, 21, 1
	s_mov_b32 s3, exec_lo
	s_delay_alu instid0(VALU_DEP_1) | instskip(NEXT) | instid1(VALU_DEP_1)
	v_add3_u32 v2, v8, v2, 0x88fffff
	v_lshrrev_b32_e32 v2, 21, v2
	s_or_saveexec_b32 s4, s4
                                        ; implicit-def: $sgpr5
	s_delay_alu instid0(SALU_CYCLE_1)
	s_xor_b32 exec_lo, exec_lo, s4
	s_cbranch_execnz .LBB39_2261
.LBB39_2219:
	s_or_b32 exec_lo, exec_lo, s4
	v_mov_b32_e32 v3, s5
	s_and_saveexec_b32 s4, s3
.LBB39_2220:
	v_lshrrev_b32_e32 v3, 24, v8
	s_delay_alu instid0(VALU_DEP_1)
	v_and_or_b32 v3, 0x80, v3, v2
.LBB39_2221:
	s_or_b32 exec_lo, exec_lo, s4
.LBB39_2222:
	s_delay_alu instid0(SALU_CYCLE_1)
	s_or_b32 exec_lo, exec_lo, s1
	s_mov_b32 s1, 0
	global_store_b8 v[0:1], v3, off
.LBB39_2223:
	s_and_b32 vcc_lo, exec_lo, s1
	s_cbranch_vccz .LBB39_2233
; %bb.2224:
	v_and_b32_e32 v3, 0x7fffffff, v8
	s_mov_b32 s1, exec_lo
                                        ; implicit-def: $vgpr2
	s_delay_alu instid0(VALU_DEP_1)
	v_cmpx_gt_u32_e32 0x43f00000, v3
	s_xor_b32 s1, exec_lo, s1
	s_cbranch_execz .LBB39_2230
; %bb.2225:
	s_mov_b32 s3, exec_lo
                                        ; implicit-def: $vgpr2
	v_cmpx_lt_u32_e32 0x3c7fffff, v3
	s_xor_b32 s3, exec_lo, s3
; %bb.2226:
	v_bfe_u32 v2, v8, 20, 1
	s_delay_alu instid0(VALU_DEP_1) | instskip(NEXT) | instid1(VALU_DEP_1)
	v_add3_u32 v2, v8, v2, 0x407ffff
	v_and_b32_e32 v3, 0xff00000, v2
	v_lshrrev_b32_e32 v2, 20, v2
	s_delay_alu instid0(VALU_DEP_2) | instskip(NEXT) | instid1(VALU_DEP_2)
	v_cmp_ne_u32_e32 vcc_lo, 0x7f00000, v3
	v_cndmask_b32_e32 v2, 0x7e, v2, vcc_lo
; %bb.2227:
	s_and_not1_saveexec_b32 s3, s3
; %bb.2228:
	v_add_f32_e64 v2, 0x46800000, |v8|
; %bb.2229:
	s_or_b32 exec_lo, exec_lo, s3
                                        ; implicit-def: $vgpr3
.LBB39_2230:
	s_and_not1_saveexec_b32 s1, s1
; %bb.2231:
	v_mov_b32_e32 v2, 0x7f
	v_cmp_lt_u32_e32 vcc_lo, 0x7f800000, v3
	s_delay_alu instid0(VALU_DEP_2)
	v_cndmask_b32_e32 v2, 0x7e, v2, vcc_lo
; %bb.2232:
	s_or_b32 exec_lo, exec_lo, s1
	v_lshrrev_b32_e32 v3, 24, v8
	s_delay_alu instid0(VALU_DEP_1)
	v_and_or_b32 v2, 0x80, v3, v2
	global_store_b8 v[0:1], v2, off
.LBB39_2233:
	s_mov_b32 s1, 0
.LBB39_2234:
	s_delay_alu instid0(SALU_CYCLE_1)
	s_and_not1_b32 vcc_lo, exec_lo, s1
	s_cbranch_vccnz .LBB39_2244
; %bb.2235:
	v_and_b32_e32 v3, 0x7fffffff, v8
	s_mov_b32 s1, exec_lo
                                        ; implicit-def: $vgpr2
	s_delay_alu instid0(VALU_DEP_1)
	v_cmpx_gt_u32_e32 0x47800000, v3
	s_xor_b32 s1, exec_lo, s1
	s_cbranch_execz .LBB39_2241
; %bb.2236:
	s_mov_b32 s3, exec_lo
                                        ; implicit-def: $vgpr2
	v_cmpx_lt_u32_e32 0x387fffff, v3
	s_xor_b32 s3, exec_lo, s3
; %bb.2237:
	v_bfe_u32 v2, v8, 21, 1
	s_delay_alu instid0(VALU_DEP_1) | instskip(NEXT) | instid1(VALU_DEP_1)
	v_add3_u32 v2, v8, v2, 0x80fffff
	v_lshrrev_b32_e32 v2, 21, v2
; %bb.2238:
	s_and_not1_saveexec_b32 s3, s3
; %bb.2239:
	v_add_f32_e64 v2, 0x43000000, |v8|
; %bb.2240:
	s_or_b32 exec_lo, exec_lo, s3
                                        ; implicit-def: $vgpr3
.LBB39_2241:
	s_and_not1_saveexec_b32 s1, s1
; %bb.2242:
	v_mov_b32_e32 v2, 0x7f
	v_cmp_lt_u32_e32 vcc_lo, 0x7f800000, v3
	s_delay_alu instid0(VALU_DEP_2)
	v_cndmask_b32_e32 v2, 0x7c, v2, vcc_lo
; %bb.2243:
	s_or_b32 exec_lo, exec_lo, s1
	v_lshrrev_b32_e32 v3, 24, v8
	s_delay_alu instid0(VALU_DEP_1)
	v_and_or_b32 v2, 0x80, v3, v2
	global_store_b8 v[0:1], v2, off
.LBB39_2244:
	s_mov_b32 s1, 0
.LBB39_2245:
	s_delay_alu instid0(SALU_CYCLE_1)
	s_and_not1_b32 vcc_lo, exec_lo, s1
	s_mov_b32 s1, 0
	s_cbranch_vccnz .LBB39_2252
; %bb.2246:
	v_cmp_gt_i16_e64 s1, s2, 14
	s_delay_alu instid0(VALU_DEP_1)
	s_and_b32 vcc_lo, exec_lo, s1
	s_mov_b32 s1, -1
	s_cbranch_vccz .LBB39_2250
; %bb.2247:
	v_cmp_eq_u16_e64 s0, s2, 15
	s_delay_alu instid0(VALU_DEP_1)
	s_and_b32 vcc_lo, exec_lo, s0
	s_mov_b32 s0, -1
	s_cbranch_vccz .LBB39_2249
; %bb.2248:
	v_bfe_u32 v2, v8, 16, 1
	v_cmp_o_f32_e32 vcc_lo, v8, v8
	s_mov_b32 s0, 0
	s_delay_alu instid0(VALU_DEP_2) | instskip(NEXT) | instid1(VALU_DEP_1)
	v_add3_u32 v2, v8, v2, 0x7fff
	v_lshrrev_b32_e32 v2, 16, v2
	s_delay_alu instid0(VALU_DEP_1)
	v_cndmask_b32_e32 v2, 0x7fc0, v2, vcc_lo
	global_store_b16 v[0:1], v2, off
.LBB39_2249:
	s_mov_b32 s1, 0
.LBB39_2250:
	s_delay_alu instid0(SALU_CYCLE_1)
	s_and_b32 vcc_lo, exec_lo, s1
	s_mov_b32 s1, 0
	s_cbranch_vccz .LBB39_2252
; %bb.2251:
	v_cmp_ne_u16_e64 s0, s2, 11
	s_mov_b32 s1, -1
.LBB39_2252:
	s_delay_alu instid0(VALU_DEP_1)
	s_and_b32 vcc_lo, exec_lo, s0
	s_cbranch_vccnz .LBB39_2258
.LBB39_2253:
	s_mov_b32 s0, 0
	s_branch .LBB39_1738
.LBB39_2254:
	s_or_saveexec_b32 s5, s5
                                        ; implicit-def: $sgpr6
	s_delay_alu instid0(SALU_CYCLE_1)
	s_xor_b32 exec_lo, exec_lo, s5
	s_cbranch_execz .LBB39_2207
.LBB39_2255:
	v_add_f32_e64 v2, 0x46000000, |v8|
	s_and_not1_b32 s4, s4, exec_lo
	s_mov_b32 s6, 0
	s_delay_alu instid0(VALU_DEP_1) | instskip(NEXT) | instid1(VALU_DEP_1)
	v_and_b32_e32 v2, 0xff, v2
	v_cmp_ne_u32_e32 vcc_lo, 0, v2
	s_and_b32 s7, vcc_lo, exec_lo
	s_delay_alu instid0(SALU_CYCLE_1)
	s_or_b32 s4, s4, s7
	s_or_b32 exec_lo, exec_lo, s5
	v_mov_b32_e32 v3, s6
	s_and_saveexec_b32 s5, s4
	s_cbranch_execnz .LBB39_2208
	s_branch .LBB39_2209
.LBB39_2256:
	s_trap 2
	s_sendmsg_rtn_b32 s0, sendmsg(MSG_RTN_GET_DOORBELL)
	s_mov_b32 ttmp2, m0
	s_waitcnt lgkmcnt(0)
	s_and_b32 s0, s0, 0x3ff
	s_delay_alu instid0(SALU_CYCLE_1) | instskip(NEXT) | instid1(SALU_CYCLE_1)
	s_bitset1_b32 s0, 10
	s_mov_b32 m0, s0
	s_sendmsg sendmsg(MSG_INTERRUPT)
	s_mov_b32 m0, ttmp2
.LBB39_2257:                            ; =>This Inner Loop Header: Depth=1
	s_sethalt 5
	s_branch .LBB39_2257
.LBB39_2258:
	s_cbranch_execnz .LBB39_2262
; %bb.2259:
	s_mov_b32 s1, 0
	s_or_b32 s12, s12, exec_lo
	s_branch .LBB39_2253
.LBB39_2260:
	s_or_saveexec_b32 s4, s4
                                        ; implicit-def: $sgpr5
	s_delay_alu instid0(SALU_CYCLE_1)
	s_xor_b32 exec_lo, exec_lo, s4
	s_cbranch_execz .LBB39_2219
.LBB39_2261:
	v_add_f32_e64 v2, 0x42800000, |v8|
	s_and_not1_b32 s3, s3, exec_lo
	s_mov_b32 s5, 0
	s_delay_alu instid0(VALU_DEP_1) | instskip(NEXT) | instid1(VALU_DEP_1)
	v_and_b32_e32 v2, 0xff, v2
	v_cmp_ne_u32_e32 vcc_lo, 0, v2
	s_and_b32 s6, vcc_lo, exec_lo
	s_delay_alu instid0(SALU_CYCLE_1)
	s_or_b32 s3, s3, s6
	s_or_b32 exec_lo, exec_lo, s4
	v_mov_b32_e32 v3, s5
	s_and_saveexec_b32 s4, s3
	s_cbranch_execnz .LBB39_2220
	s_branch .LBB39_2221
.LBB39_2262:
	s_trap 2
	s_sendmsg_rtn_b32 s0, sendmsg(MSG_RTN_GET_DOORBELL)
	s_mov_b32 ttmp2, m0
	s_waitcnt lgkmcnt(0)
	s_and_b32 s0, s0, 0x3ff
	s_delay_alu instid0(SALU_CYCLE_1) | instskip(NEXT) | instid1(SALU_CYCLE_1)
	s_bitset1_b32 s0, 10
	s_mov_b32 m0, s0
	s_sendmsg sendmsg(MSG_INTERRUPT)
	s_mov_b32 m0, ttmp2
.LBB39_2263:                            ; =>This Inner Loop Header: Depth=1
	s_sethalt 5
	s_branch .LBB39_2263
	.section	.rodata,"a",@progbits
	.p2align	6, 0x0
	.amdhsa_kernel _ZN2at6native32elementwise_kernel_manual_unrollILi128ELi4EZNS0_15gpu_kernel_implINS0_13BUnaryFunctorIfffZZZNS0_12_GLOBAL__N_132hermite_polynomial_h_kernel_cudaERNS_18TensorIteratorBaseEENKUlvE_clEvENKUlvE0_clEvEUlffE_EEEEvS6_RKT_EUlibE0_EEviT1_
		.amdhsa_group_segment_fixed_size 0
		.amdhsa_private_segment_fixed_size 0
		.amdhsa_kernarg_size 368
		.amdhsa_user_sgpr_count 15
		.amdhsa_user_sgpr_dispatch_ptr 0
		.amdhsa_user_sgpr_queue_ptr 0
		.amdhsa_user_sgpr_kernarg_segment_ptr 1
		.amdhsa_user_sgpr_dispatch_id 0
		.amdhsa_user_sgpr_private_segment_size 0
		.amdhsa_wavefront_size32 1
		.amdhsa_uses_dynamic_stack 0
		.amdhsa_enable_private_segment 0
		.amdhsa_system_sgpr_workgroup_id_x 1
		.amdhsa_system_sgpr_workgroup_id_y 0
		.amdhsa_system_sgpr_workgroup_id_z 0
		.amdhsa_system_sgpr_workgroup_info 0
		.amdhsa_system_vgpr_workitem_id 0
		.amdhsa_next_free_vgpr 18
		.amdhsa_next_free_sgpr 72
		.amdhsa_reserve_vcc 1
		.amdhsa_float_round_mode_32 0
		.amdhsa_float_round_mode_16_64 0
		.amdhsa_float_denorm_mode_32 3
		.amdhsa_float_denorm_mode_16_64 3
		.amdhsa_dx10_clamp 1
		.amdhsa_ieee_mode 1
		.amdhsa_fp16_overflow 0
		.amdhsa_workgroup_processor_mode 1
		.amdhsa_memory_ordered 1
		.amdhsa_forward_progress 0
		.amdhsa_shared_vgpr_count 0
		.amdhsa_exception_fp_ieee_invalid_op 0
		.amdhsa_exception_fp_denorm_src 0
		.amdhsa_exception_fp_ieee_div_zero 0
		.amdhsa_exception_fp_ieee_overflow 0
		.amdhsa_exception_fp_ieee_underflow 0
		.amdhsa_exception_fp_ieee_inexact 0
		.amdhsa_exception_int_div_zero 0
	.end_amdhsa_kernel
	.section	.text._ZN2at6native32elementwise_kernel_manual_unrollILi128ELi4EZNS0_15gpu_kernel_implINS0_13BUnaryFunctorIfffZZZNS0_12_GLOBAL__N_132hermite_polynomial_h_kernel_cudaERNS_18TensorIteratorBaseEENKUlvE_clEvENKUlvE0_clEvEUlffE_EEEEvS6_RKT_EUlibE0_EEviT1_,"axG",@progbits,_ZN2at6native32elementwise_kernel_manual_unrollILi128ELi4EZNS0_15gpu_kernel_implINS0_13BUnaryFunctorIfffZZZNS0_12_GLOBAL__N_132hermite_polynomial_h_kernel_cudaERNS_18TensorIteratorBaseEENKUlvE_clEvENKUlvE0_clEvEUlffE_EEEEvS6_RKT_EUlibE0_EEviT1_,comdat
.Lfunc_end39:
	.size	_ZN2at6native32elementwise_kernel_manual_unrollILi128ELi4EZNS0_15gpu_kernel_implINS0_13BUnaryFunctorIfffZZZNS0_12_GLOBAL__N_132hermite_polynomial_h_kernel_cudaERNS_18TensorIteratorBaseEENKUlvE_clEvENKUlvE0_clEvEUlffE_EEEEvS6_RKT_EUlibE0_EEviT1_, .Lfunc_end39-_ZN2at6native32elementwise_kernel_manual_unrollILi128ELi4EZNS0_15gpu_kernel_implINS0_13BUnaryFunctorIfffZZZNS0_12_GLOBAL__N_132hermite_polynomial_h_kernel_cudaERNS_18TensorIteratorBaseEENKUlvE_clEvENKUlvE0_clEvEUlffE_EEEEvS6_RKT_EUlibE0_EEviT1_
                                        ; -- End function
	.section	.AMDGPU.csdata,"",@progbits
; Kernel info:
; codeLenInByte = 44908
; NumSgprs: 74
; NumVgprs: 18
; ScratchSize: 0
; MemoryBound: 1
; FloatMode: 240
; IeeeMode: 1
; LDSByteSize: 0 bytes/workgroup (compile time only)
; SGPRBlocks: 9
; VGPRBlocks: 2
; NumSGPRsForWavesPerEU: 74
; NumVGPRsForWavesPerEU: 18
; Occupancy: 16
; WaveLimiterHint : 1
; COMPUTE_PGM_RSRC2:SCRATCH_EN: 0
; COMPUTE_PGM_RSRC2:USER_SGPR: 15
; COMPUTE_PGM_RSRC2:TRAP_HANDLER: 0
; COMPUTE_PGM_RSRC2:TGID_X_EN: 1
; COMPUTE_PGM_RSRC2:TGID_Y_EN: 0
; COMPUTE_PGM_RSRC2:TGID_Z_EN: 0
; COMPUTE_PGM_RSRC2:TIDIG_COMP_CNT: 0
	.section	.text._ZN2at6native29vectorized_elementwise_kernelILi16ENS0_13BinaryFunctorIfffZZZNS0_12_GLOBAL__N_132hermite_polynomial_h_kernel_cudaERNS_18TensorIteratorBaseEENKUlvE_clEvENKUlvE0_clEvEUlffE_EESt5arrayIPcLm3EEEEviT0_T1_,"axG",@progbits,_ZN2at6native29vectorized_elementwise_kernelILi16ENS0_13BinaryFunctorIfffZZZNS0_12_GLOBAL__N_132hermite_polynomial_h_kernel_cudaERNS_18TensorIteratorBaseEENKUlvE_clEvENKUlvE0_clEvEUlffE_EESt5arrayIPcLm3EEEEviT0_T1_,comdat
	.globl	_ZN2at6native29vectorized_elementwise_kernelILi16ENS0_13BinaryFunctorIfffZZZNS0_12_GLOBAL__N_132hermite_polynomial_h_kernel_cudaERNS_18TensorIteratorBaseEENKUlvE_clEvENKUlvE0_clEvEUlffE_EESt5arrayIPcLm3EEEEviT0_T1_ ; -- Begin function _ZN2at6native29vectorized_elementwise_kernelILi16ENS0_13BinaryFunctorIfffZZZNS0_12_GLOBAL__N_132hermite_polynomial_h_kernel_cudaERNS_18TensorIteratorBaseEENKUlvE_clEvENKUlvE0_clEvEUlffE_EESt5arrayIPcLm3EEEEviT0_T1_
	.p2align	8
	.type	_ZN2at6native29vectorized_elementwise_kernelILi16ENS0_13BinaryFunctorIfffZZZNS0_12_GLOBAL__N_132hermite_polynomial_h_kernel_cudaERNS_18TensorIteratorBaseEENKUlvE_clEvENKUlvE0_clEvEUlffE_EESt5arrayIPcLm3EEEEviT0_T1_,@function
_ZN2at6native29vectorized_elementwise_kernelILi16ENS0_13BinaryFunctorIfffZZZNS0_12_GLOBAL__N_132hermite_polynomial_h_kernel_cudaERNS_18TensorIteratorBaseEENKUlvE_clEvENKUlvE0_clEvEUlffE_EESt5arrayIPcLm3EEEEviT0_T1_: ; @_ZN2at6native29vectorized_elementwise_kernelILi16ENS0_13BinaryFunctorIfffZZZNS0_12_GLOBAL__N_132hermite_polynomial_h_kernel_cudaERNS_18TensorIteratorBaseEENKUlvE_clEvENKUlvE0_clEvEUlffE_EESt5arrayIPcLm3EEEEviT0_T1_
; %bb.0:
	s_clause 0x2
	s_load_b32 s3, s[0:1], 0x0
	s_load_b128 s[4:7], s[0:1], 0x8
	s_load_b64 s[8:9], s[0:1], 0x18
	s_lshl_b32 s2, s15, 10
	s_mov_b32 s0, -1
	s_waitcnt lgkmcnt(0)
	s_sub_i32 s12, s3, s2
	s_delay_alu instid0(SALU_CYCLE_1)
	s_cmpk_gt_i32 s12, 0x3ff
	s_cbranch_scc0 .LBB40_50
; %bb.1:
	s_ashr_i32 s3, s2, 31
	v_lshlrev_b32_e32 v11, 4, v0
	s_lshl_b64 s[0:1], s[2:3], 2
	s_mov_b32 s3, exec_lo
	s_add_u32 s10, s6, s0
	s_addc_u32 s11, s7, s1
	s_add_u32 s14, s8, s0
	s_addc_u32 s15, s9, s1
	s_clause 0x1
	global_load_b128 v[1:4], v11, s[14:15]
	global_load_b128 v[5:8], v11, s[10:11]
	s_waitcnt vmcnt(1)
	v_trunc_f32_e32 v9, v1
	s_delay_alu instid0(VALU_DEP_1) | instskip(NEXT) | instid1(VALU_DEP_1)
	v_mul_f32_e64 v10, 0x2f800000, |v9|
	v_floor_f32_e32 v10, v10
	s_delay_alu instid0(VALU_DEP_1) | instskip(SKIP_2) | instid1(VALU_DEP_3)
	v_fma_f32 v12, 0xcf800000, v10, |v9|
	v_ashrrev_i32_e32 v9, 31, v9
	v_cvt_u32_f32_e32 v10, v10
	v_cvt_u32_f32_e32 v12, v12
	s_delay_alu instid0(VALU_DEP_2) | instskip(NEXT) | instid1(VALU_DEP_2)
	v_xor_b32_e32 v10, v10, v9
	v_xor_b32_e32 v12, v12, v9
	s_delay_alu instid0(VALU_DEP_1) | instskip(NEXT) | instid1(VALU_DEP_3)
	v_sub_co_u32 v12, vcc_lo, v12, v9
	v_sub_co_ci_u32_e32 v9, vcc_lo, v10, v9, vcc_lo
	v_cmp_class_f32_e64 vcc_lo, v1, 0x1f8
	s_delay_alu instid0(VALU_DEP_2) | instskip(NEXT) | instid1(VALU_DEP_4)
	v_dual_mov_b32 v1, 0 :: v_dual_cndmask_b32 v10, -1, v9
	v_cndmask_b32_e32 v9, -1, v12, vcc_lo
	s_delay_alu instid0(VALU_DEP_1)
	v_cmpx_lt_i64_e32 -1, v[9:10]
	s_cbranch_execz .LBB40_13
; %bb.2:
	v_mov_b32_e32 v1, 1.0
	s_mov_b32 s13, exec_lo
	v_cmpx_lt_i64_e32 0, v[9:10]
	s_cbranch_execz .LBB40_12
; %bb.3:
                                        ; implicit-def: $vgpr1
	s_mov_b32 s10, exec_lo
	v_cmpx_ne_u64_e32 1, v[9:10]
	s_xor_b32 s14, exec_lo, s10
	s_cbranch_execz .LBB40_9
; %bb.4:
	v_mov_b32_e32 v1, 0x7fc00000
	s_mov_b32 s15, exec_lo
	v_cmpx_gt_u64_e32 0x81, v[9:10]
	s_cbranch_execz .LBB40_8
; %bb.5:
	s_waitcnt vmcnt(0)
	v_dual_add_f32 v12, v5, v5 :: v_dual_mov_b32 v13, 1.0
	v_lshlrev_b64 v[9:10], 1, v[9:10]
	s_mov_b64 s[10:11], 2
	s_mov_b32 s16, 0
	s_delay_alu instid0(VALU_DEP_2)
	v_mov_b32_e32 v1, v12
	.p2align	6
.LBB40_6:                               ; =>This Inner Loop Header: Depth=1
	s_clz_i32_u32 s17, s11
	s_delay_alu instid0(SALU_CYCLE_1) | instskip(NEXT) | instid1(SALU_CYCLE_1)
	s_min_u32 s17, s17, 32
	s_lshl_b64 s[18:19], s[10:11], s17
	s_sub_i32 s17, 32, s17
	s_min_u32 s18, s18, 1
	s_delay_alu instid0(SALU_CYCLE_1) | instskip(SKIP_3) | instid1(SALU_CYCLE_1)
	s_or_b32 s18, s19, s18
	s_add_u32 s10, s10, 2
	v_cvt_f32_u32_e32 v14, s18
	s_addc_u32 s11, s11, 0
	v_cmp_ge_u64_e32 vcc_lo, s[10:11], v[9:10]
	s_delay_alu instid0(VALU_DEP_2) | instskip(SKIP_1) | instid1(VALU_DEP_1)
	v_ldexp_f32 v14, v14, s17
	s_or_b32 s16, vcc_lo, s16
	v_mul_f32_e32 v14, v13, v14
	v_mov_b32_e32 v13, v1
	s_delay_alu instid0(VALU_DEP_2)
	v_fma_f32 v1, v12, v1, -v14
	s_and_not1_b32 exec_lo, exec_lo, s16
	s_cbranch_execnz .LBB40_6
; %bb.7:
	s_or_b32 exec_lo, exec_lo, s16
.LBB40_8:
	s_delay_alu instid0(SALU_CYCLE_1)
	s_or_b32 exec_lo, exec_lo, s15
.LBB40_9:
	s_and_not1_saveexec_b32 s10, s14
	s_cbranch_execz .LBB40_11
; %bb.10:
	s_waitcnt vmcnt(0)
	v_add_f32_e32 v1, v5, v5
.LBB40_11:
	s_or_b32 exec_lo, exec_lo, s10
.LBB40_12:
	s_delay_alu instid0(SALU_CYCLE_1)
	s_or_b32 exec_lo, exec_lo, s13
.LBB40_13:
	s_delay_alu instid0(SALU_CYCLE_1) | instskip(SKIP_3) | instid1(VALU_DEP_1)
	s_or_b32 exec_lo, exec_lo, s3
	s_waitcnt vmcnt(0)
	v_trunc_f32_e32 v5, v2
	s_mov_b32 s3, exec_lo
	v_mul_f32_e64 v9, 0x2f800000, |v5|
	s_delay_alu instid0(VALU_DEP_1) | instskip(NEXT) | instid1(VALU_DEP_1)
	v_floor_f32_e32 v9, v9
	v_fma_f32 v10, 0xcf800000, v9, |v5|
	v_ashrrev_i32_e32 v5, 31, v5
	v_cvt_u32_f32_e32 v9, v9
	s_delay_alu instid0(VALU_DEP_3) | instskip(NEXT) | instid1(VALU_DEP_2)
	v_cvt_u32_f32_e32 v10, v10
	v_xor_b32_e32 v9, v9, v5
	s_delay_alu instid0(VALU_DEP_2) | instskip(NEXT) | instid1(VALU_DEP_1)
	v_xor_b32_e32 v10, v10, v5
	v_sub_co_u32 v12, vcc_lo, v10, v5
	s_delay_alu instid0(VALU_DEP_3) | instskip(SKIP_2) | instid1(VALU_DEP_3)
	v_sub_co_ci_u32_e32 v5, vcc_lo, v9, v5, vcc_lo
	v_cmp_class_f32_e64 vcc_lo, v2, 0x1f8
	v_mov_b32_e32 v2, 0
	v_dual_cndmask_b32 v10, -1, v5 :: v_dual_cndmask_b32 v9, -1, v12
	s_delay_alu instid0(VALU_DEP_1)
	v_cmpx_lt_i64_e32 -1, v[9:10]
	s_cbranch_execz .LBB40_25
; %bb.14:
	v_mov_b32_e32 v2, 1.0
	s_mov_b32 s13, exec_lo
	v_cmpx_lt_i64_e32 0, v[9:10]
	s_cbranch_execz .LBB40_24
; %bb.15:
	s_mov_b32 s10, exec_lo
	v_cmpx_ne_u64_e32 1, v[9:10]
	s_xor_b32 s14, exec_lo, s10
	s_cbranch_execz .LBB40_21
; %bb.16:
	v_mov_b32_e32 v2, 0x7fc00000
	s_mov_b32 s15, exec_lo
	v_cmpx_gt_u64_e32 0x81, v[9:10]
	s_cbranch_execz .LBB40_20
; %bb.17:
	v_dual_add_f32 v5, v6, v6 :: v_dual_mov_b32 v12, 1.0
	v_lshlrev_b64 v[9:10], 1, v[9:10]
	s_mov_b64 s[10:11], 2
	s_mov_b32 s16, 0
	s_delay_alu instid0(VALU_DEP_2)
	v_mov_b32_e32 v2, v5
	.p2align	6
.LBB40_18:                              ; =>This Inner Loop Header: Depth=1
	s_clz_i32_u32 s17, s11
	s_delay_alu instid0(SALU_CYCLE_1) | instskip(NEXT) | instid1(SALU_CYCLE_1)
	s_min_u32 s17, s17, 32
	s_lshl_b64 s[18:19], s[10:11], s17
	s_sub_i32 s17, 32, s17
	s_min_u32 s18, s18, 1
	s_delay_alu instid0(SALU_CYCLE_1) | instskip(SKIP_3) | instid1(SALU_CYCLE_1)
	s_or_b32 s18, s19, s18
	s_add_u32 s10, s10, 2
	v_cvt_f32_u32_e32 v13, s18
	s_addc_u32 s11, s11, 0
	v_cmp_ge_u64_e32 vcc_lo, s[10:11], v[9:10]
	s_delay_alu instid0(VALU_DEP_2) | instskip(SKIP_1) | instid1(VALU_DEP_1)
	v_ldexp_f32 v13, v13, s17
	s_or_b32 s16, vcc_lo, s16
	v_dual_mul_f32 v13, v12, v13 :: v_dual_mov_b32 v12, v2
	s_delay_alu instid0(VALU_DEP_1)
	v_fma_f32 v2, v5, v2, -v13
	s_and_not1_b32 exec_lo, exec_lo, s16
	s_cbranch_execnz .LBB40_18
; %bb.19:
	s_or_b32 exec_lo, exec_lo, s16
.LBB40_20:
	s_delay_alu instid0(SALU_CYCLE_1)
	s_or_b32 exec_lo, exec_lo, s15
.LBB40_21:
	s_and_not1_saveexec_b32 s10, s14
; %bb.22:
	v_add_f32_e32 v2, v6, v6
; %bb.23:
	s_or_b32 exec_lo, exec_lo, s10
.LBB40_24:
	s_delay_alu instid0(SALU_CYCLE_1)
	s_or_b32 exec_lo, exec_lo, s13
.LBB40_25:
	s_delay_alu instid0(SALU_CYCLE_1) | instskip(SKIP_2) | instid1(VALU_DEP_1)
	s_or_b32 exec_lo, exec_lo, s3
	v_trunc_f32_e32 v5, v3
	s_mov_b32 s3, exec_lo
	v_mul_f32_e64 v6, 0x2f800000, |v5|
	s_delay_alu instid0(VALU_DEP_1) | instskip(NEXT) | instid1(VALU_DEP_1)
	v_floor_f32_e32 v6, v6
	v_fma_f32 v9, 0xcf800000, v6, |v5|
	v_ashrrev_i32_e32 v5, 31, v5
	v_cvt_u32_f32_e32 v6, v6
	s_delay_alu instid0(VALU_DEP_3) | instskip(NEXT) | instid1(VALU_DEP_2)
	v_cvt_u32_f32_e32 v9, v9
	v_xor_b32_e32 v6, v6, v5
	s_delay_alu instid0(VALU_DEP_2) | instskip(NEXT) | instid1(VALU_DEP_1)
	v_xor_b32_e32 v9, v9, v5
	v_sub_co_u32 v9, vcc_lo, v9, v5
	s_delay_alu instid0(VALU_DEP_3) | instskip(SKIP_1) | instid1(VALU_DEP_2)
	v_sub_co_ci_u32_e32 v5, vcc_lo, v6, v5, vcc_lo
	v_cmp_class_f32_e64 vcc_lo, v3, 0x1f8
	v_dual_mov_b32 v3, 0 :: v_dual_cndmask_b32 v6, -1, v5
	s_delay_alu instid0(VALU_DEP_4) | instskip(NEXT) | instid1(VALU_DEP_1)
	v_cndmask_b32_e32 v5, -1, v9, vcc_lo
	v_cmpx_lt_i64_e32 -1, v[5:6]
	s_cbranch_execz .LBB40_37
; %bb.26:
	v_mov_b32_e32 v3, 1.0
	s_mov_b32 s13, exec_lo
	v_cmpx_lt_i64_e32 0, v[5:6]
	s_cbranch_execz .LBB40_36
; %bb.27:
	s_mov_b32 s10, exec_lo
	v_cmpx_ne_u64_e32 1, v[5:6]
	s_xor_b32 s14, exec_lo, s10
	s_cbranch_execz .LBB40_33
; %bb.28:
	v_mov_b32_e32 v3, 0x7fc00000
	s_mov_b32 s15, exec_lo
	v_cmpx_gt_u64_e32 0x81, v[5:6]
	s_cbranch_execz .LBB40_32
; %bb.29:
	v_dual_add_f32 v9, v7, v7 :: v_dual_mov_b32 v10, 1.0
	v_lshlrev_b64 v[5:6], 1, v[5:6]
	s_mov_b64 s[10:11], 2
	s_mov_b32 s16, 0
	s_delay_alu instid0(VALU_DEP_2)
	v_mov_b32_e32 v3, v9
	.p2align	6
.LBB40_30:                              ; =>This Inner Loop Header: Depth=1
	s_clz_i32_u32 s17, s11
	s_delay_alu instid0(SALU_CYCLE_1) | instskip(NEXT) | instid1(SALU_CYCLE_1)
	s_min_u32 s17, s17, 32
	s_lshl_b64 s[18:19], s[10:11], s17
	s_sub_i32 s17, 32, s17
	s_min_u32 s18, s18, 1
	s_delay_alu instid0(SALU_CYCLE_1) | instskip(SKIP_3) | instid1(SALU_CYCLE_1)
	s_or_b32 s18, s19, s18
	s_add_u32 s10, s10, 2
	v_cvt_f32_u32_e32 v12, s18
	s_addc_u32 s11, s11, 0
	v_cmp_ge_u64_e32 vcc_lo, s[10:11], v[5:6]
	s_delay_alu instid0(VALU_DEP_2) | instskip(SKIP_1) | instid1(VALU_DEP_1)
	v_ldexp_f32 v12, v12, s17
	s_or_b32 s16, vcc_lo, s16
	v_mul_f32_e32 v12, v10, v12
	v_mov_b32_e32 v10, v3
	s_delay_alu instid0(VALU_DEP_2)
	v_fma_f32 v3, v9, v3, -v12
	s_and_not1_b32 exec_lo, exec_lo, s16
	s_cbranch_execnz .LBB40_30
; %bb.31:
	s_or_b32 exec_lo, exec_lo, s16
.LBB40_32:
	s_delay_alu instid0(SALU_CYCLE_1)
	s_or_b32 exec_lo, exec_lo, s15
.LBB40_33:
	s_and_not1_saveexec_b32 s10, s14
; %bb.34:
	v_add_f32_e32 v3, v7, v7
; %bb.35:
	s_or_b32 exec_lo, exec_lo, s10
.LBB40_36:
	s_delay_alu instid0(SALU_CYCLE_1)
	s_or_b32 exec_lo, exec_lo, s13
.LBB40_37:
	s_delay_alu instid0(SALU_CYCLE_1) | instskip(SKIP_2) | instid1(VALU_DEP_1)
	s_or_b32 exec_lo, exec_lo, s3
	v_trunc_f32_e32 v5, v4
	s_mov_b32 s3, exec_lo
	v_mul_f32_e64 v6, 0x2f800000, |v5|
	s_delay_alu instid0(VALU_DEP_1) | instskip(NEXT) | instid1(VALU_DEP_1)
	v_floor_f32_e32 v6, v6
	v_fma_f32 v7, 0xcf800000, v6, |v5|
	v_ashrrev_i32_e32 v5, 31, v5
	v_cvt_u32_f32_e32 v6, v6
	s_delay_alu instid0(VALU_DEP_3) | instskip(NEXT) | instid1(VALU_DEP_2)
	v_cvt_u32_f32_e32 v7, v7
	v_xor_b32_e32 v6, v6, v5
	s_delay_alu instid0(VALU_DEP_2) | instskip(NEXT) | instid1(VALU_DEP_1)
	v_xor_b32_e32 v7, v7, v5
	v_sub_co_u32 v7, vcc_lo, v7, v5
	s_delay_alu instid0(VALU_DEP_3) | instskip(SKIP_2) | instid1(VALU_DEP_3)
	v_sub_co_ci_u32_e32 v5, vcc_lo, v6, v5, vcc_lo
	v_cmp_class_f32_e64 vcc_lo, v4, 0x1f8
	v_mov_b32_e32 v4, 0
	v_dual_cndmask_b32 v6, -1, v5 :: v_dual_cndmask_b32 v5, -1, v7
	s_delay_alu instid0(VALU_DEP_1)
	v_cmpx_lt_i64_e32 -1, v[5:6]
	s_cbranch_execz .LBB40_49
; %bb.38:
	v_mov_b32_e32 v4, 1.0
	s_mov_b32 s13, exec_lo
	v_cmpx_lt_i64_e32 0, v[5:6]
	s_cbranch_execz .LBB40_48
; %bb.39:
	s_mov_b32 s10, exec_lo
	v_cmpx_ne_u64_e32 1, v[5:6]
	s_xor_b32 s14, exec_lo, s10
	s_cbranch_execz .LBB40_45
; %bb.40:
	v_mov_b32_e32 v4, 0x7fc00000
	s_mov_b32 s15, exec_lo
	v_cmpx_gt_u64_e32 0x81, v[5:6]
	s_cbranch_execz .LBB40_44
; %bb.41:
	v_dual_add_f32 v7, v8, v8 :: v_dual_mov_b32 v8, 1.0
	v_lshlrev_b64 v[5:6], 1, v[5:6]
	s_mov_b64 s[10:11], 2
	s_mov_b32 s16, 0
	s_delay_alu instid0(VALU_DEP_2)
	v_mov_b32_e32 v4, v7
	.p2align	6
.LBB40_42:                              ; =>This Inner Loop Header: Depth=1
	s_clz_i32_u32 s17, s11
	s_delay_alu instid0(SALU_CYCLE_1) | instskip(NEXT) | instid1(SALU_CYCLE_1)
	s_min_u32 s17, s17, 32
	s_lshl_b64 s[18:19], s[10:11], s17
	s_sub_i32 s17, 32, s17
	s_min_u32 s18, s18, 1
	s_delay_alu instid0(SALU_CYCLE_1) | instskip(SKIP_3) | instid1(SALU_CYCLE_1)
	s_or_b32 s18, s19, s18
	s_add_u32 s10, s10, 2
	v_cvt_f32_u32_e32 v9, s18
	s_addc_u32 s11, s11, 0
	v_cmp_ge_u64_e32 vcc_lo, s[10:11], v[5:6]
	s_delay_alu instid0(VALU_DEP_2) | instskip(SKIP_1) | instid1(VALU_DEP_1)
	v_ldexp_f32 v9, v9, s17
	s_or_b32 s16, vcc_lo, s16
	v_mul_f32_e32 v9, v8, v9
	v_mov_b32_e32 v8, v4
	s_delay_alu instid0(VALU_DEP_2)
	v_fma_f32 v4, v7, v4, -v9
	s_and_not1_b32 exec_lo, exec_lo, s16
	s_cbranch_execnz .LBB40_42
; %bb.43:
	s_or_b32 exec_lo, exec_lo, s16
.LBB40_44:
	s_delay_alu instid0(SALU_CYCLE_1)
	s_or_b32 exec_lo, exec_lo, s15
                                        ; implicit-def: $vgpr5_vgpr6_vgpr7_vgpr8
.LBB40_45:
	s_and_not1_saveexec_b32 s10, s14
; %bb.46:
	v_add_f32_e32 v4, v8, v8
; %bb.47:
	s_or_b32 exec_lo, exec_lo, s10
.LBB40_48:
	s_delay_alu instid0(SALU_CYCLE_1)
	s_or_b32 exec_lo, exec_lo, s13
.LBB40_49:
	s_delay_alu instid0(SALU_CYCLE_1)
	s_or_b32 exec_lo, exec_lo, s3
	s_add_u32 s10, s4, s0
	s_addc_u32 s11, s5, s1
	s_mov_b32 s0, 0
	global_store_b128 v11, v[1:4], s[10:11]
.LBB40_50:
	s_and_b32 vcc_lo, exec_lo, s0
	s_cbranch_vccz .LBB40_107
; %bb.51:
	v_cmp_gt_i32_e32 vcc_lo, s12, v0
	v_dual_mov_b32 v13, 0 :: v_dual_mov_b32 v14, 0
	v_or_b32_e32 v5, s2, v0
	v_or_b32_e32 v8, 0x100, v0
	v_mov_b32_e32 v7, 0
	v_mov_b32_e32 v1, v0
	s_and_saveexec_b32 s1, vcc_lo
	s_cbranch_execz .LBB40_53
; %bb.52:
	v_mov_b32_e32 v6, 0
	s_delay_alu instid0(VALU_DEP_1) | instskip(NEXT) | instid1(VALU_DEP_1)
	v_lshlrev_b64 v[1:2], 2, v[5:6]
	v_add_co_u32 v3, s0, s6, v1
	s_delay_alu instid0(VALU_DEP_1) | instskip(SKIP_1) | instid1(VALU_DEP_1)
	v_add_co_ci_u32_e64 v4, s0, s7, v2, s0
	v_add_co_u32 v1, s0, s8, v1
	v_add_co_ci_u32_e64 v2, s0, s9, v2, s0
	global_load_b32 v7, v[3:4], off
	global_load_b32 v14, v[1:2], off
	v_or_b32_e32 v1, 0x100, v0
.LBB40_53:
	s_or_b32 exec_lo, exec_lo, s1
	v_mov_b32_e32 v6, 0
	s_mov_b32 s1, exec_lo
	s_delay_alu instid0(VALU_DEP_2)
	v_cmpx_gt_i32_e64 s12, v1
	s_cbranch_execz .LBB40_55
; %bb.54:
	v_dual_mov_b32 v3, 0 :: v_dual_add_nc_u32 v2, s2, v1
	v_add_nc_u32_e32 v1, 0x100, v1
	s_delay_alu instid0(VALU_DEP_2) | instskip(NEXT) | instid1(VALU_DEP_1)
	v_lshlrev_b64 v[2:3], 2, v[2:3]
	v_add_co_u32 v9, s0, s6, v2
	s_delay_alu instid0(VALU_DEP_1) | instskip(SKIP_1) | instid1(VALU_DEP_1)
	v_add_co_ci_u32_e64 v10, s0, s7, v3, s0
	v_add_co_u32 v2, s0, s8, v2
	v_add_co_ci_u32_e64 v3, s0, s9, v3, s0
	global_load_b32 v13, v[9:10], off
	global_load_b32 v6, v[2:3], off
.LBB40_55:
	s_or_b32 exec_lo, exec_lo, s1
	v_dual_mov_b32 v9, 0 :: v_dual_mov_b32 v12, 0
	v_mov_b32_e32 v11, 0
	s_mov_b32 s1, exec_lo
	v_cmpx_gt_i32_e64 s12, v1
	s_cbranch_execz .LBB40_57
; %bb.56:
	v_dual_mov_b32 v3, 0 :: v_dual_add_nc_u32 v2, s2, v1
	v_add_nc_u32_e32 v1, 0x100, v1
	s_delay_alu instid0(VALU_DEP_2) | instskip(NEXT) | instid1(VALU_DEP_1)
	v_lshlrev_b64 v[2:3], 2, v[2:3]
	v_add_co_u32 v10, s0, s6, v2
	s_delay_alu instid0(VALU_DEP_1) | instskip(SKIP_1) | instid1(VALU_DEP_1)
	v_add_co_ci_u32_e64 v11, s0, s7, v3, s0
	v_add_co_u32 v2, s0, s8, v2
	v_add_co_ci_u32_e64 v3, s0, s9, v3, s0
	global_load_b32 v11, v[10:11], off
	global_load_b32 v12, v[2:3], off
.LBB40_57:
	s_or_b32 exec_lo, exec_lo, s1
	v_mov_b32_e32 v10, 0
	s_mov_b32 s1, exec_lo
	v_cmpx_gt_i32_e64 s12, v1
	s_cbranch_execnz .LBB40_60
; %bb.58:
	s_or_b32 exec_lo, exec_lo, s1
                                        ; implicit-def: $vgpr1_vgpr2_vgpr3_vgpr4
	s_and_saveexec_b32 s1, vcc_lo
	s_cbranch_execnz .LBB40_61
.LBB40_59:
	s_or_b32 exec_lo, exec_lo, s1
	s_delay_alu instid0(SALU_CYCLE_1)
	s_mov_b32 s1, exec_lo
	v_cmpx_gt_i32_e64 s12, v8
	s_cbranch_execnz .LBB40_74
	s_branch .LBB40_87
.LBB40_60:
	v_dual_mov_b32 v2, 0 :: v_dual_add_nc_u32 v1, s2, v1
	s_delay_alu instid0(VALU_DEP_1) | instskip(NEXT) | instid1(VALU_DEP_1)
	v_lshlrev_b64 v[1:2], 2, v[1:2]
	v_add_co_u32 v3, s0, s6, v1
	s_delay_alu instid0(VALU_DEP_1) | instskip(SKIP_1) | instid1(VALU_DEP_1)
	v_add_co_ci_u32_e64 v4, s0, s7, v2, s0
	v_add_co_u32 v1, s0, s8, v1
	v_add_co_ci_u32_e64 v2, s0, s9, v2, s0
	global_load_b32 v9, v[3:4], off
	global_load_b32 v10, v[1:2], off
	s_or_b32 exec_lo, exec_lo, s1
                                        ; implicit-def: $vgpr1_vgpr2_vgpr3_vgpr4
	s_and_saveexec_b32 s1, vcc_lo
	s_cbranch_execz .LBB40_59
.LBB40_61:
	s_waitcnt vmcnt(0)
	v_trunc_f32_e32 v1, v14
	s_mov_b32 s3, exec_lo
	s_delay_alu instid0(VALU_DEP_1) | instskip(NEXT) | instid1(VALU_DEP_1)
	v_mul_f32_e64 v2, 0x2f800000, |v1|
	v_floor_f32_e32 v2, v2
	s_delay_alu instid0(VALU_DEP_1) | instskip(SKIP_2) | instid1(VALU_DEP_3)
	v_fma_f32 v3, 0xcf800000, v2, |v1|
	v_ashrrev_i32_e32 v1, 31, v1
	v_cvt_u32_f32_e32 v2, v2
	v_cvt_u32_f32_e32 v3, v3
	s_delay_alu instid0(VALU_DEP_2) | instskip(NEXT) | instid1(VALU_DEP_2)
	v_xor_b32_e32 v2, v2, v1
	v_xor_b32_e32 v3, v3, v1
	s_delay_alu instid0(VALU_DEP_1) | instskip(NEXT) | instid1(VALU_DEP_1)
	v_sub_co_u32 v4, s0, v3, v1
	v_sub_co_ci_u32_e64 v1, s0, v2, v1, s0
	v_cmp_class_f32_e64 s0, v14, 0x1f8
	s_delay_alu instid0(VALU_DEP_1) | instskip(NEXT) | instid1(VALU_DEP_4)
	v_cndmask_b32_e64 v3, -1, v1, s0
	v_cndmask_b32_e64 v2, -1, v4, s0
	v_mov_b32_e32 v1, 0
	s_delay_alu instid0(VALU_DEP_2)
	v_cmpx_lt_i64_e32 -1, v[2:3]
	s_cbranch_execz .LBB40_73
; %bb.62:
	v_mov_b32_e32 v1, 1.0
	s_mov_b32 s8, exec_lo
	v_cmpx_lt_i64_e32 0, v[2:3]
	s_cbranch_execz .LBB40_72
; %bb.63:
                                        ; implicit-def: $vgpr1
	s_mov_b32 s6, exec_lo
	v_cmpx_ne_u64_e32 1, v[2:3]
	s_xor_b32 s9, exec_lo, s6
	s_cbranch_execz .LBB40_69
; %bb.64:
	v_mov_b32_e32 v1, 0x7fc00000
	s_mov_b32 s10, exec_lo
	v_cmpx_gt_u64_e32 0x81, v[2:3]
	s_cbranch_execz .LBB40_68
; %bb.65:
	v_dual_add_f32 v4, v7, v7 :: v_dual_mov_b32 v7, 1.0
	v_lshlrev_b64 v[2:3], 1, v[2:3]
	s_mov_b64 s[6:7], 2
	s_mov_b32 s11, 0
	s_delay_alu instid0(VALU_DEP_2)
	v_mov_b32_e32 v1, v4
	.p2align	6
.LBB40_66:                              ; =>This Inner Loop Header: Depth=1
	s_clz_i32_u32 s0, s7
	s_delay_alu instid0(SALU_CYCLE_1) | instskip(NEXT) | instid1(SALU_CYCLE_1)
	s_min_u32 s0, s0, 32
	s_lshl_b64 s[14:15], s[6:7], s0
	s_sub_i32 s0, 32, s0
	s_min_u32 s13, s14, 1
	s_delay_alu instid0(SALU_CYCLE_1) | instskip(SKIP_3) | instid1(VALU_DEP_1)
	s_or_b32 s13, s15, s13
	s_add_u32 s6, s6, 2
	v_cvt_f32_u32_e32 v14, s13
	s_addc_u32 s7, s7, 0
	v_ldexp_f32 v14, v14, s0
	v_cmp_ge_u64_e64 s0, s[6:7], v[2:3]
	s_delay_alu instid0(VALU_DEP_2) | instskip(NEXT) | instid1(VALU_DEP_2)
	v_dual_mul_f32 v14, v7, v14 :: v_dual_mov_b32 v7, v1
	s_or_b32 s11, s0, s11
	s_delay_alu instid0(VALU_DEP_1)
	v_fma_f32 v1, v4, v1, -v14
	s_and_not1_b32 exec_lo, exec_lo, s11
	s_cbranch_execnz .LBB40_66
; %bb.67:
	s_or_b32 exec_lo, exec_lo, s11
.LBB40_68:
	s_delay_alu instid0(SALU_CYCLE_1)
	s_or_b32 exec_lo, exec_lo, s10
                                        ; implicit-def: $vgpr7
.LBB40_69:
	s_and_not1_saveexec_b32 s0, s9
; %bb.70:
	v_add_f32_e32 v1, v7, v7
; %bb.71:
	s_or_b32 exec_lo, exec_lo, s0
.LBB40_72:
	s_delay_alu instid0(SALU_CYCLE_1)
	s_or_b32 exec_lo, exec_lo, s8
.LBB40_73:
	s_delay_alu instid0(SALU_CYCLE_1) | instskip(NEXT) | instid1(SALU_CYCLE_1)
	s_or_b32 exec_lo, exec_lo, s3
	s_or_b32 exec_lo, exec_lo, s1
	s_delay_alu instid0(SALU_CYCLE_1)
	s_mov_b32 s1, exec_lo
	v_cmpx_gt_i32_e64 s12, v8
	s_cbranch_execz .LBB40_87
.LBB40_74:
	s_waitcnt vmcnt(0)
	v_trunc_f32_e32 v2, v6
	s_mov_b32 s3, exec_lo
	s_delay_alu instid0(VALU_DEP_1) | instskip(NEXT) | instid1(VALU_DEP_1)
	v_mul_f32_e64 v7, 0x2f800000, |v2|
	v_floor_f32_e32 v7, v7
	s_delay_alu instid0(VALU_DEP_1) | instskip(SKIP_2) | instid1(VALU_DEP_3)
	v_fma_f32 v14, 0xcf800000, v7, |v2|
	v_ashrrev_i32_e32 v2, 31, v2
	v_cvt_u32_f32_e32 v7, v7
	v_cvt_u32_f32_e32 v14, v14
	s_delay_alu instid0(VALU_DEP_2) | instskip(NEXT) | instid1(VALU_DEP_2)
	v_xor_b32_e32 v7, v7, v2
	v_xor_b32_e32 v14, v14, v2
	s_delay_alu instid0(VALU_DEP_1) | instskip(NEXT) | instid1(VALU_DEP_1)
	v_sub_co_u32 v14, s0, v14, v2
	v_sub_co_ci_u32_e64 v2, s0, v7, v2, s0
	v_cmp_class_f32_e64 s0, v6, 0x1f8
	s_delay_alu instid0(VALU_DEP_1) | instskip(NEXT) | instid1(VALU_DEP_4)
	v_cndmask_b32_e64 v7, -1, v2, s0
	v_cndmask_b32_e64 v6, -1, v14, s0
	v_mov_b32_e32 v2, 0
	s_delay_alu instid0(VALU_DEP_2)
	v_cmpx_lt_i64_e32 -1, v[6:7]
	s_cbranch_execz .LBB40_86
; %bb.75:
	v_mov_b32_e32 v2, 1.0
	s_mov_b32 s8, exec_lo
	v_cmpx_lt_i64_e32 0, v[6:7]
	s_cbranch_execz .LBB40_85
; %bb.76:
	s_mov_b32 s6, exec_lo
	v_cmpx_ne_u64_e32 1, v[6:7]
	s_xor_b32 s9, exec_lo, s6
	s_cbranch_execz .LBB40_82
; %bb.77:
	v_mov_b32_e32 v2, 0x7fc00000
	s_mov_b32 s10, exec_lo
	v_cmpx_gt_u64_e32 0x81, v[6:7]
	s_cbranch_execz .LBB40_81
; %bb.78:
	v_dual_add_f32 v13, v13, v13 :: v_dual_mov_b32 v14, 1.0
	v_lshlrev_b64 v[6:7], 1, v[6:7]
	s_mov_b64 s[6:7], 2
	s_mov_b32 s11, 0
	s_delay_alu instid0(VALU_DEP_2)
	v_mov_b32_e32 v2, v13
	.p2align	6
.LBB40_79:                              ; =>This Inner Loop Header: Depth=1
	s_clz_i32_u32 s0, s7
	s_delay_alu instid0(SALU_CYCLE_1) | instskip(NEXT) | instid1(SALU_CYCLE_1)
	s_min_u32 s0, s0, 32
	s_lshl_b64 s[14:15], s[6:7], s0
	s_sub_i32 s0, 32, s0
	s_min_u32 s13, s14, 1
	s_delay_alu instid0(SALU_CYCLE_1) | instskip(SKIP_3) | instid1(VALU_DEP_1)
	s_or_b32 s13, s15, s13
	s_add_u32 s6, s6, 2
	v_cvt_f32_u32_e32 v15, s13
	s_addc_u32 s7, s7, 0
	v_ldexp_f32 v15, v15, s0
	v_cmp_ge_u64_e64 s0, s[6:7], v[6:7]
	s_delay_alu instid0(VALU_DEP_2) | instskip(SKIP_1) | instid1(VALU_DEP_3)
	v_mul_f32_e32 v15, v14, v15
	v_mov_b32_e32 v14, v2
	s_or_b32 s11, s0, s11
	s_delay_alu instid0(VALU_DEP_2)
	v_fma_f32 v2, v13, v2, -v15
	s_and_not1_b32 exec_lo, exec_lo, s11
	s_cbranch_execnz .LBB40_79
; %bb.80:
	s_or_b32 exec_lo, exec_lo, s11
.LBB40_81:
	s_delay_alu instid0(SALU_CYCLE_1)
	s_or_b32 exec_lo, exec_lo, s10
                                        ; implicit-def: $vgpr13
.LBB40_82:
	s_and_not1_saveexec_b32 s0, s9
; %bb.83:
	v_add_f32_e32 v2, v13, v13
; %bb.84:
	s_or_b32 exec_lo, exec_lo, s0
.LBB40_85:
	s_delay_alu instid0(SALU_CYCLE_1)
	s_or_b32 exec_lo, exec_lo, s8
.LBB40_86:
	s_delay_alu instid0(SALU_CYCLE_1)
	s_or_b32 exec_lo, exec_lo, s3
.LBB40_87:
	s_delay_alu instid0(SALU_CYCLE_1) | instskip(SKIP_3) | instid1(VALU_DEP_1)
	s_or_b32 exec_lo, exec_lo, s1
	s_waitcnt vmcnt(0)
	v_or_b32_e32 v6, 0x200, v0
	s_mov_b32 s1, exec_lo
	v_cmpx_gt_i32_e64 s12, v6
	s_cbranch_execz .LBB40_101
; %bb.88:
	v_trunc_f32_e32 v3, v12
	s_mov_b32 s3, exec_lo
	s_delay_alu instid0(VALU_DEP_1) | instskip(NEXT) | instid1(VALU_DEP_1)
	v_mul_f32_e64 v6, 0x2f800000, |v3|
	v_floor_f32_e32 v6, v6
	s_delay_alu instid0(VALU_DEP_1) | instskip(SKIP_2) | instid1(VALU_DEP_3)
	v_fma_f32 v7, 0xcf800000, v6, |v3|
	v_ashrrev_i32_e32 v3, 31, v3
	v_cvt_u32_f32_e32 v6, v6
	v_cvt_u32_f32_e32 v7, v7
	s_delay_alu instid0(VALU_DEP_2) | instskip(NEXT) | instid1(VALU_DEP_2)
	v_xor_b32_e32 v6, v6, v3
	v_xor_b32_e32 v7, v7, v3
	s_delay_alu instid0(VALU_DEP_1) | instskip(NEXT) | instid1(VALU_DEP_1)
	v_sub_co_u32 v13, s0, v7, v3
	v_sub_co_ci_u32_e64 v3, s0, v6, v3, s0
	v_cmp_class_f32_e64 s0, v12, 0x1f8
	s_delay_alu instid0(VALU_DEP_1) | instskip(NEXT) | instid1(VALU_DEP_4)
	v_cndmask_b32_e64 v7, -1, v3, s0
	v_cndmask_b32_e64 v6, -1, v13, s0
	v_mov_b32_e32 v3, 0
	s_delay_alu instid0(VALU_DEP_2)
	v_cmpx_lt_i64_e32 -1, v[6:7]
	s_cbranch_execz .LBB40_100
; %bb.89:
	v_mov_b32_e32 v3, 1.0
	s_mov_b32 s8, exec_lo
	v_cmpx_lt_i64_e32 0, v[6:7]
	s_cbranch_execz .LBB40_99
; %bb.90:
	s_mov_b32 s6, exec_lo
	v_cmpx_ne_u64_e32 1, v[6:7]
	s_xor_b32 s9, exec_lo, s6
	s_cbranch_execz .LBB40_96
; %bb.91:
	v_mov_b32_e32 v3, 0x7fc00000
	s_mov_b32 s10, exec_lo
	v_cmpx_gt_u64_e32 0x81, v[6:7]
	s_cbranch_execz .LBB40_95
; %bb.92:
	v_dual_add_f32 v11, v11, v11 :: v_dual_mov_b32 v12, 1.0
	v_lshlrev_b64 v[6:7], 1, v[6:7]
	s_mov_b64 s[6:7], 2
	s_mov_b32 s11, 0
	s_delay_alu instid0(VALU_DEP_2)
	v_mov_b32_e32 v3, v11
	.p2align	6
.LBB40_93:                              ; =>This Inner Loop Header: Depth=1
	s_clz_i32_u32 s0, s7
	s_delay_alu instid0(SALU_CYCLE_1) | instskip(NEXT) | instid1(SALU_CYCLE_1)
	s_min_u32 s0, s0, 32
	s_lshl_b64 s[14:15], s[6:7], s0
	s_sub_i32 s0, 32, s0
	s_min_u32 s13, s14, 1
	s_delay_alu instid0(SALU_CYCLE_1) | instskip(SKIP_3) | instid1(VALU_DEP_1)
	s_or_b32 s13, s15, s13
	s_add_u32 s6, s6, 2
	v_cvt_f32_u32_e32 v13, s13
	s_addc_u32 s7, s7, 0
	v_ldexp_f32 v13, v13, s0
	v_cmp_ge_u64_e64 s0, s[6:7], v[6:7]
	s_delay_alu instid0(VALU_DEP_2) | instskip(NEXT) | instid1(VALU_DEP_2)
	v_dual_mul_f32 v13, v12, v13 :: v_dual_mov_b32 v12, v3
	s_or_b32 s11, s0, s11
	s_delay_alu instid0(VALU_DEP_1)
	v_fma_f32 v3, v11, v3, -v13
	s_and_not1_b32 exec_lo, exec_lo, s11
	s_cbranch_execnz .LBB40_93
; %bb.94:
	s_or_b32 exec_lo, exec_lo, s11
.LBB40_95:
	s_delay_alu instid0(SALU_CYCLE_1)
	s_or_b32 exec_lo, exec_lo, s10
                                        ; implicit-def: $vgpr11
.LBB40_96:
	s_and_not1_saveexec_b32 s0, s9
; %bb.97:
	v_add_f32_e32 v3, v11, v11
; %bb.98:
	s_or_b32 exec_lo, exec_lo, s0
.LBB40_99:
	s_delay_alu instid0(SALU_CYCLE_1)
	s_or_b32 exec_lo, exec_lo, s8
.LBB40_100:
	s_delay_alu instid0(SALU_CYCLE_1)
	s_or_b32 exec_lo, exec_lo, s3
.LBB40_101:
	s_delay_alu instid0(SALU_CYCLE_1) | instskip(SKIP_2) | instid1(VALU_DEP_1)
	s_or_b32 exec_lo, exec_lo, s1
	v_or_b32_e32 v6, 0x300, v0
	s_mov_b32 s1, exec_lo
	v_cmpx_gt_i32_e64 s12, v6
	s_cbranch_execnz .LBB40_108
; %bb.102:
	s_or_b32 exec_lo, exec_lo, s1
	s_and_saveexec_b32 s0, vcc_lo
	s_delay_alu instid0(SALU_CYCLE_1)
	s_xor_b32 s0, exec_lo, s0
	s_cbranch_execnz .LBB40_121
.LBB40_103:
	s_or_b32 exec_lo, exec_lo, s0
	s_delay_alu instid0(SALU_CYCLE_1)
	s_mov_b32 s0, exec_lo
	v_cmpx_gt_i32_e64 s12, v0
	s_cbranch_execnz .LBB40_122
.LBB40_104:
	s_or_b32 exec_lo, exec_lo, s0
	s_delay_alu instid0(SALU_CYCLE_1)
	s_mov_b32 s0, exec_lo
	v_cmpx_gt_i32_e64 s12, v0
	s_cbranch_execnz .LBB40_123
.LBB40_105:
	s_or_b32 exec_lo, exec_lo, s0
	s_delay_alu instid0(SALU_CYCLE_1)
	s_mov_b32 s0, exec_lo
	v_cmpx_gt_i32_e64 s12, v0
	s_cbranch_execz .LBB40_107
.LBB40_106:
	v_dual_mov_b32 v1, 0 :: v_dual_add_nc_u32 v0, s2, v0
	s_delay_alu instid0(VALU_DEP_1) | instskip(NEXT) | instid1(VALU_DEP_1)
	v_lshlrev_b64 v[0:1], 2, v[0:1]
	v_add_co_u32 v0, vcc_lo, s4, v0
	s_delay_alu instid0(VALU_DEP_2)
	v_add_co_ci_u32_e32 v1, vcc_lo, s5, v1, vcc_lo
	global_store_b32 v[0:1], v4, off
.LBB40_107:
	s_nop 0
	s_sendmsg sendmsg(MSG_DEALLOC_VGPRS)
	s_endpgm
.LBB40_108:
	v_trunc_f32_e32 v4, v10
	s_mov_b32 s3, exec_lo
	s_delay_alu instid0(VALU_DEP_1) | instskip(NEXT) | instid1(VALU_DEP_1)
	v_mul_f32_e64 v6, 0x2f800000, |v4|
	v_floor_f32_e32 v6, v6
	s_delay_alu instid0(VALU_DEP_1) | instskip(SKIP_2) | instid1(VALU_DEP_3)
	v_fma_f32 v7, 0xcf800000, v6, |v4|
	v_ashrrev_i32_e32 v4, 31, v4
	v_cvt_u32_f32_e32 v6, v6
	v_cvt_u32_f32_e32 v7, v7
	s_delay_alu instid0(VALU_DEP_2) | instskip(NEXT) | instid1(VALU_DEP_2)
	v_xor_b32_e32 v6, v6, v4
	v_xor_b32_e32 v7, v7, v4
	s_delay_alu instid0(VALU_DEP_1) | instskip(NEXT) | instid1(VALU_DEP_1)
	v_sub_co_u32 v11, s0, v7, v4
	v_sub_co_ci_u32_e64 v4, s0, v6, v4, s0
	v_cmp_class_f32_e64 s0, v10, 0x1f8
	s_delay_alu instid0(VALU_DEP_1) | instskip(NEXT) | instid1(VALU_DEP_4)
	v_cndmask_b32_e64 v7, -1, v4, s0
	v_cndmask_b32_e64 v6, -1, v11, s0
	v_mov_b32_e32 v4, 0
	s_delay_alu instid0(VALU_DEP_2)
	v_cmpx_lt_i64_e32 -1, v[6:7]
	s_cbranch_execz .LBB40_120
; %bb.109:
	v_mov_b32_e32 v4, 1.0
	s_mov_b32 s8, exec_lo
	v_cmpx_lt_i64_e32 0, v[6:7]
	s_cbranch_execz .LBB40_119
; %bb.110:
	s_mov_b32 s6, exec_lo
	v_cmpx_ne_u64_e32 1, v[6:7]
	s_xor_b32 s9, exec_lo, s6
	s_cbranch_execz .LBB40_116
; %bb.111:
	v_mov_b32_e32 v4, 0x7fc00000
	s_mov_b32 s10, exec_lo
	v_cmpx_gt_u64_e32 0x81, v[6:7]
	s_cbranch_execz .LBB40_115
; %bb.112:
	v_dual_add_f32 v9, v9, v9 :: v_dual_mov_b32 v10, 1.0
	v_lshlrev_b64 v[6:7], 1, v[6:7]
	s_mov_b64 s[6:7], 2
	s_mov_b32 s11, 0
	s_delay_alu instid0(VALU_DEP_2)
	v_mov_b32_e32 v4, v9
	.p2align	6
.LBB40_113:                             ; =>This Inner Loop Header: Depth=1
	s_clz_i32_u32 s0, s7
	s_delay_alu instid0(SALU_CYCLE_1) | instskip(NEXT) | instid1(SALU_CYCLE_1)
	s_min_u32 s0, s0, 32
	s_lshl_b64 s[14:15], s[6:7], s0
	s_sub_i32 s0, 32, s0
	s_min_u32 s13, s14, 1
	s_delay_alu instid0(SALU_CYCLE_1) | instskip(SKIP_3) | instid1(VALU_DEP_1)
	s_or_b32 s13, s15, s13
	s_add_u32 s6, s6, 2
	v_cvt_f32_u32_e32 v11, s13
	s_addc_u32 s7, s7, 0
	v_ldexp_f32 v11, v11, s0
	v_cmp_ge_u64_e64 s0, s[6:7], v[6:7]
	s_delay_alu instid0(VALU_DEP_2) | instskip(NEXT) | instid1(VALU_DEP_2)
	v_dual_mul_f32 v11, v10, v11 :: v_dual_mov_b32 v10, v4
	s_or_b32 s11, s0, s11
	s_delay_alu instid0(VALU_DEP_1)
	v_fma_f32 v4, v9, v4, -v11
	s_and_not1_b32 exec_lo, exec_lo, s11
	s_cbranch_execnz .LBB40_113
; %bb.114:
	s_or_b32 exec_lo, exec_lo, s11
.LBB40_115:
	s_delay_alu instid0(SALU_CYCLE_1)
	s_or_b32 exec_lo, exec_lo, s10
                                        ; implicit-def: $vgpr9
.LBB40_116:
	s_and_not1_saveexec_b32 s0, s9
; %bb.117:
	v_add_f32_e32 v4, v9, v9
; %bb.118:
	s_or_b32 exec_lo, exec_lo, s0
.LBB40_119:
	s_delay_alu instid0(SALU_CYCLE_1)
	s_or_b32 exec_lo, exec_lo, s8
.LBB40_120:
	s_delay_alu instid0(SALU_CYCLE_1) | instskip(NEXT) | instid1(SALU_CYCLE_1)
	s_or_b32 exec_lo, exec_lo, s3
	s_or_b32 exec_lo, exec_lo, s1
	s_and_saveexec_b32 s0, vcc_lo
	s_delay_alu instid0(SALU_CYCLE_1)
	s_xor_b32 s0, exec_lo, s0
	s_cbranch_execz .LBB40_103
.LBB40_121:
	v_mov_b32_e32 v6, 0
	v_mov_b32_e32 v0, v8
	s_delay_alu instid0(VALU_DEP_2) | instskip(NEXT) | instid1(VALU_DEP_1)
	v_lshlrev_b64 v[5:6], 2, v[5:6]
	v_add_co_u32 v5, vcc_lo, s4, v5
	s_delay_alu instid0(VALU_DEP_2) | instskip(SKIP_2) | instid1(SALU_CYCLE_1)
	v_add_co_ci_u32_e32 v6, vcc_lo, s5, v6, vcc_lo
	global_store_b32 v[5:6], v1, off
	s_or_b32 exec_lo, exec_lo, s0
	s_mov_b32 s0, exec_lo
	v_cmpx_gt_i32_e64 s12, v0
	s_cbranch_execz .LBB40_104
.LBB40_122:
	v_dual_mov_b32 v6, 0 :: v_dual_add_nc_u32 v5, s2, v0
	v_add_nc_u32_e32 v0, 0x100, v0
	s_delay_alu instid0(VALU_DEP_2) | instskip(NEXT) | instid1(VALU_DEP_1)
	v_lshlrev_b64 v[5:6], 2, v[5:6]
	v_add_co_u32 v5, vcc_lo, s4, v5
	s_delay_alu instid0(VALU_DEP_2) | instskip(SKIP_2) | instid1(SALU_CYCLE_1)
	v_add_co_ci_u32_e32 v6, vcc_lo, s5, v6, vcc_lo
	global_store_b32 v[5:6], v2, off
	s_or_b32 exec_lo, exec_lo, s0
	s_mov_b32 s0, exec_lo
	v_cmpx_gt_i32_e64 s12, v0
	s_cbranch_execz .LBB40_105
.LBB40_123:
	v_dual_mov_b32 v2, 0 :: v_dual_add_nc_u32 v1, s2, v0
	v_add_nc_u32_e32 v0, 0x100, v0
	s_delay_alu instid0(VALU_DEP_2) | instskip(NEXT) | instid1(VALU_DEP_1)
	v_lshlrev_b64 v[1:2], 2, v[1:2]
	v_add_co_u32 v1, vcc_lo, s4, v1
	s_delay_alu instid0(VALU_DEP_2) | instskip(SKIP_2) | instid1(SALU_CYCLE_1)
	v_add_co_ci_u32_e32 v2, vcc_lo, s5, v2, vcc_lo
	global_store_b32 v[1:2], v3, off
	s_or_b32 exec_lo, exec_lo, s0
	s_mov_b32 s0, exec_lo
	v_cmpx_gt_i32_e64 s12, v0
	s_cbranch_execnz .LBB40_106
	s_branch .LBB40_107
	.section	.rodata,"a",@progbits
	.p2align	6, 0x0
	.amdhsa_kernel _ZN2at6native29vectorized_elementwise_kernelILi16ENS0_13BinaryFunctorIfffZZZNS0_12_GLOBAL__N_132hermite_polynomial_h_kernel_cudaERNS_18TensorIteratorBaseEENKUlvE_clEvENKUlvE0_clEvEUlffE_EESt5arrayIPcLm3EEEEviT0_T1_
		.amdhsa_group_segment_fixed_size 0
		.amdhsa_private_segment_fixed_size 0
		.amdhsa_kernarg_size 32
		.amdhsa_user_sgpr_count 15
		.amdhsa_user_sgpr_dispatch_ptr 0
		.amdhsa_user_sgpr_queue_ptr 0
		.amdhsa_user_sgpr_kernarg_segment_ptr 1
		.amdhsa_user_sgpr_dispatch_id 0
		.amdhsa_user_sgpr_private_segment_size 0
		.amdhsa_wavefront_size32 1
		.amdhsa_uses_dynamic_stack 0
		.amdhsa_enable_private_segment 0
		.amdhsa_system_sgpr_workgroup_id_x 1
		.amdhsa_system_sgpr_workgroup_id_y 0
		.amdhsa_system_sgpr_workgroup_id_z 0
		.amdhsa_system_sgpr_workgroup_info 0
		.amdhsa_system_vgpr_workitem_id 0
		.amdhsa_next_free_vgpr 16
		.amdhsa_next_free_sgpr 20
		.amdhsa_reserve_vcc 1
		.amdhsa_float_round_mode_32 0
		.amdhsa_float_round_mode_16_64 0
		.amdhsa_float_denorm_mode_32 3
		.amdhsa_float_denorm_mode_16_64 3
		.amdhsa_dx10_clamp 1
		.amdhsa_ieee_mode 1
		.amdhsa_fp16_overflow 0
		.amdhsa_workgroup_processor_mode 1
		.amdhsa_memory_ordered 1
		.amdhsa_forward_progress 0
		.amdhsa_shared_vgpr_count 0
		.amdhsa_exception_fp_ieee_invalid_op 0
		.amdhsa_exception_fp_denorm_src 0
		.amdhsa_exception_fp_ieee_div_zero 0
		.amdhsa_exception_fp_ieee_overflow 0
		.amdhsa_exception_fp_ieee_underflow 0
		.amdhsa_exception_fp_ieee_inexact 0
		.amdhsa_exception_int_div_zero 0
	.end_amdhsa_kernel
	.section	.text._ZN2at6native29vectorized_elementwise_kernelILi16ENS0_13BinaryFunctorIfffZZZNS0_12_GLOBAL__N_132hermite_polynomial_h_kernel_cudaERNS_18TensorIteratorBaseEENKUlvE_clEvENKUlvE0_clEvEUlffE_EESt5arrayIPcLm3EEEEviT0_T1_,"axG",@progbits,_ZN2at6native29vectorized_elementwise_kernelILi16ENS0_13BinaryFunctorIfffZZZNS0_12_GLOBAL__N_132hermite_polynomial_h_kernel_cudaERNS_18TensorIteratorBaseEENKUlvE_clEvENKUlvE0_clEvEUlffE_EESt5arrayIPcLm3EEEEviT0_T1_,comdat
.Lfunc_end40:
	.size	_ZN2at6native29vectorized_elementwise_kernelILi16ENS0_13BinaryFunctorIfffZZZNS0_12_GLOBAL__N_132hermite_polynomial_h_kernel_cudaERNS_18TensorIteratorBaseEENKUlvE_clEvENKUlvE0_clEvEUlffE_EESt5arrayIPcLm3EEEEviT0_T1_, .Lfunc_end40-_ZN2at6native29vectorized_elementwise_kernelILi16ENS0_13BinaryFunctorIfffZZZNS0_12_GLOBAL__N_132hermite_polynomial_h_kernel_cudaERNS_18TensorIteratorBaseEENKUlvE_clEvENKUlvE0_clEvEUlffE_EESt5arrayIPcLm3EEEEviT0_T1_
                                        ; -- End function
	.section	.AMDGPU.csdata,"",@progbits
; Kernel info:
; codeLenInByte = 3920
; NumSgprs: 22
; NumVgprs: 16
; ScratchSize: 0
; MemoryBound: 0
; FloatMode: 240
; IeeeMode: 1
; LDSByteSize: 0 bytes/workgroup (compile time only)
; SGPRBlocks: 2
; VGPRBlocks: 1
; NumSGPRsForWavesPerEU: 22
; NumVGPRsForWavesPerEU: 16
; Occupancy: 16
; WaveLimiterHint : 0
; COMPUTE_PGM_RSRC2:SCRATCH_EN: 0
; COMPUTE_PGM_RSRC2:USER_SGPR: 15
; COMPUTE_PGM_RSRC2:TRAP_HANDLER: 0
; COMPUTE_PGM_RSRC2:TGID_X_EN: 1
; COMPUTE_PGM_RSRC2:TGID_Y_EN: 0
; COMPUTE_PGM_RSRC2:TGID_Z_EN: 0
; COMPUTE_PGM_RSRC2:TIDIG_COMP_CNT: 0
	.section	.text._ZN2at6native29vectorized_elementwise_kernelILi8ENS0_13BinaryFunctorIfffZZZNS0_12_GLOBAL__N_132hermite_polynomial_h_kernel_cudaERNS_18TensorIteratorBaseEENKUlvE_clEvENKUlvE0_clEvEUlffE_EESt5arrayIPcLm3EEEEviT0_T1_,"axG",@progbits,_ZN2at6native29vectorized_elementwise_kernelILi8ENS0_13BinaryFunctorIfffZZZNS0_12_GLOBAL__N_132hermite_polynomial_h_kernel_cudaERNS_18TensorIteratorBaseEENKUlvE_clEvENKUlvE0_clEvEUlffE_EESt5arrayIPcLm3EEEEviT0_T1_,comdat
	.globl	_ZN2at6native29vectorized_elementwise_kernelILi8ENS0_13BinaryFunctorIfffZZZNS0_12_GLOBAL__N_132hermite_polynomial_h_kernel_cudaERNS_18TensorIteratorBaseEENKUlvE_clEvENKUlvE0_clEvEUlffE_EESt5arrayIPcLm3EEEEviT0_T1_ ; -- Begin function _ZN2at6native29vectorized_elementwise_kernelILi8ENS0_13BinaryFunctorIfffZZZNS0_12_GLOBAL__N_132hermite_polynomial_h_kernel_cudaERNS_18TensorIteratorBaseEENKUlvE_clEvENKUlvE0_clEvEUlffE_EESt5arrayIPcLm3EEEEviT0_T1_
	.p2align	8
	.type	_ZN2at6native29vectorized_elementwise_kernelILi8ENS0_13BinaryFunctorIfffZZZNS0_12_GLOBAL__N_132hermite_polynomial_h_kernel_cudaERNS_18TensorIteratorBaseEENKUlvE_clEvENKUlvE0_clEvEUlffE_EESt5arrayIPcLm3EEEEviT0_T1_,@function
_ZN2at6native29vectorized_elementwise_kernelILi8ENS0_13BinaryFunctorIfffZZZNS0_12_GLOBAL__N_132hermite_polynomial_h_kernel_cudaERNS_18TensorIteratorBaseEENKUlvE_clEvENKUlvE0_clEvEUlffE_EESt5arrayIPcLm3EEEEviT0_T1_: ; @_ZN2at6native29vectorized_elementwise_kernelILi8ENS0_13BinaryFunctorIfffZZZNS0_12_GLOBAL__N_132hermite_polynomial_h_kernel_cudaERNS_18TensorIteratorBaseEENKUlvE_clEvENKUlvE0_clEvEUlffE_EESt5arrayIPcLm3EEEEviT0_T1_
; %bb.0:
	s_clause 0x2
	s_load_b32 s3, s[0:1], 0x0
	s_load_b128 s[4:7], s[0:1], 0x8
	s_load_b64 s[8:9], s[0:1], 0x18
	s_lshl_b32 s2, s15, 10
	s_mov_b32 s0, -1
	s_waitcnt lgkmcnt(0)
	s_sub_i32 s12, s3, s2
	s_delay_alu instid0(SALU_CYCLE_1)
	s_cmpk_gt_i32 s12, 0x3ff
	s_cbranch_scc0 .LBB41_50
; %bb.1:
	s_ashr_i32 s3, s2, 31
	v_lshlrev_b32_e32 v11, 4, v0
	s_lshl_b64 s[0:1], s[2:3], 2
	s_mov_b32 s3, exec_lo
	s_add_u32 s10, s6, s0
	s_addc_u32 s11, s7, s1
	s_add_u32 s14, s8, s0
	s_addc_u32 s15, s9, s1
	s_clause 0x1
	global_load_b128 v[1:4], v11, s[14:15]
	global_load_b128 v[5:8], v11, s[10:11]
	s_waitcnt vmcnt(1)
	v_trunc_f32_e32 v9, v1
	s_delay_alu instid0(VALU_DEP_1) | instskip(NEXT) | instid1(VALU_DEP_1)
	v_mul_f32_e64 v10, 0x2f800000, |v9|
	v_floor_f32_e32 v10, v10
	s_delay_alu instid0(VALU_DEP_1) | instskip(SKIP_2) | instid1(VALU_DEP_3)
	v_fma_f32 v12, 0xcf800000, v10, |v9|
	v_ashrrev_i32_e32 v9, 31, v9
	v_cvt_u32_f32_e32 v10, v10
	v_cvt_u32_f32_e32 v12, v12
	s_delay_alu instid0(VALU_DEP_2) | instskip(NEXT) | instid1(VALU_DEP_2)
	v_xor_b32_e32 v10, v10, v9
	v_xor_b32_e32 v12, v12, v9
	s_delay_alu instid0(VALU_DEP_1) | instskip(NEXT) | instid1(VALU_DEP_3)
	v_sub_co_u32 v12, vcc_lo, v12, v9
	v_sub_co_ci_u32_e32 v9, vcc_lo, v10, v9, vcc_lo
	v_cmp_class_f32_e64 vcc_lo, v1, 0x1f8
	s_delay_alu instid0(VALU_DEP_2) | instskip(NEXT) | instid1(VALU_DEP_4)
	v_dual_mov_b32 v1, 0 :: v_dual_cndmask_b32 v10, -1, v9
	v_cndmask_b32_e32 v9, -1, v12, vcc_lo
	s_delay_alu instid0(VALU_DEP_1)
	v_cmpx_lt_i64_e32 -1, v[9:10]
	s_cbranch_execz .LBB41_13
; %bb.2:
	v_mov_b32_e32 v1, 1.0
	s_mov_b32 s13, exec_lo
	v_cmpx_lt_i64_e32 0, v[9:10]
	s_cbranch_execz .LBB41_12
; %bb.3:
                                        ; implicit-def: $vgpr1
	s_mov_b32 s10, exec_lo
	v_cmpx_ne_u64_e32 1, v[9:10]
	s_xor_b32 s14, exec_lo, s10
	s_cbranch_execz .LBB41_9
; %bb.4:
	v_mov_b32_e32 v1, 0x7fc00000
	s_mov_b32 s15, exec_lo
	v_cmpx_gt_u64_e32 0x81, v[9:10]
	s_cbranch_execz .LBB41_8
; %bb.5:
	s_waitcnt vmcnt(0)
	v_dual_add_f32 v12, v5, v5 :: v_dual_mov_b32 v13, 1.0
	v_lshlrev_b64 v[9:10], 1, v[9:10]
	s_mov_b64 s[10:11], 2
	s_mov_b32 s16, 0
	s_delay_alu instid0(VALU_DEP_2)
	v_mov_b32_e32 v1, v12
	.p2align	6
.LBB41_6:                               ; =>This Inner Loop Header: Depth=1
	s_clz_i32_u32 s17, s11
	s_delay_alu instid0(SALU_CYCLE_1) | instskip(NEXT) | instid1(SALU_CYCLE_1)
	s_min_u32 s17, s17, 32
	s_lshl_b64 s[18:19], s[10:11], s17
	s_sub_i32 s17, 32, s17
	s_min_u32 s18, s18, 1
	s_delay_alu instid0(SALU_CYCLE_1) | instskip(SKIP_3) | instid1(SALU_CYCLE_1)
	s_or_b32 s18, s19, s18
	s_add_u32 s10, s10, 2
	v_cvt_f32_u32_e32 v14, s18
	s_addc_u32 s11, s11, 0
	v_cmp_ge_u64_e32 vcc_lo, s[10:11], v[9:10]
	s_delay_alu instid0(VALU_DEP_2) | instskip(SKIP_1) | instid1(VALU_DEP_1)
	v_ldexp_f32 v14, v14, s17
	s_or_b32 s16, vcc_lo, s16
	v_mul_f32_e32 v14, v13, v14
	v_mov_b32_e32 v13, v1
	s_delay_alu instid0(VALU_DEP_2)
	v_fma_f32 v1, v12, v1, -v14
	s_and_not1_b32 exec_lo, exec_lo, s16
	s_cbranch_execnz .LBB41_6
; %bb.7:
	s_or_b32 exec_lo, exec_lo, s16
.LBB41_8:
	s_delay_alu instid0(SALU_CYCLE_1)
	s_or_b32 exec_lo, exec_lo, s15
.LBB41_9:
	s_and_not1_saveexec_b32 s10, s14
	s_cbranch_execz .LBB41_11
; %bb.10:
	s_waitcnt vmcnt(0)
	v_add_f32_e32 v1, v5, v5
.LBB41_11:
	s_or_b32 exec_lo, exec_lo, s10
.LBB41_12:
	s_delay_alu instid0(SALU_CYCLE_1)
	s_or_b32 exec_lo, exec_lo, s13
.LBB41_13:
	s_delay_alu instid0(SALU_CYCLE_1) | instskip(SKIP_3) | instid1(VALU_DEP_1)
	s_or_b32 exec_lo, exec_lo, s3
	s_waitcnt vmcnt(0)
	v_trunc_f32_e32 v5, v2
	s_mov_b32 s3, exec_lo
	v_mul_f32_e64 v9, 0x2f800000, |v5|
	s_delay_alu instid0(VALU_DEP_1) | instskip(NEXT) | instid1(VALU_DEP_1)
	v_floor_f32_e32 v9, v9
	v_fma_f32 v10, 0xcf800000, v9, |v5|
	v_ashrrev_i32_e32 v5, 31, v5
	v_cvt_u32_f32_e32 v9, v9
	s_delay_alu instid0(VALU_DEP_3) | instskip(NEXT) | instid1(VALU_DEP_2)
	v_cvt_u32_f32_e32 v10, v10
	v_xor_b32_e32 v9, v9, v5
	s_delay_alu instid0(VALU_DEP_2) | instskip(NEXT) | instid1(VALU_DEP_1)
	v_xor_b32_e32 v10, v10, v5
	v_sub_co_u32 v12, vcc_lo, v10, v5
	s_delay_alu instid0(VALU_DEP_3) | instskip(SKIP_2) | instid1(VALU_DEP_3)
	v_sub_co_ci_u32_e32 v5, vcc_lo, v9, v5, vcc_lo
	v_cmp_class_f32_e64 vcc_lo, v2, 0x1f8
	v_mov_b32_e32 v2, 0
	v_dual_cndmask_b32 v10, -1, v5 :: v_dual_cndmask_b32 v9, -1, v12
	s_delay_alu instid0(VALU_DEP_1)
	v_cmpx_lt_i64_e32 -1, v[9:10]
	s_cbranch_execz .LBB41_25
; %bb.14:
	v_mov_b32_e32 v2, 1.0
	s_mov_b32 s13, exec_lo
	v_cmpx_lt_i64_e32 0, v[9:10]
	s_cbranch_execz .LBB41_24
; %bb.15:
	s_mov_b32 s10, exec_lo
	v_cmpx_ne_u64_e32 1, v[9:10]
	s_xor_b32 s14, exec_lo, s10
	s_cbranch_execz .LBB41_21
; %bb.16:
	v_mov_b32_e32 v2, 0x7fc00000
	s_mov_b32 s15, exec_lo
	v_cmpx_gt_u64_e32 0x81, v[9:10]
	s_cbranch_execz .LBB41_20
; %bb.17:
	v_dual_add_f32 v5, v6, v6 :: v_dual_mov_b32 v12, 1.0
	v_lshlrev_b64 v[9:10], 1, v[9:10]
	s_mov_b64 s[10:11], 2
	s_mov_b32 s16, 0
	s_delay_alu instid0(VALU_DEP_2)
	v_mov_b32_e32 v2, v5
	.p2align	6
.LBB41_18:                              ; =>This Inner Loop Header: Depth=1
	s_clz_i32_u32 s17, s11
	s_delay_alu instid0(SALU_CYCLE_1) | instskip(NEXT) | instid1(SALU_CYCLE_1)
	s_min_u32 s17, s17, 32
	s_lshl_b64 s[18:19], s[10:11], s17
	s_sub_i32 s17, 32, s17
	s_min_u32 s18, s18, 1
	s_delay_alu instid0(SALU_CYCLE_1) | instskip(SKIP_3) | instid1(SALU_CYCLE_1)
	s_or_b32 s18, s19, s18
	s_add_u32 s10, s10, 2
	v_cvt_f32_u32_e32 v13, s18
	s_addc_u32 s11, s11, 0
	v_cmp_ge_u64_e32 vcc_lo, s[10:11], v[9:10]
	s_delay_alu instid0(VALU_DEP_2) | instskip(SKIP_1) | instid1(VALU_DEP_1)
	v_ldexp_f32 v13, v13, s17
	s_or_b32 s16, vcc_lo, s16
	v_dual_mul_f32 v13, v12, v13 :: v_dual_mov_b32 v12, v2
	s_delay_alu instid0(VALU_DEP_1)
	v_fma_f32 v2, v5, v2, -v13
	s_and_not1_b32 exec_lo, exec_lo, s16
	s_cbranch_execnz .LBB41_18
; %bb.19:
	s_or_b32 exec_lo, exec_lo, s16
.LBB41_20:
	s_delay_alu instid0(SALU_CYCLE_1)
	s_or_b32 exec_lo, exec_lo, s15
.LBB41_21:
	s_and_not1_saveexec_b32 s10, s14
; %bb.22:
	v_add_f32_e32 v2, v6, v6
; %bb.23:
	s_or_b32 exec_lo, exec_lo, s10
.LBB41_24:
	s_delay_alu instid0(SALU_CYCLE_1)
	s_or_b32 exec_lo, exec_lo, s13
.LBB41_25:
	s_delay_alu instid0(SALU_CYCLE_1) | instskip(SKIP_2) | instid1(VALU_DEP_1)
	s_or_b32 exec_lo, exec_lo, s3
	v_trunc_f32_e32 v5, v3
	s_mov_b32 s3, exec_lo
	v_mul_f32_e64 v6, 0x2f800000, |v5|
	s_delay_alu instid0(VALU_DEP_1) | instskip(NEXT) | instid1(VALU_DEP_1)
	v_floor_f32_e32 v6, v6
	v_fma_f32 v9, 0xcf800000, v6, |v5|
	v_ashrrev_i32_e32 v5, 31, v5
	v_cvt_u32_f32_e32 v6, v6
	s_delay_alu instid0(VALU_DEP_3) | instskip(NEXT) | instid1(VALU_DEP_2)
	v_cvt_u32_f32_e32 v9, v9
	v_xor_b32_e32 v6, v6, v5
	s_delay_alu instid0(VALU_DEP_2) | instskip(NEXT) | instid1(VALU_DEP_1)
	v_xor_b32_e32 v9, v9, v5
	v_sub_co_u32 v9, vcc_lo, v9, v5
	s_delay_alu instid0(VALU_DEP_3) | instskip(SKIP_1) | instid1(VALU_DEP_2)
	v_sub_co_ci_u32_e32 v5, vcc_lo, v6, v5, vcc_lo
	v_cmp_class_f32_e64 vcc_lo, v3, 0x1f8
	v_dual_mov_b32 v3, 0 :: v_dual_cndmask_b32 v6, -1, v5
	s_delay_alu instid0(VALU_DEP_4) | instskip(NEXT) | instid1(VALU_DEP_1)
	v_cndmask_b32_e32 v5, -1, v9, vcc_lo
	v_cmpx_lt_i64_e32 -1, v[5:6]
	s_cbranch_execz .LBB41_37
; %bb.26:
	v_mov_b32_e32 v3, 1.0
	s_mov_b32 s13, exec_lo
	v_cmpx_lt_i64_e32 0, v[5:6]
	s_cbranch_execz .LBB41_36
; %bb.27:
	s_mov_b32 s10, exec_lo
	v_cmpx_ne_u64_e32 1, v[5:6]
	s_xor_b32 s14, exec_lo, s10
	s_cbranch_execz .LBB41_33
; %bb.28:
	v_mov_b32_e32 v3, 0x7fc00000
	s_mov_b32 s15, exec_lo
	v_cmpx_gt_u64_e32 0x81, v[5:6]
	s_cbranch_execz .LBB41_32
; %bb.29:
	v_dual_add_f32 v9, v7, v7 :: v_dual_mov_b32 v10, 1.0
	v_lshlrev_b64 v[5:6], 1, v[5:6]
	s_mov_b64 s[10:11], 2
	s_mov_b32 s16, 0
	s_delay_alu instid0(VALU_DEP_2)
	v_mov_b32_e32 v3, v9
	.p2align	6
.LBB41_30:                              ; =>This Inner Loop Header: Depth=1
	s_clz_i32_u32 s17, s11
	s_delay_alu instid0(SALU_CYCLE_1) | instskip(NEXT) | instid1(SALU_CYCLE_1)
	s_min_u32 s17, s17, 32
	s_lshl_b64 s[18:19], s[10:11], s17
	s_sub_i32 s17, 32, s17
	s_min_u32 s18, s18, 1
	s_delay_alu instid0(SALU_CYCLE_1) | instskip(SKIP_3) | instid1(SALU_CYCLE_1)
	s_or_b32 s18, s19, s18
	s_add_u32 s10, s10, 2
	v_cvt_f32_u32_e32 v12, s18
	s_addc_u32 s11, s11, 0
	v_cmp_ge_u64_e32 vcc_lo, s[10:11], v[5:6]
	s_delay_alu instid0(VALU_DEP_2) | instskip(SKIP_1) | instid1(VALU_DEP_1)
	v_ldexp_f32 v12, v12, s17
	s_or_b32 s16, vcc_lo, s16
	v_mul_f32_e32 v12, v10, v12
	v_mov_b32_e32 v10, v3
	s_delay_alu instid0(VALU_DEP_2)
	v_fma_f32 v3, v9, v3, -v12
	s_and_not1_b32 exec_lo, exec_lo, s16
	s_cbranch_execnz .LBB41_30
; %bb.31:
	s_or_b32 exec_lo, exec_lo, s16
.LBB41_32:
	s_delay_alu instid0(SALU_CYCLE_1)
	s_or_b32 exec_lo, exec_lo, s15
.LBB41_33:
	s_and_not1_saveexec_b32 s10, s14
; %bb.34:
	v_add_f32_e32 v3, v7, v7
; %bb.35:
	s_or_b32 exec_lo, exec_lo, s10
.LBB41_36:
	s_delay_alu instid0(SALU_CYCLE_1)
	s_or_b32 exec_lo, exec_lo, s13
.LBB41_37:
	s_delay_alu instid0(SALU_CYCLE_1) | instskip(SKIP_2) | instid1(VALU_DEP_1)
	s_or_b32 exec_lo, exec_lo, s3
	v_trunc_f32_e32 v5, v4
	s_mov_b32 s3, exec_lo
	v_mul_f32_e64 v6, 0x2f800000, |v5|
	s_delay_alu instid0(VALU_DEP_1) | instskip(NEXT) | instid1(VALU_DEP_1)
	v_floor_f32_e32 v6, v6
	v_fma_f32 v7, 0xcf800000, v6, |v5|
	v_ashrrev_i32_e32 v5, 31, v5
	v_cvt_u32_f32_e32 v6, v6
	s_delay_alu instid0(VALU_DEP_3) | instskip(NEXT) | instid1(VALU_DEP_2)
	v_cvt_u32_f32_e32 v7, v7
	v_xor_b32_e32 v6, v6, v5
	s_delay_alu instid0(VALU_DEP_2) | instskip(NEXT) | instid1(VALU_DEP_1)
	v_xor_b32_e32 v7, v7, v5
	v_sub_co_u32 v7, vcc_lo, v7, v5
	s_delay_alu instid0(VALU_DEP_3) | instskip(SKIP_2) | instid1(VALU_DEP_3)
	v_sub_co_ci_u32_e32 v5, vcc_lo, v6, v5, vcc_lo
	v_cmp_class_f32_e64 vcc_lo, v4, 0x1f8
	v_mov_b32_e32 v4, 0
	v_dual_cndmask_b32 v6, -1, v5 :: v_dual_cndmask_b32 v5, -1, v7
	s_delay_alu instid0(VALU_DEP_1)
	v_cmpx_lt_i64_e32 -1, v[5:6]
	s_cbranch_execz .LBB41_49
; %bb.38:
	v_mov_b32_e32 v4, 1.0
	s_mov_b32 s13, exec_lo
	v_cmpx_lt_i64_e32 0, v[5:6]
	s_cbranch_execz .LBB41_48
; %bb.39:
	s_mov_b32 s10, exec_lo
	v_cmpx_ne_u64_e32 1, v[5:6]
	s_xor_b32 s14, exec_lo, s10
	s_cbranch_execz .LBB41_45
; %bb.40:
	v_mov_b32_e32 v4, 0x7fc00000
	s_mov_b32 s15, exec_lo
	v_cmpx_gt_u64_e32 0x81, v[5:6]
	s_cbranch_execz .LBB41_44
; %bb.41:
	v_dual_add_f32 v7, v8, v8 :: v_dual_mov_b32 v8, 1.0
	v_lshlrev_b64 v[5:6], 1, v[5:6]
	s_mov_b64 s[10:11], 2
	s_mov_b32 s16, 0
	s_delay_alu instid0(VALU_DEP_2)
	v_mov_b32_e32 v4, v7
	.p2align	6
.LBB41_42:                              ; =>This Inner Loop Header: Depth=1
	s_clz_i32_u32 s17, s11
	s_delay_alu instid0(SALU_CYCLE_1) | instskip(NEXT) | instid1(SALU_CYCLE_1)
	s_min_u32 s17, s17, 32
	s_lshl_b64 s[18:19], s[10:11], s17
	s_sub_i32 s17, 32, s17
	s_min_u32 s18, s18, 1
	s_delay_alu instid0(SALU_CYCLE_1) | instskip(SKIP_3) | instid1(SALU_CYCLE_1)
	s_or_b32 s18, s19, s18
	s_add_u32 s10, s10, 2
	v_cvt_f32_u32_e32 v9, s18
	s_addc_u32 s11, s11, 0
	v_cmp_ge_u64_e32 vcc_lo, s[10:11], v[5:6]
	s_delay_alu instid0(VALU_DEP_2) | instskip(SKIP_1) | instid1(VALU_DEP_1)
	v_ldexp_f32 v9, v9, s17
	s_or_b32 s16, vcc_lo, s16
	v_mul_f32_e32 v9, v8, v9
	v_mov_b32_e32 v8, v4
	s_delay_alu instid0(VALU_DEP_2)
	v_fma_f32 v4, v7, v4, -v9
	s_and_not1_b32 exec_lo, exec_lo, s16
	s_cbranch_execnz .LBB41_42
; %bb.43:
	s_or_b32 exec_lo, exec_lo, s16
.LBB41_44:
	s_delay_alu instid0(SALU_CYCLE_1)
	s_or_b32 exec_lo, exec_lo, s15
                                        ; implicit-def: $vgpr5_vgpr6_vgpr7_vgpr8
.LBB41_45:
	s_and_not1_saveexec_b32 s10, s14
; %bb.46:
	v_add_f32_e32 v4, v8, v8
; %bb.47:
	s_or_b32 exec_lo, exec_lo, s10
.LBB41_48:
	s_delay_alu instid0(SALU_CYCLE_1)
	s_or_b32 exec_lo, exec_lo, s13
.LBB41_49:
	s_delay_alu instid0(SALU_CYCLE_1)
	s_or_b32 exec_lo, exec_lo, s3
	s_add_u32 s10, s4, s0
	s_addc_u32 s11, s5, s1
	s_mov_b32 s0, 0
	global_store_b128 v11, v[1:4], s[10:11]
.LBB41_50:
	s_and_b32 vcc_lo, exec_lo, s0
	s_cbranch_vccz .LBB41_107
; %bb.51:
	v_cmp_gt_i32_e32 vcc_lo, s12, v0
	v_dual_mov_b32 v13, 0 :: v_dual_mov_b32 v14, 0
	v_or_b32_e32 v5, s2, v0
	v_or_b32_e32 v8, 0x100, v0
	v_mov_b32_e32 v7, 0
	v_mov_b32_e32 v1, v0
	s_and_saveexec_b32 s1, vcc_lo
	s_cbranch_execz .LBB41_53
; %bb.52:
	v_mov_b32_e32 v6, 0
	s_delay_alu instid0(VALU_DEP_1) | instskip(NEXT) | instid1(VALU_DEP_1)
	v_lshlrev_b64 v[1:2], 2, v[5:6]
	v_add_co_u32 v3, s0, s6, v1
	s_delay_alu instid0(VALU_DEP_1) | instskip(SKIP_1) | instid1(VALU_DEP_1)
	v_add_co_ci_u32_e64 v4, s0, s7, v2, s0
	v_add_co_u32 v1, s0, s8, v1
	v_add_co_ci_u32_e64 v2, s0, s9, v2, s0
	global_load_b32 v7, v[3:4], off
	global_load_b32 v14, v[1:2], off
	v_or_b32_e32 v1, 0x100, v0
.LBB41_53:
	s_or_b32 exec_lo, exec_lo, s1
	v_mov_b32_e32 v6, 0
	s_mov_b32 s1, exec_lo
	s_delay_alu instid0(VALU_DEP_2)
	v_cmpx_gt_i32_e64 s12, v1
	s_cbranch_execz .LBB41_55
; %bb.54:
	v_dual_mov_b32 v3, 0 :: v_dual_add_nc_u32 v2, s2, v1
	v_add_nc_u32_e32 v1, 0x100, v1
	s_delay_alu instid0(VALU_DEP_2) | instskip(NEXT) | instid1(VALU_DEP_1)
	v_lshlrev_b64 v[2:3], 2, v[2:3]
	v_add_co_u32 v9, s0, s6, v2
	s_delay_alu instid0(VALU_DEP_1) | instskip(SKIP_1) | instid1(VALU_DEP_1)
	v_add_co_ci_u32_e64 v10, s0, s7, v3, s0
	v_add_co_u32 v2, s0, s8, v2
	v_add_co_ci_u32_e64 v3, s0, s9, v3, s0
	global_load_b32 v13, v[9:10], off
	global_load_b32 v6, v[2:3], off
.LBB41_55:
	s_or_b32 exec_lo, exec_lo, s1
	v_dual_mov_b32 v9, 0 :: v_dual_mov_b32 v12, 0
	v_mov_b32_e32 v11, 0
	s_mov_b32 s1, exec_lo
	v_cmpx_gt_i32_e64 s12, v1
	s_cbranch_execz .LBB41_57
; %bb.56:
	v_dual_mov_b32 v3, 0 :: v_dual_add_nc_u32 v2, s2, v1
	v_add_nc_u32_e32 v1, 0x100, v1
	s_delay_alu instid0(VALU_DEP_2) | instskip(NEXT) | instid1(VALU_DEP_1)
	v_lshlrev_b64 v[2:3], 2, v[2:3]
	v_add_co_u32 v10, s0, s6, v2
	s_delay_alu instid0(VALU_DEP_1) | instskip(SKIP_1) | instid1(VALU_DEP_1)
	v_add_co_ci_u32_e64 v11, s0, s7, v3, s0
	v_add_co_u32 v2, s0, s8, v2
	v_add_co_ci_u32_e64 v3, s0, s9, v3, s0
	global_load_b32 v11, v[10:11], off
	global_load_b32 v12, v[2:3], off
.LBB41_57:
	s_or_b32 exec_lo, exec_lo, s1
	v_mov_b32_e32 v10, 0
	s_mov_b32 s1, exec_lo
	v_cmpx_gt_i32_e64 s12, v1
	s_cbranch_execnz .LBB41_60
; %bb.58:
	s_or_b32 exec_lo, exec_lo, s1
                                        ; implicit-def: $vgpr1_vgpr2_vgpr3_vgpr4
	s_and_saveexec_b32 s1, vcc_lo
	s_cbranch_execnz .LBB41_61
.LBB41_59:
	s_or_b32 exec_lo, exec_lo, s1
	s_delay_alu instid0(SALU_CYCLE_1)
	s_mov_b32 s1, exec_lo
	v_cmpx_gt_i32_e64 s12, v8
	s_cbranch_execnz .LBB41_74
	s_branch .LBB41_87
.LBB41_60:
	v_dual_mov_b32 v2, 0 :: v_dual_add_nc_u32 v1, s2, v1
	s_delay_alu instid0(VALU_DEP_1) | instskip(NEXT) | instid1(VALU_DEP_1)
	v_lshlrev_b64 v[1:2], 2, v[1:2]
	v_add_co_u32 v3, s0, s6, v1
	s_delay_alu instid0(VALU_DEP_1) | instskip(SKIP_1) | instid1(VALU_DEP_1)
	v_add_co_ci_u32_e64 v4, s0, s7, v2, s0
	v_add_co_u32 v1, s0, s8, v1
	v_add_co_ci_u32_e64 v2, s0, s9, v2, s0
	global_load_b32 v9, v[3:4], off
	global_load_b32 v10, v[1:2], off
	s_or_b32 exec_lo, exec_lo, s1
                                        ; implicit-def: $vgpr1_vgpr2_vgpr3_vgpr4
	s_and_saveexec_b32 s1, vcc_lo
	s_cbranch_execz .LBB41_59
.LBB41_61:
	s_waitcnt vmcnt(0)
	v_trunc_f32_e32 v1, v14
	s_mov_b32 s3, exec_lo
	s_delay_alu instid0(VALU_DEP_1) | instskip(NEXT) | instid1(VALU_DEP_1)
	v_mul_f32_e64 v2, 0x2f800000, |v1|
	v_floor_f32_e32 v2, v2
	s_delay_alu instid0(VALU_DEP_1) | instskip(SKIP_2) | instid1(VALU_DEP_3)
	v_fma_f32 v3, 0xcf800000, v2, |v1|
	v_ashrrev_i32_e32 v1, 31, v1
	v_cvt_u32_f32_e32 v2, v2
	v_cvt_u32_f32_e32 v3, v3
	s_delay_alu instid0(VALU_DEP_2) | instskip(NEXT) | instid1(VALU_DEP_2)
	v_xor_b32_e32 v2, v2, v1
	v_xor_b32_e32 v3, v3, v1
	s_delay_alu instid0(VALU_DEP_1) | instskip(NEXT) | instid1(VALU_DEP_1)
	v_sub_co_u32 v4, s0, v3, v1
	v_sub_co_ci_u32_e64 v1, s0, v2, v1, s0
	v_cmp_class_f32_e64 s0, v14, 0x1f8
	s_delay_alu instid0(VALU_DEP_1) | instskip(NEXT) | instid1(VALU_DEP_4)
	v_cndmask_b32_e64 v3, -1, v1, s0
	v_cndmask_b32_e64 v2, -1, v4, s0
	v_mov_b32_e32 v1, 0
	s_delay_alu instid0(VALU_DEP_2)
	v_cmpx_lt_i64_e32 -1, v[2:3]
	s_cbranch_execz .LBB41_73
; %bb.62:
	v_mov_b32_e32 v1, 1.0
	s_mov_b32 s8, exec_lo
	v_cmpx_lt_i64_e32 0, v[2:3]
	s_cbranch_execz .LBB41_72
; %bb.63:
                                        ; implicit-def: $vgpr1
	s_mov_b32 s6, exec_lo
	v_cmpx_ne_u64_e32 1, v[2:3]
	s_xor_b32 s9, exec_lo, s6
	s_cbranch_execz .LBB41_69
; %bb.64:
	v_mov_b32_e32 v1, 0x7fc00000
	s_mov_b32 s10, exec_lo
	v_cmpx_gt_u64_e32 0x81, v[2:3]
	s_cbranch_execz .LBB41_68
; %bb.65:
	v_dual_add_f32 v4, v7, v7 :: v_dual_mov_b32 v7, 1.0
	v_lshlrev_b64 v[2:3], 1, v[2:3]
	s_mov_b64 s[6:7], 2
	s_mov_b32 s11, 0
	s_delay_alu instid0(VALU_DEP_2)
	v_mov_b32_e32 v1, v4
	.p2align	6
.LBB41_66:                              ; =>This Inner Loop Header: Depth=1
	s_clz_i32_u32 s0, s7
	s_delay_alu instid0(SALU_CYCLE_1) | instskip(NEXT) | instid1(SALU_CYCLE_1)
	s_min_u32 s0, s0, 32
	s_lshl_b64 s[14:15], s[6:7], s0
	s_sub_i32 s0, 32, s0
	s_min_u32 s13, s14, 1
	s_delay_alu instid0(SALU_CYCLE_1) | instskip(SKIP_3) | instid1(VALU_DEP_1)
	s_or_b32 s13, s15, s13
	s_add_u32 s6, s6, 2
	v_cvt_f32_u32_e32 v14, s13
	s_addc_u32 s7, s7, 0
	v_ldexp_f32 v14, v14, s0
	v_cmp_ge_u64_e64 s0, s[6:7], v[2:3]
	s_delay_alu instid0(VALU_DEP_2) | instskip(NEXT) | instid1(VALU_DEP_2)
	v_dual_mul_f32 v14, v7, v14 :: v_dual_mov_b32 v7, v1
	s_or_b32 s11, s0, s11
	s_delay_alu instid0(VALU_DEP_1)
	v_fma_f32 v1, v4, v1, -v14
	s_and_not1_b32 exec_lo, exec_lo, s11
	s_cbranch_execnz .LBB41_66
; %bb.67:
	s_or_b32 exec_lo, exec_lo, s11
.LBB41_68:
	s_delay_alu instid0(SALU_CYCLE_1)
	s_or_b32 exec_lo, exec_lo, s10
                                        ; implicit-def: $vgpr7
.LBB41_69:
	s_and_not1_saveexec_b32 s0, s9
; %bb.70:
	v_add_f32_e32 v1, v7, v7
; %bb.71:
	s_or_b32 exec_lo, exec_lo, s0
.LBB41_72:
	s_delay_alu instid0(SALU_CYCLE_1)
	s_or_b32 exec_lo, exec_lo, s8
.LBB41_73:
	s_delay_alu instid0(SALU_CYCLE_1) | instskip(NEXT) | instid1(SALU_CYCLE_1)
	s_or_b32 exec_lo, exec_lo, s3
	s_or_b32 exec_lo, exec_lo, s1
	s_delay_alu instid0(SALU_CYCLE_1)
	s_mov_b32 s1, exec_lo
	v_cmpx_gt_i32_e64 s12, v8
	s_cbranch_execz .LBB41_87
.LBB41_74:
	s_waitcnt vmcnt(0)
	v_trunc_f32_e32 v2, v6
	s_mov_b32 s3, exec_lo
	s_delay_alu instid0(VALU_DEP_1) | instskip(NEXT) | instid1(VALU_DEP_1)
	v_mul_f32_e64 v7, 0x2f800000, |v2|
	v_floor_f32_e32 v7, v7
	s_delay_alu instid0(VALU_DEP_1) | instskip(SKIP_2) | instid1(VALU_DEP_3)
	v_fma_f32 v14, 0xcf800000, v7, |v2|
	v_ashrrev_i32_e32 v2, 31, v2
	v_cvt_u32_f32_e32 v7, v7
	v_cvt_u32_f32_e32 v14, v14
	s_delay_alu instid0(VALU_DEP_2) | instskip(NEXT) | instid1(VALU_DEP_2)
	v_xor_b32_e32 v7, v7, v2
	v_xor_b32_e32 v14, v14, v2
	s_delay_alu instid0(VALU_DEP_1) | instskip(NEXT) | instid1(VALU_DEP_1)
	v_sub_co_u32 v14, s0, v14, v2
	v_sub_co_ci_u32_e64 v2, s0, v7, v2, s0
	v_cmp_class_f32_e64 s0, v6, 0x1f8
	s_delay_alu instid0(VALU_DEP_1) | instskip(NEXT) | instid1(VALU_DEP_4)
	v_cndmask_b32_e64 v7, -1, v2, s0
	v_cndmask_b32_e64 v6, -1, v14, s0
	v_mov_b32_e32 v2, 0
	s_delay_alu instid0(VALU_DEP_2)
	v_cmpx_lt_i64_e32 -1, v[6:7]
	s_cbranch_execz .LBB41_86
; %bb.75:
	v_mov_b32_e32 v2, 1.0
	s_mov_b32 s8, exec_lo
	v_cmpx_lt_i64_e32 0, v[6:7]
	s_cbranch_execz .LBB41_85
; %bb.76:
	s_mov_b32 s6, exec_lo
	v_cmpx_ne_u64_e32 1, v[6:7]
	s_xor_b32 s9, exec_lo, s6
	s_cbranch_execz .LBB41_82
; %bb.77:
	v_mov_b32_e32 v2, 0x7fc00000
	s_mov_b32 s10, exec_lo
	v_cmpx_gt_u64_e32 0x81, v[6:7]
	s_cbranch_execz .LBB41_81
; %bb.78:
	v_dual_add_f32 v13, v13, v13 :: v_dual_mov_b32 v14, 1.0
	v_lshlrev_b64 v[6:7], 1, v[6:7]
	s_mov_b64 s[6:7], 2
	s_mov_b32 s11, 0
	s_delay_alu instid0(VALU_DEP_2)
	v_mov_b32_e32 v2, v13
	.p2align	6
.LBB41_79:                              ; =>This Inner Loop Header: Depth=1
	s_clz_i32_u32 s0, s7
	s_delay_alu instid0(SALU_CYCLE_1) | instskip(NEXT) | instid1(SALU_CYCLE_1)
	s_min_u32 s0, s0, 32
	s_lshl_b64 s[14:15], s[6:7], s0
	s_sub_i32 s0, 32, s0
	s_min_u32 s13, s14, 1
	s_delay_alu instid0(SALU_CYCLE_1) | instskip(SKIP_3) | instid1(VALU_DEP_1)
	s_or_b32 s13, s15, s13
	s_add_u32 s6, s6, 2
	v_cvt_f32_u32_e32 v15, s13
	s_addc_u32 s7, s7, 0
	v_ldexp_f32 v15, v15, s0
	v_cmp_ge_u64_e64 s0, s[6:7], v[6:7]
	s_delay_alu instid0(VALU_DEP_2) | instskip(SKIP_1) | instid1(VALU_DEP_3)
	v_mul_f32_e32 v15, v14, v15
	v_mov_b32_e32 v14, v2
	s_or_b32 s11, s0, s11
	s_delay_alu instid0(VALU_DEP_2)
	v_fma_f32 v2, v13, v2, -v15
	s_and_not1_b32 exec_lo, exec_lo, s11
	s_cbranch_execnz .LBB41_79
; %bb.80:
	s_or_b32 exec_lo, exec_lo, s11
.LBB41_81:
	s_delay_alu instid0(SALU_CYCLE_1)
	s_or_b32 exec_lo, exec_lo, s10
                                        ; implicit-def: $vgpr13
.LBB41_82:
	s_and_not1_saveexec_b32 s0, s9
; %bb.83:
	v_add_f32_e32 v2, v13, v13
; %bb.84:
	s_or_b32 exec_lo, exec_lo, s0
.LBB41_85:
	s_delay_alu instid0(SALU_CYCLE_1)
	s_or_b32 exec_lo, exec_lo, s8
.LBB41_86:
	s_delay_alu instid0(SALU_CYCLE_1)
	s_or_b32 exec_lo, exec_lo, s3
.LBB41_87:
	s_delay_alu instid0(SALU_CYCLE_1) | instskip(SKIP_3) | instid1(VALU_DEP_1)
	s_or_b32 exec_lo, exec_lo, s1
	s_waitcnt vmcnt(0)
	v_or_b32_e32 v6, 0x200, v0
	s_mov_b32 s1, exec_lo
	v_cmpx_gt_i32_e64 s12, v6
	s_cbranch_execz .LBB41_101
; %bb.88:
	v_trunc_f32_e32 v3, v12
	s_mov_b32 s3, exec_lo
	s_delay_alu instid0(VALU_DEP_1) | instskip(NEXT) | instid1(VALU_DEP_1)
	v_mul_f32_e64 v6, 0x2f800000, |v3|
	v_floor_f32_e32 v6, v6
	s_delay_alu instid0(VALU_DEP_1) | instskip(SKIP_2) | instid1(VALU_DEP_3)
	v_fma_f32 v7, 0xcf800000, v6, |v3|
	v_ashrrev_i32_e32 v3, 31, v3
	v_cvt_u32_f32_e32 v6, v6
	v_cvt_u32_f32_e32 v7, v7
	s_delay_alu instid0(VALU_DEP_2) | instskip(NEXT) | instid1(VALU_DEP_2)
	v_xor_b32_e32 v6, v6, v3
	v_xor_b32_e32 v7, v7, v3
	s_delay_alu instid0(VALU_DEP_1) | instskip(NEXT) | instid1(VALU_DEP_1)
	v_sub_co_u32 v13, s0, v7, v3
	v_sub_co_ci_u32_e64 v3, s0, v6, v3, s0
	v_cmp_class_f32_e64 s0, v12, 0x1f8
	s_delay_alu instid0(VALU_DEP_1) | instskip(NEXT) | instid1(VALU_DEP_4)
	v_cndmask_b32_e64 v7, -1, v3, s0
	v_cndmask_b32_e64 v6, -1, v13, s0
	v_mov_b32_e32 v3, 0
	s_delay_alu instid0(VALU_DEP_2)
	v_cmpx_lt_i64_e32 -1, v[6:7]
	s_cbranch_execz .LBB41_100
; %bb.89:
	v_mov_b32_e32 v3, 1.0
	s_mov_b32 s8, exec_lo
	v_cmpx_lt_i64_e32 0, v[6:7]
	s_cbranch_execz .LBB41_99
; %bb.90:
	s_mov_b32 s6, exec_lo
	v_cmpx_ne_u64_e32 1, v[6:7]
	s_xor_b32 s9, exec_lo, s6
	s_cbranch_execz .LBB41_96
; %bb.91:
	v_mov_b32_e32 v3, 0x7fc00000
	s_mov_b32 s10, exec_lo
	v_cmpx_gt_u64_e32 0x81, v[6:7]
	s_cbranch_execz .LBB41_95
; %bb.92:
	v_dual_add_f32 v11, v11, v11 :: v_dual_mov_b32 v12, 1.0
	v_lshlrev_b64 v[6:7], 1, v[6:7]
	s_mov_b64 s[6:7], 2
	s_mov_b32 s11, 0
	s_delay_alu instid0(VALU_DEP_2)
	v_mov_b32_e32 v3, v11
	.p2align	6
.LBB41_93:                              ; =>This Inner Loop Header: Depth=1
	s_clz_i32_u32 s0, s7
	s_delay_alu instid0(SALU_CYCLE_1) | instskip(NEXT) | instid1(SALU_CYCLE_1)
	s_min_u32 s0, s0, 32
	s_lshl_b64 s[14:15], s[6:7], s0
	s_sub_i32 s0, 32, s0
	s_min_u32 s13, s14, 1
	s_delay_alu instid0(SALU_CYCLE_1) | instskip(SKIP_3) | instid1(VALU_DEP_1)
	s_or_b32 s13, s15, s13
	s_add_u32 s6, s6, 2
	v_cvt_f32_u32_e32 v13, s13
	s_addc_u32 s7, s7, 0
	v_ldexp_f32 v13, v13, s0
	v_cmp_ge_u64_e64 s0, s[6:7], v[6:7]
	s_delay_alu instid0(VALU_DEP_2) | instskip(NEXT) | instid1(VALU_DEP_2)
	v_dual_mul_f32 v13, v12, v13 :: v_dual_mov_b32 v12, v3
	s_or_b32 s11, s0, s11
	s_delay_alu instid0(VALU_DEP_1)
	v_fma_f32 v3, v11, v3, -v13
	s_and_not1_b32 exec_lo, exec_lo, s11
	s_cbranch_execnz .LBB41_93
; %bb.94:
	s_or_b32 exec_lo, exec_lo, s11
.LBB41_95:
	s_delay_alu instid0(SALU_CYCLE_1)
	s_or_b32 exec_lo, exec_lo, s10
                                        ; implicit-def: $vgpr11
.LBB41_96:
	s_and_not1_saveexec_b32 s0, s9
; %bb.97:
	v_add_f32_e32 v3, v11, v11
; %bb.98:
	s_or_b32 exec_lo, exec_lo, s0
.LBB41_99:
	s_delay_alu instid0(SALU_CYCLE_1)
	s_or_b32 exec_lo, exec_lo, s8
.LBB41_100:
	s_delay_alu instid0(SALU_CYCLE_1)
	s_or_b32 exec_lo, exec_lo, s3
.LBB41_101:
	s_delay_alu instid0(SALU_CYCLE_1) | instskip(SKIP_2) | instid1(VALU_DEP_1)
	s_or_b32 exec_lo, exec_lo, s1
	v_or_b32_e32 v6, 0x300, v0
	s_mov_b32 s1, exec_lo
	v_cmpx_gt_i32_e64 s12, v6
	s_cbranch_execnz .LBB41_108
; %bb.102:
	s_or_b32 exec_lo, exec_lo, s1
	s_and_saveexec_b32 s0, vcc_lo
	s_delay_alu instid0(SALU_CYCLE_1)
	s_xor_b32 s0, exec_lo, s0
	s_cbranch_execnz .LBB41_121
.LBB41_103:
	s_or_b32 exec_lo, exec_lo, s0
	s_delay_alu instid0(SALU_CYCLE_1)
	s_mov_b32 s0, exec_lo
	v_cmpx_gt_i32_e64 s12, v0
	s_cbranch_execnz .LBB41_122
.LBB41_104:
	s_or_b32 exec_lo, exec_lo, s0
	s_delay_alu instid0(SALU_CYCLE_1)
	s_mov_b32 s0, exec_lo
	v_cmpx_gt_i32_e64 s12, v0
	s_cbranch_execnz .LBB41_123
.LBB41_105:
	s_or_b32 exec_lo, exec_lo, s0
	s_delay_alu instid0(SALU_CYCLE_1)
	s_mov_b32 s0, exec_lo
	v_cmpx_gt_i32_e64 s12, v0
	s_cbranch_execz .LBB41_107
.LBB41_106:
	v_dual_mov_b32 v1, 0 :: v_dual_add_nc_u32 v0, s2, v0
	s_delay_alu instid0(VALU_DEP_1) | instskip(NEXT) | instid1(VALU_DEP_1)
	v_lshlrev_b64 v[0:1], 2, v[0:1]
	v_add_co_u32 v0, vcc_lo, s4, v0
	s_delay_alu instid0(VALU_DEP_2)
	v_add_co_ci_u32_e32 v1, vcc_lo, s5, v1, vcc_lo
	global_store_b32 v[0:1], v4, off
.LBB41_107:
	s_nop 0
	s_sendmsg sendmsg(MSG_DEALLOC_VGPRS)
	s_endpgm
.LBB41_108:
	v_trunc_f32_e32 v4, v10
	s_mov_b32 s3, exec_lo
	s_delay_alu instid0(VALU_DEP_1) | instskip(NEXT) | instid1(VALU_DEP_1)
	v_mul_f32_e64 v6, 0x2f800000, |v4|
	v_floor_f32_e32 v6, v6
	s_delay_alu instid0(VALU_DEP_1) | instskip(SKIP_2) | instid1(VALU_DEP_3)
	v_fma_f32 v7, 0xcf800000, v6, |v4|
	v_ashrrev_i32_e32 v4, 31, v4
	v_cvt_u32_f32_e32 v6, v6
	v_cvt_u32_f32_e32 v7, v7
	s_delay_alu instid0(VALU_DEP_2) | instskip(NEXT) | instid1(VALU_DEP_2)
	v_xor_b32_e32 v6, v6, v4
	v_xor_b32_e32 v7, v7, v4
	s_delay_alu instid0(VALU_DEP_1) | instskip(NEXT) | instid1(VALU_DEP_1)
	v_sub_co_u32 v11, s0, v7, v4
	v_sub_co_ci_u32_e64 v4, s0, v6, v4, s0
	v_cmp_class_f32_e64 s0, v10, 0x1f8
	s_delay_alu instid0(VALU_DEP_1) | instskip(NEXT) | instid1(VALU_DEP_4)
	v_cndmask_b32_e64 v7, -1, v4, s0
	v_cndmask_b32_e64 v6, -1, v11, s0
	v_mov_b32_e32 v4, 0
	s_delay_alu instid0(VALU_DEP_2)
	v_cmpx_lt_i64_e32 -1, v[6:7]
	s_cbranch_execz .LBB41_120
; %bb.109:
	v_mov_b32_e32 v4, 1.0
	s_mov_b32 s8, exec_lo
	v_cmpx_lt_i64_e32 0, v[6:7]
	s_cbranch_execz .LBB41_119
; %bb.110:
	s_mov_b32 s6, exec_lo
	v_cmpx_ne_u64_e32 1, v[6:7]
	s_xor_b32 s9, exec_lo, s6
	s_cbranch_execz .LBB41_116
; %bb.111:
	v_mov_b32_e32 v4, 0x7fc00000
	s_mov_b32 s10, exec_lo
	v_cmpx_gt_u64_e32 0x81, v[6:7]
	s_cbranch_execz .LBB41_115
; %bb.112:
	v_dual_add_f32 v9, v9, v9 :: v_dual_mov_b32 v10, 1.0
	v_lshlrev_b64 v[6:7], 1, v[6:7]
	s_mov_b64 s[6:7], 2
	s_mov_b32 s11, 0
	s_delay_alu instid0(VALU_DEP_2)
	v_mov_b32_e32 v4, v9
	.p2align	6
.LBB41_113:                             ; =>This Inner Loop Header: Depth=1
	s_clz_i32_u32 s0, s7
	s_delay_alu instid0(SALU_CYCLE_1) | instskip(NEXT) | instid1(SALU_CYCLE_1)
	s_min_u32 s0, s0, 32
	s_lshl_b64 s[14:15], s[6:7], s0
	s_sub_i32 s0, 32, s0
	s_min_u32 s13, s14, 1
	s_delay_alu instid0(SALU_CYCLE_1) | instskip(SKIP_3) | instid1(VALU_DEP_1)
	s_or_b32 s13, s15, s13
	s_add_u32 s6, s6, 2
	v_cvt_f32_u32_e32 v11, s13
	s_addc_u32 s7, s7, 0
	v_ldexp_f32 v11, v11, s0
	v_cmp_ge_u64_e64 s0, s[6:7], v[6:7]
	s_delay_alu instid0(VALU_DEP_2) | instskip(NEXT) | instid1(VALU_DEP_2)
	v_dual_mul_f32 v11, v10, v11 :: v_dual_mov_b32 v10, v4
	s_or_b32 s11, s0, s11
	s_delay_alu instid0(VALU_DEP_1)
	v_fma_f32 v4, v9, v4, -v11
	s_and_not1_b32 exec_lo, exec_lo, s11
	s_cbranch_execnz .LBB41_113
; %bb.114:
	s_or_b32 exec_lo, exec_lo, s11
.LBB41_115:
	s_delay_alu instid0(SALU_CYCLE_1)
	s_or_b32 exec_lo, exec_lo, s10
                                        ; implicit-def: $vgpr9
.LBB41_116:
	s_and_not1_saveexec_b32 s0, s9
; %bb.117:
	v_add_f32_e32 v4, v9, v9
; %bb.118:
	s_or_b32 exec_lo, exec_lo, s0
.LBB41_119:
	s_delay_alu instid0(SALU_CYCLE_1)
	s_or_b32 exec_lo, exec_lo, s8
.LBB41_120:
	s_delay_alu instid0(SALU_CYCLE_1) | instskip(NEXT) | instid1(SALU_CYCLE_1)
	s_or_b32 exec_lo, exec_lo, s3
	s_or_b32 exec_lo, exec_lo, s1
	s_and_saveexec_b32 s0, vcc_lo
	s_delay_alu instid0(SALU_CYCLE_1)
	s_xor_b32 s0, exec_lo, s0
	s_cbranch_execz .LBB41_103
.LBB41_121:
	v_mov_b32_e32 v6, 0
	v_mov_b32_e32 v0, v8
	s_delay_alu instid0(VALU_DEP_2) | instskip(NEXT) | instid1(VALU_DEP_1)
	v_lshlrev_b64 v[5:6], 2, v[5:6]
	v_add_co_u32 v5, vcc_lo, s4, v5
	s_delay_alu instid0(VALU_DEP_2) | instskip(SKIP_2) | instid1(SALU_CYCLE_1)
	v_add_co_ci_u32_e32 v6, vcc_lo, s5, v6, vcc_lo
	global_store_b32 v[5:6], v1, off
	s_or_b32 exec_lo, exec_lo, s0
	s_mov_b32 s0, exec_lo
	v_cmpx_gt_i32_e64 s12, v0
	s_cbranch_execz .LBB41_104
.LBB41_122:
	v_dual_mov_b32 v6, 0 :: v_dual_add_nc_u32 v5, s2, v0
	v_add_nc_u32_e32 v0, 0x100, v0
	s_delay_alu instid0(VALU_DEP_2) | instskip(NEXT) | instid1(VALU_DEP_1)
	v_lshlrev_b64 v[5:6], 2, v[5:6]
	v_add_co_u32 v5, vcc_lo, s4, v5
	s_delay_alu instid0(VALU_DEP_2) | instskip(SKIP_2) | instid1(SALU_CYCLE_1)
	v_add_co_ci_u32_e32 v6, vcc_lo, s5, v6, vcc_lo
	global_store_b32 v[5:6], v2, off
	s_or_b32 exec_lo, exec_lo, s0
	s_mov_b32 s0, exec_lo
	v_cmpx_gt_i32_e64 s12, v0
	s_cbranch_execz .LBB41_105
.LBB41_123:
	v_dual_mov_b32 v2, 0 :: v_dual_add_nc_u32 v1, s2, v0
	v_add_nc_u32_e32 v0, 0x100, v0
	s_delay_alu instid0(VALU_DEP_2) | instskip(NEXT) | instid1(VALU_DEP_1)
	v_lshlrev_b64 v[1:2], 2, v[1:2]
	v_add_co_u32 v1, vcc_lo, s4, v1
	s_delay_alu instid0(VALU_DEP_2) | instskip(SKIP_2) | instid1(SALU_CYCLE_1)
	v_add_co_ci_u32_e32 v2, vcc_lo, s5, v2, vcc_lo
	global_store_b32 v[1:2], v3, off
	s_or_b32 exec_lo, exec_lo, s0
	s_mov_b32 s0, exec_lo
	v_cmpx_gt_i32_e64 s12, v0
	s_cbranch_execnz .LBB41_106
	s_branch .LBB41_107
	.section	.rodata,"a",@progbits
	.p2align	6, 0x0
	.amdhsa_kernel _ZN2at6native29vectorized_elementwise_kernelILi8ENS0_13BinaryFunctorIfffZZZNS0_12_GLOBAL__N_132hermite_polynomial_h_kernel_cudaERNS_18TensorIteratorBaseEENKUlvE_clEvENKUlvE0_clEvEUlffE_EESt5arrayIPcLm3EEEEviT0_T1_
		.amdhsa_group_segment_fixed_size 0
		.amdhsa_private_segment_fixed_size 0
		.amdhsa_kernarg_size 32
		.amdhsa_user_sgpr_count 15
		.amdhsa_user_sgpr_dispatch_ptr 0
		.amdhsa_user_sgpr_queue_ptr 0
		.amdhsa_user_sgpr_kernarg_segment_ptr 1
		.amdhsa_user_sgpr_dispatch_id 0
		.amdhsa_user_sgpr_private_segment_size 0
		.amdhsa_wavefront_size32 1
		.amdhsa_uses_dynamic_stack 0
		.amdhsa_enable_private_segment 0
		.amdhsa_system_sgpr_workgroup_id_x 1
		.amdhsa_system_sgpr_workgroup_id_y 0
		.amdhsa_system_sgpr_workgroup_id_z 0
		.amdhsa_system_sgpr_workgroup_info 0
		.amdhsa_system_vgpr_workitem_id 0
		.amdhsa_next_free_vgpr 16
		.amdhsa_next_free_sgpr 20
		.amdhsa_reserve_vcc 1
		.amdhsa_float_round_mode_32 0
		.amdhsa_float_round_mode_16_64 0
		.amdhsa_float_denorm_mode_32 3
		.amdhsa_float_denorm_mode_16_64 3
		.amdhsa_dx10_clamp 1
		.amdhsa_ieee_mode 1
		.amdhsa_fp16_overflow 0
		.amdhsa_workgroup_processor_mode 1
		.amdhsa_memory_ordered 1
		.amdhsa_forward_progress 0
		.amdhsa_shared_vgpr_count 0
		.amdhsa_exception_fp_ieee_invalid_op 0
		.amdhsa_exception_fp_denorm_src 0
		.amdhsa_exception_fp_ieee_div_zero 0
		.amdhsa_exception_fp_ieee_overflow 0
		.amdhsa_exception_fp_ieee_underflow 0
		.amdhsa_exception_fp_ieee_inexact 0
		.amdhsa_exception_int_div_zero 0
	.end_amdhsa_kernel
	.section	.text._ZN2at6native29vectorized_elementwise_kernelILi8ENS0_13BinaryFunctorIfffZZZNS0_12_GLOBAL__N_132hermite_polynomial_h_kernel_cudaERNS_18TensorIteratorBaseEENKUlvE_clEvENKUlvE0_clEvEUlffE_EESt5arrayIPcLm3EEEEviT0_T1_,"axG",@progbits,_ZN2at6native29vectorized_elementwise_kernelILi8ENS0_13BinaryFunctorIfffZZZNS0_12_GLOBAL__N_132hermite_polynomial_h_kernel_cudaERNS_18TensorIteratorBaseEENKUlvE_clEvENKUlvE0_clEvEUlffE_EESt5arrayIPcLm3EEEEviT0_T1_,comdat
.Lfunc_end41:
	.size	_ZN2at6native29vectorized_elementwise_kernelILi8ENS0_13BinaryFunctorIfffZZZNS0_12_GLOBAL__N_132hermite_polynomial_h_kernel_cudaERNS_18TensorIteratorBaseEENKUlvE_clEvENKUlvE0_clEvEUlffE_EESt5arrayIPcLm3EEEEviT0_T1_, .Lfunc_end41-_ZN2at6native29vectorized_elementwise_kernelILi8ENS0_13BinaryFunctorIfffZZZNS0_12_GLOBAL__N_132hermite_polynomial_h_kernel_cudaERNS_18TensorIteratorBaseEENKUlvE_clEvENKUlvE0_clEvEUlffE_EESt5arrayIPcLm3EEEEviT0_T1_
                                        ; -- End function
	.section	.AMDGPU.csdata,"",@progbits
; Kernel info:
; codeLenInByte = 3920
; NumSgprs: 22
; NumVgprs: 16
; ScratchSize: 0
; MemoryBound: 0
; FloatMode: 240
; IeeeMode: 1
; LDSByteSize: 0 bytes/workgroup (compile time only)
; SGPRBlocks: 2
; VGPRBlocks: 1
; NumSGPRsForWavesPerEU: 22
; NumVGPRsForWavesPerEU: 16
; Occupancy: 16
; WaveLimiterHint : 0
; COMPUTE_PGM_RSRC2:SCRATCH_EN: 0
; COMPUTE_PGM_RSRC2:USER_SGPR: 15
; COMPUTE_PGM_RSRC2:TRAP_HANDLER: 0
; COMPUTE_PGM_RSRC2:TGID_X_EN: 1
; COMPUTE_PGM_RSRC2:TGID_Y_EN: 0
; COMPUTE_PGM_RSRC2:TGID_Z_EN: 0
; COMPUTE_PGM_RSRC2:TIDIG_COMP_CNT: 0
	.section	.text._ZN2at6native29vectorized_elementwise_kernelILi4ENS0_13BinaryFunctorIfffZZZNS0_12_GLOBAL__N_132hermite_polynomial_h_kernel_cudaERNS_18TensorIteratorBaseEENKUlvE_clEvENKUlvE0_clEvEUlffE_EESt5arrayIPcLm3EEEEviT0_T1_,"axG",@progbits,_ZN2at6native29vectorized_elementwise_kernelILi4ENS0_13BinaryFunctorIfffZZZNS0_12_GLOBAL__N_132hermite_polynomial_h_kernel_cudaERNS_18TensorIteratorBaseEENKUlvE_clEvENKUlvE0_clEvEUlffE_EESt5arrayIPcLm3EEEEviT0_T1_,comdat
	.globl	_ZN2at6native29vectorized_elementwise_kernelILi4ENS0_13BinaryFunctorIfffZZZNS0_12_GLOBAL__N_132hermite_polynomial_h_kernel_cudaERNS_18TensorIteratorBaseEENKUlvE_clEvENKUlvE0_clEvEUlffE_EESt5arrayIPcLm3EEEEviT0_T1_ ; -- Begin function _ZN2at6native29vectorized_elementwise_kernelILi4ENS0_13BinaryFunctorIfffZZZNS0_12_GLOBAL__N_132hermite_polynomial_h_kernel_cudaERNS_18TensorIteratorBaseEENKUlvE_clEvENKUlvE0_clEvEUlffE_EESt5arrayIPcLm3EEEEviT0_T1_
	.p2align	8
	.type	_ZN2at6native29vectorized_elementwise_kernelILi4ENS0_13BinaryFunctorIfffZZZNS0_12_GLOBAL__N_132hermite_polynomial_h_kernel_cudaERNS_18TensorIteratorBaseEENKUlvE_clEvENKUlvE0_clEvEUlffE_EESt5arrayIPcLm3EEEEviT0_T1_,@function
_ZN2at6native29vectorized_elementwise_kernelILi4ENS0_13BinaryFunctorIfffZZZNS0_12_GLOBAL__N_132hermite_polynomial_h_kernel_cudaERNS_18TensorIteratorBaseEENKUlvE_clEvENKUlvE0_clEvEUlffE_EESt5arrayIPcLm3EEEEviT0_T1_: ; @_ZN2at6native29vectorized_elementwise_kernelILi4ENS0_13BinaryFunctorIfffZZZNS0_12_GLOBAL__N_132hermite_polynomial_h_kernel_cudaERNS_18TensorIteratorBaseEENKUlvE_clEvENKUlvE0_clEvEUlffE_EESt5arrayIPcLm3EEEEviT0_T1_
; %bb.0:
	s_clause 0x2
	s_load_b32 s3, s[0:1], 0x0
	s_load_b128 s[4:7], s[0:1], 0x8
	s_load_b64 s[8:9], s[0:1], 0x18
	s_lshl_b32 s2, s15, 10
	s_mov_b32 s0, -1
	s_waitcnt lgkmcnt(0)
	s_sub_i32 s12, s3, s2
	s_delay_alu instid0(SALU_CYCLE_1)
	s_cmpk_gt_i32 s12, 0x3ff
	s_cbranch_scc0 .LBB42_50
; %bb.1:
	s_ashr_i32 s3, s2, 31
	v_lshlrev_b32_e32 v11, 4, v0
	s_lshl_b64 s[0:1], s[2:3], 2
	s_mov_b32 s3, exec_lo
	s_add_u32 s10, s6, s0
	s_addc_u32 s11, s7, s1
	s_add_u32 s14, s8, s0
	s_addc_u32 s15, s9, s1
	s_clause 0x1
	global_load_b128 v[1:4], v11, s[14:15]
	global_load_b128 v[5:8], v11, s[10:11]
	s_waitcnt vmcnt(1)
	v_trunc_f32_e32 v9, v1
	s_delay_alu instid0(VALU_DEP_1) | instskip(NEXT) | instid1(VALU_DEP_1)
	v_mul_f32_e64 v10, 0x2f800000, |v9|
	v_floor_f32_e32 v10, v10
	s_delay_alu instid0(VALU_DEP_1) | instskip(SKIP_2) | instid1(VALU_DEP_3)
	v_fma_f32 v12, 0xcf800000, v10, |v9|
	v_ashrrev_i32_e32 v9, 31, v9
	v_cvt_u32_f32_e32 v10, v10
	v_cvt_u32_f32_e32 v12, v12
	s_delay_alu instid0(VALU_DEP_2) | instskip(NEXT) | instid1(VALU_DEP_2)
	v_xor_b32_e32 v10, v10, v9
	v_xor_b32_e32 v12, v12, v9
	s_delay_alu instid0(VALU_DEP_1) | instskip(NEXT) | instid1(VALU_DEP_3)
	v_sub_co_u32 v12, vcc_lo, v12, v9
	v_sub_co_ci_u32_e32 v9, vcc_lo, v10, v9, vcc_lo
	v_cmp_class_f32_e64 vcc_lo, v1, 0x1f8
	s_delay_alu instid0(VALU_DEP_2) | instskip(NEXT) | instid1(VALU_DEP_4)
	v_dual_mov_b32 v1, 0 :: v_dual_cndmask_b32 v10, -1, v9
	v_cndmask_b32_e32 v9, -1, v12, vcc_lo
	s_delay_alu instid0(VALU_DEP_1)
	v_cmpx_lt_i64_e32 -1, v[9:10]
	s_cbranch_execz .LBB42_13
; %bb.2:
	v_mov_b32_e32 v1, 1.0
	s_mov_b32 s13, exec_lo
	v_cmpx_lt_i64_e32 0, v[9:10]
	s_cbranch_execz .LBB42_12
; %bb.3:
                                        ; implicit-def: $vgpr1
	s_mov_b32 s10, exec_lo
	v_cmpx_ne_u64_e32 1, v[9:10]
	s_xor_b32 s14, exec_lo, s10
	s_cbranch_execz .LBB42_9
; %bb.4:
	v_mov_b32_e32 v1, 0x7fc00000
	s_mov_b32 s15, exec_lo
	v_cmpx_gt_u64_e32 0x81, v[9:10]
	s_cbranch_execz .LBB42_8
; %bb.5:
	s_waitcnt vmcnt(0)
	v_dual_add_f32 v12, v5, v5 :: v_dual_mov_b32 v13, 1.0
	v_lshlrev_b64 v[9:10], 1, v[9:10]
	s_mov_b64 s[10:11], 2
	s_mov_b32 s16, 0
	s_delay_alu instid0(VALU_DEP_2)
	v_mov_b32_e32 v1, v12
	.p2align	6
.LBB42_6:                               ; =>This Inner Loop Header: Depth=1
	s_clz_i32_u32 s17, s11
	s_delay_alu instid0(SALU_CYCLE_1) | instskip(NEXT) | instid1(SALU_CYCLE_1)
	s_min_u32 s17, s17, 32
	s_lshl_b64 s[18:19], s[10:11], s17
	s_sub_i32 s17, 32, s17
	s_min_u32 s18, s18, 1
	s_delay_alu instid0(SALU_CYCLE_1) | instskip(SKIP_3) | instid1(SALU_CYCLE_1)
	s_or_b32 s18, s19, s18
	s_add_u32 s10, s10, 2
	v_cvt_f32_u32_e32 v14, s18
	s_addc_u32 s11, s11, 0
	v_cmp_ge_u64_e32 vcc_lo, s[10:11], v[9:10]
	s_delay_alu instid0(VALU_DEP_2) | instskip(SKIP_1) | instid1(VALU_DEP_1)
	v_ldexp_f32 v14, v14, s17
	s_or_b32 s16, vcc_lo, s16
	v_mul_f32_e32 v14, v13, v14
	v_mov_b32_e32 v13, v1
	s_delay_alu instid0(VALU_DEP_2)
	v_fma_f32 v1, v12, v1, -v14
	s_and_not1_b32 exec_lo, exec_lo, s16
	s_cbranch_execnz .LBB42_6
; %bb.7:
	s_or_b32 exec_lo, exec_lo, s16
.LBB42_8:
	s_delay_alu instid0(SALU_CYCLE_1)
	s_or_b32 exec_lo, exec_lo, s15
.LBB42_9:
	s_and_not1_saveexec_b32 s10, s14
	s_cbranch_execz .LBB42_11
; %bb.10:
	s_waitcnt vmcnt(0)
	v_add_f32_e32 v1, v5, v5
.LBB42_11:
	s_or_b32 exec_lo, exec_lo, s10
.LBB42_12:
	s_delay_alu instid0(SALU_CYCLE_1)
	s_or_b32 exec_lo, exec_lo, s13
.LBB42_13:
	s_delay_alu instid0(SALU_CYCLE_1) | instskip(SKIP_3) | instid1(VALU_DEP_1)
	s_or_b32 exec_lo, exec_lo, s3
	s_waitcnt vmcnt(0)
	v_trunc_f32_e32 v5, v2
	s_mov_b32 s3, exec_lo
	v_mul_f32_e64 v9, 0x2f800000, |v5|
	s_delay_alu instid0(VALU_DEP_1) | instskip(NEXT) | instid1(VALU_DEP_1)
	v_floor_f32_e32 v9, v9
	v_fma_f32 v10, 0xcf800000, v9, |v5|
	v_ashrrev_i32_e32 v5, 31, v5
	v_cvt_u32_f32_e32 v9, v9
	s_delay_alu instid0(VALU_DEP_3) | instskip(NEXT) | instid1(VALU_DEP_2)
	v_cvt_u32_f32_e32 v10, v10
	v_xor_b32_e32 v9, v9, v5
	s_delay_alu instid0(VALU_DEP_2) | instskip(NEXT) | instid1(VALU_DEP_1)
	v_xor_b32_e32 v10, v10, v5
	v_sub_co_u32 v12, vcc_lo, v10, v5
	s_delay_alu instid0(VALU_DEP_3) | instskip(SKIP_2) | instid1(VALU_DEP_3)
	v_sub_co_ci_u32_e32 v5, vcc_lo, v9, v5, vcc_lo
	v_cmp_class_f32_e64 vcc_lo, v2, 0x1f8
	v_mov_b32_e32 v2, 0
	v_dual_cndmask_b32 v10, -1, v5 :: v_dual_cndmask_b32 v9, -1, v12
	s_delay_alu instid0(VALU_DEP_1)
	v_cmpx_lt_i64_e32 -1, v[9:10]
	s_cbranch_execz .LBB42_25
; %bb.14:
	v_mov_b32_e32 v2, 1.0
	s_mov_b32 s13, exec_lo
	v_cmpx_lt_i64_e32 0, v[9:10]
	s_cbranch_execz .LBB42_24
; %bb.15:
	s_mov_b32 s10, exec_lo
	v_cmpx_ne_u64_e32 1, v[9:10]
	s_xor_b32 s14, exec_lo, s10
	s_cbranch_execz .LBB42_21
; %bb.16:
	v_mov_b32_e32 v2, 0x7fc00000
	s_mov_b32 s15, exec_lo
	v_cmpx_gt_u64_e32 0x81, v[9:10]
	s_cbranch_execz .LBB42_20
; %bb.17:
	v_dual_add_f32 v5, v6, v6 :: v_dual_mov_b32 v12, 1.0
	v_lshlrev_b64 v[9:10], 1, v[9:10]
	s_mov_b64 s[10:11], 2
	s_mov_b32 s16, 0
	s_delay_alu instid0(VALU_DEP_2)
	v_mov_b32_e32 v2, v5
	.p2align	6
.LBB42_18:                              ; =>This Inner Loop Header: Depth=1
	s_clz_i32_u32 s17, s11
	s_delay_alu instid0(SALU_CYCLE_1) | instskip(NEXT) | instid1(SALU_CYCLE_1)
	s_min_u32 s17, s17, 32
	s_lshl_b64 s[18:19], s[10:11], s17
	s_sub_i32 s17, 32, s17
	s_min_u32 s18, s18, 1
	s_delay_alu instid0(SALU_CYCLE_1) | instskip(SKIP_3) | instid1(SALU_CYCLE_1)
	s_or_b32 s18, s19, s18
	s_add_u32 s10, s10, 2
	v_cvt_f32_u32_e32 v13, s18
	s_addc_u32 s11, s11, 0
	v_cmp_ge_u64_e32 vcc_lo, s[10:11], v[9:10]
	s_delay_alu instid0(VALU_DEP_2) | instskip(SKIP_1) | instid1(VALU_DEP_1)
	v_ldexp_f32 v13, v13, s17
	s_or_b32 s16, vcc_lo, s16
	v_dual_mul_f32 v13, v12, v13 :: v_dual_mov_b32 v12, v2
	s_delay_alu instid0(VALU_DEP_1)
	v_fma_f32 v2, v5, v2, -v13
	s_and_not1_b32 exec_lo, exec_lo, s16
	s_cbranch_execnz .LBB42_18
; %bb.19:
	s_or_b32 exec_lo, exec_lo, s16
.LBB42_20:
	s_delay_alu instid0(SALU_CYCLE_1)
	s_or_b32 exec_lo, exec_lo, s15
.LBB42_21:
	s_and_not1_saveexec_b32 s10, s14
; %bb.22:
	v_add_f32_e32 v2, v6, v6
; %bb.23:
	s_or_b32 exec_lo, exec_lo, s10
.LBB42_24:
	s_delay_alu instid0(SALU_CYCLE_1)
	s_or_b32 exec_lo, exec_lo, s13
.LBB42_25:
	s_delay_alu instid0(SALU_CYCLE_1) | instskip(SKIP_2) | instid1(VALU_DEP_1)
	s_or_b32 exec_lo, exec_lo, s3
	v_trunc_f32_e32 v5, v3
	s_mov_b32 s3, exec_lo
	v_mul_f32_e64 v6, 0x2f800000, |v5|
	s_delay_alu instid0(VALU_DEP_1) | instskip(NEXT) | instid1(VALU_DEP_1)
	v_floor_f32_e32 v6, v6
	v_fma_f32 v9, 0xcf800000, v6, |v5|
	v_ashrrev_i32_e32 v5, 31, v5
	v_cvt_u32_f32_e32 v6, v6
	s_delay_alu instid0(VALU_DEP_3) | instskip(NEXT) | instid1(VALU_DEP_2)
	v_cvt_u32_f32_e32 v9, v9
	v_xor_b32_e32 v6, v6, v5
	s_delay_alu instid0(VALU_DEP_2) | instskip(NEXT) | instid1(VALU_DEP_1)
	v_xor_b32_e32 v9, v9, v5
	v_sub_co_u32 v9, vcc_lo, v9, v5
	s_delay_alu instid0(VALU_DEP_3) | instskip(SKIP_1) | instid1(VALU_DEP_2)
	v_sub_co_ci_u32_e32 v5, vcc_lo, v6, v5, vcc_lo
	v_cmp_class_f32_e64 vcc_lo, v3, 0x1f8
	v_dual_mov_b32 v3, 0 :: v_dual_cndmask_b32 v6, -1, v5
	s_delay_alu instid0(VALU_DEP_4) | instskip(NEXT) | instid1(VALU_DEP_1)
	v_cndmask_b32_e32 v5, -1, v9, vcc_lo
	v_cmpx_lt_i64_e32 -1, v[5:6]
	s_cbranch_execz .LBB42_37
; %bb.26:
	v_mov_b32_e32 v3, 1.0
	s_mov_b32 s13, exec_lo
	v_cmpx_lt_i64_e32 0, v[5:6]
	s_cbranch_execz .LBB42_36
; %bb.27:
	s_mov_b32 s10, exec_lo
	v_cmpx_ne_u64_e32 1, v[5:6]
	s_xor_b32 s14, exec_lo, s10
	s_cbranch_execz .LBB42_33
; %bb.28:
	v_mov_b32_e32 v3, 0x7fc00000
	s_mov_b32 s15, exec_lo
	v_cmpx_gt_u64_e32 0x81, v[5:6]
	s_cbranch_execz .LBB42_32
; %bb.29:
	v_dual_add_f32 v9, v7, v7 :: v_dual_mov_b32 v10, 1.0
	v_lshlrev_b64 v[5:6], 1, v[5:6]
	s_mov_b64 s[10:11], 2
	s_mov_b32 s16, 0
	s_delay_alu instid0(VALU_DEP_2)
	v_mov_b32_e32 v3, v9
	.p2align	6
.LBB42_30:                              ; =>This Inner Loop Header: Depth=1
	s_clz_i32_u32 s17, s11
	s_delay_alu instid0(SALU_CYCLE_1) | instskip(NEXT) | instid1(SALU_CYCLE_1)
	s_min_u32 s17, s17, 32
	s_lshl_b64 s[18:19], s[10:11], s17
	s_sub_i32 s17, 32, s17
	s_min_u32 s18, s18, 1
	s_delay_alu instid0(SALU_CYCLE_1) | instskip(SKIP_3) | instid1(SALU_CYCLE_1)
	s_or_b32 s18, s19, s18
	s_add_u32 s10, s10, 2
	v_cvt_f32_u32_e32 v12, s18
	s_addc_u32 s11, s11, 0
	v_cmp_ge_u64_e32 vcc_lo, s[10:11], v[5:6]
	s_delay_alu instid0(VALU_DEP_2) | instskip(SKIP_1) | instid1(VALU_DEP_1)
	v_ldexp_f32 v12, v12, s17
	s_or_b32 s16, vcc_lo, s16
	v_mul_f32_e32 v12, v10, v12
	v_mov_b32_e32 v10, v3
	s_delay_alu instid0(VALU_DEP_2)
	v_fma_f32 v3, v9, v3, -v12
	s_and_not1_b32 exec_lo, exec_lo, s16
	s_cbranch_execnz .LBB42_30
; %bb.31:
	s_or_b32 exec_lo, exec_lo, s16
.LBB42_32:
	s_delay_alu instid0(SALU_CYCLE_1)
	s_or_b32 exec_lo, exec_lo, s15
.LBB42_33:
	s_and_not1_saveexec_b32 s10, s14
; %bb.34:
	v_add_f32_e32 v3, v7, v7
; %bb.35:
	s_or_b32 exec_lo, exec_lo, s10
.LBB42_36:
	s_delay_alu instid0(SALU_CYCLE_1)
	s_or_b32 exec_lo, exec_lo, s13
.LBB42_37:
	s_delay_alu instid0(SALU_CYCLE_1) | instskip(SKIP_2) | instid1(VALU_DEP_1)
	s_or_b32 exec_lo, exec_lo, s3
	v_trunc_f32_e32 v5, v4
	s_mov_b32 s3, exec_lo
	v_mul_f32_e64 v6, 0x2f800000, |v5|
	s_delay_alu instid0(VALU_DEP_1) | instskip(NEXT) | instid1(VALU_DEP_1)
	v_floor_f32_e32 v6, v6
	v_fma_f32 v7, 0xcf800000, v6, |v5|
	v_ashrrev_i32_e32 v5, 31, v5
	v_cvt_u32_f32_e32 v6, v6
	s_delay_alu instid0(VALU_DEP_3) | instskip(NEXT) | instid1(VALU_DEP_2)
	v_cvt_u32_f32_e32 v7, v7
	v_xor_b32_e32 v6, v6, v5
	s_delay_alu instid0(VALU_DEP_2) | instskip(NEXT) | instid1(VALU_DEP_1)
	v_xor_b32_e32 v7, v7, v5
	v_sub_co_u32 v7, vcc_lo, v7, v5
	s_delay_alu instid0(VALU_DEP_3) | instskip(SKIP_2) | instid1(VALU_DEP_3)
	v_sub_co_ci_u32_e32 v5, vcc_lo, v6, v5, vcc_lo
	v_cmp_class_f32_e64 vcc_lo, v4, 0x1f8
	v_mov_b32_e32 v4, 0
	v_dual_cndmask_b32 v6, -1, v5 :: v_dual_cndmask_b32 v5, -1, v7
	s_delay_alu instid0(VALU_DEP_1)
	v_cmpx_lt_i64_e32 -1, v[5:6]
	s_cbranch_execz .LBB42_49
; %bb.38:
	v_mov_b32_e32 v4, 1.0
	s_mov_b32 s13, exec_lo
	v_cmpx_lt_i64_e32 0, v[5:6]
	s_cbranch_execz .LBB42_48
; %bb.39:
	s_mov_b32 s10, exec_lo
	v_cmpx_ne_u64_e32 1, v[5:6]
	s_xor_b32 s14, exec_lo, s10
	s_cbranch_execz .LBB42_45
; %bb.40:
	v_mov_b32_e32 v4, 0x7fc00000
	s_mov_b32 s15, exec_lo
	v_cmpx_gt_u64_e32 0x81, v[5:6]
	s_cbranch_execz .LBB42_44
; %bb.41:
	v_dual_add_f32 v7, v8, v8 :: v_dual_mov_b32 v8, 1.0
	v_lshlrev_b64 v[5:6], 1, v[5:6]
	s_mov_b64 s[10:11], 2
	s_mov_b32 s16, 0
	s_delay_alu instid0(VALU_DEP_2)
	v_mov_b32_e32 v4, v7
	.p2align	6
.LBB42_42:                              ; =>This Inner Loop Header: Depth=1
	s_clz_i32_u32 s17, s11
	s_delay_alu instid0(SALU_CYCLE_1) | instskip(NEXT) | instid1(SALU_CYCLE_1)
	s_min_u32 s17, s17, 32
	s_lshl_b64 s[18:19], s[10:11], s17
	s_sub_i32 s17, 32, s17
	s_min_u32 s18, s18, 1
	s_delay_alu instid0(SALU_CYCLE_1) | instskip(SKIP_3) | instid1(SALU_CYCLE_1)
	s_or_b32 s18, s19, s18
	s_add_u32 s10, s10, 2
	v_cvt_f32_u32_e32 v9, s18
	s_addc_u32 s11, s11, 0
	v_cmp_ge_u64_e32 vcc_lo, s[10:11], v[5:6]
	s_delay_alu instid0(VALU_DEP_2) | instskip(SKIP_1) | instid1(VALU_DEP_1)
	v_ldexp_f32 v9, v9, s17
	s_or_b32 s16, vcc_lo, s16
	v_mul_f32_e32 v9, v8, v9
	v_mov_b32_e32 v8, v4
	s_delay_alu instid0(VALU_DEP_2)
	v_fma_f32 v4, v7, v4, -v9
	s_and_not1_b32 exec_lo, exec_lo, s16
	s_cbranch_execnz .LBB42_42
; %bb.43:
	s_or_b32 exec_lo, exec_lo, s16
.LBB42_44:
	s_delay_alu instid0(SALU_CYCLE_1)
	s_or_b32 exec_lo, exec_lo, s15
                                        ; implicit-def: $vgpr5_vgpr6_vgpr7_vgpr8
.LBB42_45:
	s_and_not1_saveexec_b32 s10, s14
; %bb.46:
	v_add_f32_e32 v4, v8, v8
; %bb.47:
	s_or_b32 exec_lo, exec_lo, s10
.LBB42_48:
	s_delay_alu instid0(SALU_CYCLE_1)
	s_or_b32 exec_lo, exec_lo, s13
.LBB42_49:
	s_delay_alu instid0(SALU_CYCLE_1)
	s_or_b32 exec_lo, exec_lo, s3
	s_add_u32 s10, s4, s0
	s_addc_u32 s11, s5, s1
	s_mov_b32 s0, 0
	global_store_b128 v11, v[1:4], s[10:11]
.LBB42_50:
	s_and_b32 vcc_lo, exec_lo, s0
	s_cbranch_vccz .LBB42_107
; %bb.51:
	v_cmp_gt_i32_e32 vcc_lo, s12, v0
	v_dual_mov_b32 v13, 0 :: v_dual_mov_b32 v14, 0
	v_or_b32_e32 v5, s2, v0
	v_or_b32_e32 v8, 0x100, v0
	v_mov_b32_e32 v7, 0
	v_mov_b32_e32 v1, v0
	s_and_saveexec_b32 s1, vcc_lo
	s_cbranch_execz .LBB42_53
; %bb.52:
	v_mov_b32_e32 v6, 0
	s_delay_alu instid0(VALU_DEP_1) | instskip(NEXT) | instid1(VALU_DEP_1)
	v_lshlrev_b64 v[1:2], 2, v[5:6]
	v_add_co_u32 v3, s0, s6, v1
	s_delay_alu instid0(VALU_DEP_1) | instskip(SKIP_1) | instid1(VALU_DEP_1)
	v_add_co_ci_u32_e64 v4, s0, s7, v2, s0
	v_add_co_u32 v1, s0, s8, v1
	v_add_co_ci_u32_e64 v2, s0, s9, v2, s0
	global_load_b32 v7, v[3:4], off
	global_load_b32 v14, v[1:2], off
	v_or_b32_e32 v1, 0x100, v0
.LBB42_53:
	s_or_b32 exec_lo, exec_lo, s1
	v_mov_b32_e32 v6, 0
	s_mov_b32 s1, exec_lo
	s_delay_alu instid0(VALU_DEP_2)
	v_cmpx_gt_i32_e64 s12, v1
	s_cbranch_execz .LBB42_55
; %bb.54:
	v_dual_mov_b32 v3, 0 :: v_dual_add_nc_u32 v2, s2, v1
	v_add_nc_u32_e32 v1, 0x100, v1
	s_delay_alu instid0(VALU_DEP_2) | instskip(NEXT) | instid1(VALU_DEP_1)
	v_lshlrev_b64 v[2:3], 2, v[2:3]
	v_add_co_u32 v9, s0, s6, v2
	s_delay_alu instid0(VALU_DEP_1) | instskip(SKIP_1) | instid1(VALU_DEP_1)
	v_add_co_ci_u32_e64 v10, s0, s7, v3, s0
	v_add_co_u32 v2, s0, s8, v2
	v_add_co_ci_u32_e64 v3, s0, s9, v3, s0
	global_load_b32 v13, v[9:10], off
	global_load_b32 v6, v[2:3], off
.LBB42_55:
	s_or_b32 exec_lo, exec_lo, s1
	v_dual_mov_b32 v9, 0 :: v_dual_mov_b32 v12, 0
	v_mov_b32_e32 v11, 0
	s_mov_b32 s1, exec_lo
	v_cmpx_gt_i32_e64 s12, v1
	s_cbranch_execz .LBB42_57
; %bb.56:
	v_dual_mov_b32 v3, 0 :: v_dual_add_nc_u32 v2, s2, v1
	v_add_nc_u32_e32 v1, 0x100, v1
	s_delay_alu instid0(VALU_DEP_2) | instskip(NEXT) | instid1(VALU_DEP_1)
	v_lshlrev_b64 v[2:3], 2, v[2:3]
	v_add_co_u32 v10, s0, s6, v2
	s_delay_alu instid0(VALU_DEP_1) | instskip(SKIP_1) | instid1(VALU_DEP_1)
	v_add_co_ci_u32_e64 v11, s0, s7, v3, s0
	v_add_co_u32 v2, s0, s8, v2
	v_add_co_ci_u32_e64 v3, s0, s9, v3, s0
	global_load_b32 v11, v[10:11], off
	global_load_b32 v12, v[2:3], off
.LBB42_57:
	s_or_b32 exec_lo, exec_lo, s1
	v_mov_b32_e32 v10, 0
	s_mov_b32 s1, exec_lo
	v_cmpx_gt_i32_e64 s12, v1
	s_cbranch_execnz .LBB42_60
; %bb.58:
	s_or_b32 exec_lo, exec_lo, s1
                                        ; implicit-def: $vgpr1_vgpr2_vgpr3_vgpr4
	s_and_saveexec_b32 s1, vcc_lo
	s_cbranch_execnz .LBB42_61
.LBB42_59:
	s_or_b32 exec_lo, exec_lo, s1
	s_delay_alu instid0(SALU_CYCLE_1)
	s_mov_b32 s1, exec_lo
	v_cmpx_gt_i32_e64 s12, v8
	s_cbranch_execnz .LBB42_74
	s_branch .LBB42_87
.LBB42_60:
	v_dual_mov_b32 v2, 0 :: v_dual_add_nc_u32 v1, s2, v1
	s_delay_alu instid0(VALU_DEP_1) | instskip(NEXT) | instid1(VALU_DEP_1)
	v_lshlrev_b64 v[1:2], 2, v[1:2]
	v_add_co_u32 v3, s0, s6, v1
	s_delay_alu instid0(VALU_DEP_1) | instskip(SKIP_1) | instid1(VALU_DEP_1)
	v_add_co_ci_u32_e64 v4, s0, s7, v2, s0
	v_add_co_u32 v1, s0, s8, v1
	v_add_co_ci_u32_e64 v2, s0, s9, v2, s0
	global_load_b32 v9, v[3:4], off
	global_load_b32 v10, v[1:2], off
	s_or_b32 exec_lo, exec_lo, s1
                                        ; implicit-def: $vgpr1_vgpr2_vgpr3_vgpr4
	s_and_saveexec_b32 s1, vcc_lo
	s_cbranch_execz .LBB42_59
.LBB42_61:
	s_waitcnt vmcnt(0)
	v_trunc_f32_e32 v1, v14
	s_mov_b32 s3, exec_lo
	s_delay_alu instid0(VALU_DEP_1) | instskip(NEXT) | instid1(VALU_DEP_1)
	v_mul_f32_e64 v2, 0x2f800000, |v1|
	v_floor_f32_e32 v2, v2
	s_delay_alu instid0(VALU_DEP_1) | instskip(SKIP_2) | instid1(VALU_DEP_3)
	v_fma_f32 v3, 0xcf800000, v2, |v1|
	v_ashrrev_i32_e32 v1, 31, v1
	v_cvt_u32_f32_e32 v2, v2
	v_cvt_u32_f32_e32 v3, v3
	s_delay_alu instid0(VALU_DEP_2) | instskip(NEXT) | instid1(VALU_DEP_2)
	v_xor_b32_e32 v2, v2, v1
	v_xor_b32_e32 v3, v3, v1
	s_delay_alu instid0(VALU_DEP_1) | instskip(NEXT) | instid1(VALU_DEP_1)
	v_sub_co_u32 v4, s0, v3, v1
	v_sub_co_ci_u32_e64 v1, s0, v2, v1, s0
	v_cmp_class_f32_e64 s0, v14, 0x1f8
	s_delay_alu instid0(VALU_DEP_1) | instskip(NEXT) | instid1(VALU_DEP_4)
	v_cndmask_b32_e64 v3, -1, v1, s0
	v_cndmask_b32_e64 v2, -1, v4, s0
	v_mov_b32_e32 v1, 0
	s_delay_alu instid0(VALU_DEP_2)
	v_cmpx_lt_i64_e32 -1, v[2:3]
	s_cbranch_execz .LBB42_73
; %bb.62:
	v_mov_b32_e32 v1, 1.0
	s_mov_b32 s8, exec_lo
	v_cmpx_lt_i64_e32 0, v[2:3]
	s_cbranch_execz .LBB42_72
; %bb.63:
                                        ; implicit-def: $vgpr1
	s_mov_b32 s6, exec_lo
	v_cmpx_ne_u64_e32 1, v[2:3]
	s_xor_b32 s9, exec_lo, s6
	s_cbranch_execz .LBB42_69
; %bb.64:
	v_mov_b32_e32 v1, 0x7fc00000
	s_mov_b32 s10, exec_lo
	v_cmpx_gt_u64_e32 0x81, v[2:3]
	s_cbranch_execz .LBB42_68
; %bb.65:
	v_dual_add_f32 v4, v7, v7 :: v_dual_mov_b32 v7, 1.0
	v_lshlrev_b64 v[2:3], 1, v[2:3]
	s_mov_b64 s[6:7], 2
	s_mov_b32 s11, 0
	s_delay_alu instid0(VALU_DEP_2)
	v_mov_b32_e32 v1, v4
	.p2align	6
.LBB42_66:                              ; =>This Inner Loop Header: Depth=1
	s_clz_i32_u32 s0, s7
	s_delay_alu instid0(SALU_CYCLE_1) | instskip(NEXT) | instid1(SALU_CYCLE_1)
	s_min_u32 s0, s0, 32
	s_lshl_b64 s[14:15], s[6:7], s0
	s_sub_i32 s0, 32, s0
	s_min_u32 s13, s14, 1
	s_delay_alu instid0(SALU_CYCLE_1) | instskip(SKIP_3) | instid1(VALU_DEP_1)
	s_or_b32 s13, s15, s13
	s_add_u32 s6, s6, 2
	v_cvt_f32_u32_e32 v14, s13
	s_addc_u32 s7, s7, 0
	v_ldexp_f32 v14, v14, s0
	v_cmp_ge_u64_e64 s0, s[6:7], v[2:3]
	s_delay_alu instid0(VALU_DEP_2) | instskip(NEXT) | instid1(VALU_DEP_2)
	v_dual_mul_f32 v14, v7, v14 :: v_dual_mov_b32 v7, v1
	s_or_b32 s11, s0, s11
	s_delay_alu instid0(VALU_DEP_1)
	v_fma_f32 v1, v4, v1, -v14
	s_and_not1_b32 exec_lo, exec_lo, s11
	s_cbranch_execnz .LBB42_66
; %bb.67:
	s_or_b32 exec_lo, exec_lo, s11
.LBB42_68:
	s_delay_alu instid0(SALU_CYCLE_1)
	s_or_b32 exec_lo, exec_lo, s10
                                        ; implicit-def: $vgpr7
.LBB42_69:
	s_and_not1_saveexec_b32 s0, s9
; %bb.70:
	v_add_f32_e32 v1, v7, v7
; %bb.71:
	s_or_b32 exec_lo, exec_lo, s0
.LBB42_72:
	s_delay_alu instid0(SALU_CYCLE_1)
	s_or_b32 exec_lo, exec_lo, s8
.LBB42_73:
	s_delay_alu instid0(SALU_CYCLE_1) | instskip(NEXT) | instid1(SALU_CYCLE_1)
	s_or_b32 exec_lo, exec_lo, s3
	s_or_b32 exec_lo, exec_lo, s1
	s_delay_alu instid0(SALU_CYCLE_1)
	s_mov_b32 s1, exec_lo
	v_cmpx_gt_i32_e64 s12, v8
	s_cbranch_execz .LBB42_87
.LBB42_74:
	s_waitcnt vmcnt(0)
	v_trunc_f32_e32 v2, v6
	s_mov_b32 s3, exec_lo
	s_delay_alu instid0(VALU_DEP_1) | instskip(NEXT) | instid1(VALU_DEP_1)
	v_mul_f32_e64 v7, 0x2f800000, |v2|
	v_floor_f32_e32 v7, v7
	s_delay_alu instid0(VALU_DEP_1) | instskip(SKIP_2) | instid1(VALU_DEP_3)
	v_fma_f32 v14, 0xcf800000, v7, |v2|
	v_ashrrev_i32_e32 v2, 31, v2
	v_cvt_u32_f32_e32 v7, v7
	v_cvt_u32_f32_e32 v14, v14
	s_delay_alu instid0(VALU_DEP_2) | instskip(NEXT) | instid1(VALU_DEP_2)
	v_xor_b32_e32 v7, v7, v2
	v_xor_b32_e32 v14, v14, v2
	s_delay_alu instid0(VALU_DEP_1) | instskip(NEXT) | instid1(VALU_DEP_1)
	v_sub_co_u32 v14, s0, v14, v2
	v_sub_co_ci_u32_e64 v2, s0, v7, v2, s0
	v_cmp_class_f32_e64 s0, v6, 0x1f8
	s_delay_alu instid0(VALU_DEP_1) | instskip(NEXT) | instid1(VALU_DEP_4)
	v_cndmask_b32_e64 v7, -1, v2, s0
	v_cndmask_b32_e64 v6, -1, v14, s0
	v_mov_b32_e32 v2, 0
	s_delay_alu instid0(VALU_DEP_2)
	v_cmpx_lt_i64_e32 -1, v[6:7]
	s_cbranch_execz .LBB42_86
; %bb.75:
	v_mov_b32_e32 v2, 1.0
	s_mov_b32 s8, exec_lo
	v_cmpx_lt_i64_e32 0, v[6:7]
	s_cbranch_execz .LBB42_85
; %bb.76:
	s_mov_b32 s6, exec_lo
	v_cmpx_ne_u64_e32 1, v[6:7]
	s_xor_b32 s9, exec_lo, s6
	s_cbranch_execz .LBB42_82
; %bb.77:
	v_mov_b32_e32 v2, 0x7fc00000
	s_mov_b32 s10, exec_lo
	v_cmpx_gt_u64_e32 0x81, v[6:7]
	s_cbranch_execz .LBB42_81
; %bb.78:
	v_dual_add_f32 v13, v13, v13 :: v_dual_mov_b32 v14, 1.0
	v_lshlrev_b64 v[6:7], 1, v[6:7]
	s_mov_b64 s[6:7], 2
	s_mov_b32 s11, 0
	s_delay_alu instid0(VALU_DEP_2)
	v_mov_b32_e32 v2, v13
	.p2align	6
.LBB42_79:                              ; =>This Inner Loop Header: Depth=1
	s_clz_i32_u32 s0, s7
	s_delay_alu instid0(SALU_CYCLE_1) | instskip(NEXT) | instid1(SALU_CYCLE_1)
	s_min_u32 s0, s0, 32
	s_lshl_b64 s[14:15], s[6:7], s0
	s_sub_i32 s0, 32, s0
	s_min_u32 s13, s14, 1
	s_delay_alu instid0(SALU_CYCLE_1) | instskip(SKIP_3) | instid1(VALU_DEP_1)
	s_or_b32 s13, s15, s13
	s_add_u32 s6, s6, 2
	v_cvt_f32_u32_e32 v15, s13
	s_addc_u32 s7, s7, 0
	v_ldexp_f32 v15, v15, s0
	v_cmp_ge_u64_e64 s0, s[6:7], v[6:7]
	s_delay_alu instid0(VALU_DEP_2) | instskip(SKIP_1) | instid1(VALU_DEP_3)
	v_mul_f32_e32 v15, v14, v15
	v_mov_b32_e32 v14, v2
	s_or_b32 s11, s0, s11
	s_delay_alu instid0(VALU_DEP_2)
	v_fma_f32 v2, v13, v2, -v15
	s_and_not1_b32 exec_lo, exec_lo, s11
	s_cbranch_execnz .LBB42_79
; %bb.80:
	s_or_b32 exec_lo, exec_lo, s11
.LBB42_81:
	s_delay_alu instid0(SALU_CYCLE_1)
	s_or_b32 exec_lo, exec_lo, s10
                                        ; implicit-def: $vgpr13
.LBB42_82:
	s_and_not1_saveexec_b32 s0, s9
; %bb.83:
	v_add_f32_e32 v2, v13, v13
; %bb.84:
	s_or_b32 exec_lo, exec_lo, s0
.LBB42_85:
	s_delay_alu instid0(SALU_CYCLE_1)
	s_or_b32 exec_lo, exec_lo, s8
.LBB42_86:
	s_delay_alu instid0(SALU_CYCLE_1)
	s_or_b32 exec_lo, exec_lo, s3
.LBB42_87:
	s_delay_alu instid0(SALU_CYCLE_1) | instskip(SKIP_3) | instid1(VALU_DEP_1)
	s_or_b32 exec_lo, exec_lo, s1
	s_waitcnt vmcnt(0)
	v_or_b32_e32 v6, 0x200, v0
	s_mov_b32 s1, exec_lo
	v_cmpx_gt_i32_e64 s12, v6
	s_cbranch_execz .LBB42_101
; %bb.88:
	v_trunc_f32_e32 v3, v12
	s_mov_b32 s3, exec_lo
	s_delay_alu instid0(VALU_DEP_1) | instskip(NEXT) | instid1(VALU_DEP_1)
	v_mul_f32_e64 v6, 0x2f800000, |v3|
	v_floor_f32_e32 v6, v6
	s_delay_alu instid0(VALU_DEP_1) | instskip(SKIP_2) | instid1(VALU_DEP_3)
	v_fma_f32 v7, 0xcf800000, v6, |v3|
	v_ashrrev_i32_e32 v3, 31, v3
	v_cvt_u32_f32_e32 v6, v6
	v_cvt_u32_f32_e32 v7, v7
	s_delay_alu instid0(VALU_DEP_2) | instskip(NEXT) | instid1(VALU_DEP_2)
	v_xor_b32_e32 v6, v6, v3
	v_xor_b32_e32 v7, v7, v3
	s_delay_alu instid0(VALU_DEP_1) | instskip(NEXT) | instid1(VALU_DEP_1)
	v_sub_co_u32 v13, s0, v7, v3
	v_sub_co_ci_u32_e64 v3, s0, v6, v3, s0
	v_cmp_class_f32_e64 s0, v12, 0x1f8
	s_delay_alu instid0(VALU_DEP_1) | instskip(NEXT) | instid1(VALU_DEP_4)
	v_cndmask_b32_e64 v7, -1, v3, s0
	v_cndmask_b32_e64 v6, -1, v13, s0
	v_mov_b32_e32 v3, 0
	s_delay_alu instid0(VALU_DEP_2)
	v_cmpx_lt_i64_e32 -1, v[6:7]
	s_cbranch_execz .LBB42_100
; %bb.89:
	v_mov_b32_e32 v3, 1.0
	s_mov_b32 s8, exec_lo
	v_cmpx_lt_i64_e32 0, v[6:7]
	s_cbranch_execz .LBB42_99
; %bb.90:
	s_mov_b32 s6, exec_lo
	v_cmpx_ne_u64_e32 1, v[6:7]
	s_xor_b32 s9, exec_lo, s6
	s_cbranch_execz .LBB42_96
; %bb.91:
	v_mov_b32_e32 v3, 0x7fc00000
	s_mov_b32 s10, exec_lo
	v_cmpx_gt_u64_e32 0x81, v[6:7]
	s_cbranch_execz .LBB42_95
; %bb.92:
	v_dual_add_f32 v11, v11, v11 :: v_dual_mov_b32 v12, 1.0
	v_lshlrev_b64 v[6:7], 1, v[6:7]
	s_mov_b64 s[6:7], 2
	s_mov_b32 s11, 0
	s_delay_alu instid0(VALU_DEP_2)
	v_mov_b32_e32 v3, v11
	.p2align	6
.LBB42_93:                              ; =>This Inner Loop Header: Depth=1
	s_clz_i32_u32 s0, s7
	s_delay_alu instid0(SALU_CYCLE_1) | instskip(NEXT) | instid1(SALU_CYCLE_1)
	s_min_u32 s0, s0, 32
	s_lshl_b64 s[14:15], s[6:7], s0
	s_sub_i32 s0, 32, s0
	s_min_u32 s13, s14, 1
	s_delay_alu instid0(SALU_CYCLE_1) | instskip(SKIP_3) | instid1(VALU_DEP_1)
	s_or_b32 s13, s15, s13
	s_add_u32 s6, s6, 2
	v_cvt_f32_u32_e32 v13, s13
	s_addc_u32 s7, s7, 0
	v_ldexp_f32 v13, v13, s0
	v_cmp_ge_u64_e64 s0, s[6:7], v[6:7]
	s_delay_alu instid0(VALU_DEP_2) | instskip(NEXT) | instid1(VALU_DEP_2)
	v_dual_mul_f32 v13, v12, v13 :: v_dual_mov_b32 v12, v3
	s_or_b32 s11, s0, s11
	s_delay_alu instid0(VALU_DEP_1)
	v_fma_f32 v3, v11, v3, -v13
	s_and_not1_b32 exec_lo, exec_lo, s11
	s_cbranch_execnz .LBB42_93
; %bb.94:
	s_or_b32 exec_lo, exec_lo, s11
.LBB42_95:
	s_delay_alu instid0(SALU_CYCLE_1)
	s_or_b32 exec_lo, exec_lo, s10
                                        ; implicit-def: $vgpr11
.LBB42_96:
	s_and_not1_saveexec_b32 s0, s9
; %bb.97:
	v_add_f32_e32 v3, v11, v11
; %bb.98:
	s_or_b32 exec_lo, exec_lo, s0
.LBB42_99:
	s_delay_alu instid0(SALU_CYCLE_1)
	s_or_b32 exec_lo, exec_lo, s8
.LBB42_100:
	s_delay_alu instid0(SALU_CYCLE_1)
	s_or_b32 exec_lo, exec_lo, s3
.LBB42_101:
	s_delay_alu instid0(SALU_CYCLE_1) | instskip(SKIP_2) | instid1(VALU_DEP_1)
	s_or_b32 exec_lo, exec_lo, s1
	v_or_b32_e32 v6, 0x300, v0
	s_mov_b32 s1, exec_lo
	v_cmpx_gt_i32_e64 s12, v6
	s_cbranch_execnz .LBB42_108
; %bb.102:
	s_or_b32 exec_lo, exec_lo, s1
	s_and_saveexec_b32 s0, vcc_lo
	s_delay_alu instid0(SALU_CYCLE_1)
	s_xor_b32 s0, exec_lo, s0
	s_cbranch_execnz .LBB42_121
.LBB42_103:
	s_or_b32 exec_lo, exec_lo, s0
	s_delay_alu instid0(SALU_CYCLE_1)
	s_mov_b32 s0, exec_lo
	v_cmpx_gt_i32_e64 s12, v0
	s_cbranch_execnz .LBB42_122
.LBB42_104:
	s_or_b32 exec_lo, exec_lo, s0
	s_delay_alu instid0(SALU_CYCLE_1)
	s_mov_b32 s0, exec_lo
	v_cmpx_gt_i32_e64 s12, v0
	s_cbranch_execnz .LBB42_123
.LBB42_105:
	s_or_b32 exec_lo, exec_lo, s0
	s_delay_alu instid0(SALU_CYCLE_1)
	s_mov_b32 s0, exec_lo
	v_cmpx_gt_i32_e64 s12, v0
	s_cbranch_execz .LBB42_107
.LBB42_106:
	v_dual_mov_b32 v1, 0 :: v_dual_add_nc_u32 v0, s2, v0
	s_delay_alu instid0(VALU_DEP_1) | instskip(NEXT) | instid1(VALU_DEP_1)
	v_lshlrev_b64 v[0:1], 2, v[0:1]
	v_add_co_u32 v0, vcc_lo, s4, v0
	s_delay_alu instid0(VALU_DEP_2)
	v_add_co_ci_u32_e32 v1, vcc_lo, s5, v1, vcc_lo
	global_store_b32 v[0:1], v4, off
.LBB42_107:
	s_nop 0
	s_sendmsg sendmsg(MSG_DEALLOC_VGPRS)
	s_endpgm
.LBB42_108:
	v_trunc_f32_e32 v4, v10
	s_mov_b32 s3, exec_lo
	s_delay_alu instid0(VALU_DEP_1) | instskip(NEXT) | instid1(VALU_DEP_1)
	v_mul_f32_e64 v6, 0x2f800000, |v4|
	v_floor_f32_e32 v6, v6
	s_delay_alu instid0(VALU_DEP_1) | instskip(SKIP_2) | instid1(VALU_DEP_3)
	v_fma_f32 v7, 0xcf800000, v6, |v4|
	v_ashrrev_i32_e32 v4, 31, v4
	v_cvt_u32_f32_e32 v6, v6
	v_cvt_u32_f32_e32 v7, v7
	s_delay_alu instid0(VALU_DEP_2) | instskip(NEXT) | instid1(VALU_DEP_2)
	v_xor_b32_e32 v6, v6, v4
	v_xor_b32_e32 v7, v7, v4
	s_delay_alu instid0(VALU_DEP_1) | instskip(NEXT) | instid1(VALU_DEP_1)
	v_sub_co_u32 v11, s0, v7, v4
	v_sub_co_ci_u32_e64 v4, s0, v6, v4, s0
	v_cmp_class_f32_e64 s0, v10, 0x1f8
	s_delay_alu instid0(VALU_DEP_1) | instskip(NEXT) | instid1(VALU_DEP_4)
	v_cndmask_b32_e64 v7, -1, v4, s0
	v_cndmask_b32_e64 v6, -1, v11, s0
	v_mov_b32_e32 v4, 0
	s_delay_alu instid0(VALU_DEP_2)
	v_cmpx_lt_i64_e32 -1, v[6:7]
	s_cbranch_execz .LBB42_120
; %bb.109:
	v_mov_b32_e32 v4, 1.0
	s_mov_b32 s8, exec_lo
	v_cmpx_lt_i64_e32 0, v[6:7]
	s_cbranch_execz .LBB42_119
; %bb.110:
	s_mov_b32 s6, exec_lo
	v_cmpx_ne_u64_e32 1, v[6:7]
	s_xor_b32 s9, exec_lo, s6
	s_cbranch_execz .LBB42_116
; %bb.111:
	v_mov_b32_e32 v4, 0x7fc00000
	s_mov_b32 s10, exec_lo
	v_cmpx_gt_u64_e32 0x81, v[6:7]
	s_cbranch_execz .LBB42_115
; %bb.112:
	v_dual_add_f32 v9, v9, v9 :: v_dual_mov_b32 v10, 1.0
	v_lshlrev_b64 v[6:7], 1, v[6:7]
	s_mov_b64 s[6:7], 2
	s_mov_b32 s11, 0
	s_delay_alu instid0(VALU_DEP_2)
	v_mov_b32_e32 v4, v9
	.p2align	6
.LBB42_113:                             ; =>This Inner Loop Header: Depth=1
	s_clz_i32_u32 s0, s7
	s_delay_alu instid0(SALU_CYCLE_1) | instskip(NEXT) | instid1(SALU_CYCLE_1)
	s_min_u32 s0, s0, 32
	s_lshl_b64 s[14:15], s[6:7], s0
	s_sub_i32 s0, 32, s0
	s_min_u32 s13, s14, 1
	s_delay_alu instid0(SALU_CYCLE_1) | instskip(SKIP_3) | instid1(VALU_DEP_1)
	s_or_b32 s13, s15, s13
	s_add_u32 s6, s6, 2
	v_cvt_f32_u32_e32 v11, s13
	s_addc_u32 s7, s7, 0
	v_ldexp_f32 v11, v11, s0
	v_cmp_ge_u64_e64 s0, s[6:7], v[6:7]
	s_delay_alu instid0(VALU_DEP_2) | instskip(NEXT) | instid1(VALU_DEP_2)
	v_dual_mul_f32 v11, v10, v11 :: v_dual_mov_b32 v10, v4
	s_or_b32 s11, s0, s11
	s_delay_alu instid0(VALU_DEP_1)
	v_fma_f32 v4, v9, v4, -v11
	s_and_not1_b32 exec_lo, exec_lo, s11
	s_cbranch_execnz .LBB42_113
; %bb.114:
	s_or_b32 exec_lo, exec_lo, s11
.LBB42_115:
	s_delay_alu instid0(SALU_CYCLE_1)
	s_or_b32 exec_lo, exec_lo, s10
                                        ; implicit-def: $vgpr9
.LBB42_116:
	s_and_not1_saveexec_b32 s0, s9
; %bb.117:
	v_add_f32_e32 v4, v9, v9
; %bb.118:
	s_or_b32 exec_lo, exec_lo, s0
.LBB42_119:
	s_delay_alu instid0(SALU_CYCLE_1)
	s_or_b32 exec_lo, exec_lo, s8
.LBB42_120:
	s_delay_alu instid0(SALU_CYCLE_1) | instskip(NEXT) | instid1(SALU_CYCLE_1)
	s_or_b32 exec_lo, exec_lo, s3
	s_or_b32 exec_lo, exec_lo, s1
	s_and_saveexec_b32 s0, vcc_lo
	s_delay_alu instid0(SALU_CYCLE_1)
	s_xor_b32 s0, exec_lo, s0
	s_cbranch_execz .LBB42_103
.LBB42_121:
	v_mov_b32_e32 v6, 0
	v_mov_b32_e32 v0, v8
	s_delay_alu instid0(VALU_DEP_2) | instskip(NEXT) | instid1(VALU_DEP_1)
	v_lshlrev_b64 v[5:6], 2, v[5:6]
	v_add_co_u32 v5, vcc_lo, s4, v5
	s_delay_alu instid0(VALU_DEP_2) | instskip(SKIP_2) | instid1(SALU_CYCLE_1)
	v_add_co_ci_u32_e32 v6, vcc_lo, s5, v6, vcc_lo
	global_store_b32 v[5:6], v1, off
	s_or_b32 exec_lo, exec_lo, s0
	s_mov_b32 s0, exec_lo
	v_cmpx_gt_i32_e64 s12, v0
	s_cbranch_execz .LBB42_104
.LBB42_122:
	v_dual_mov_b32 v6, 0 :: v_dual_add_nc_u32 v5, s2, v0
	v_add_nc_u32_e32 v0, 0x100, v0
	s_delay_alu instid0(VALU_DEP_2) | instskip(NEXT) | instid1(VALU_DEP_1)
	v_lshlrev_b64 v[5:6], 2, v[5:6]
	v_add_co_u32 v5, vcc_lo, s4, v5
	s_delay_alu instid0(VALU_DEP_2) | instskip(SKIP_2) | instid1(SALU_CYCLE_1)
	v_add_co_ci_u32_e32 v6, vcc_lo, s5, v6, vcc_lo
	global_store_b32 v[5:6], v2, off
	s_or_b32 exec_lo, exec_lo, s0
	s_mov_b32 s0, exec_lo
	v_cmpx_gt_i32_e64 s12, v0
	s_cbranch_execz .LBB42_105
.LBB42_123:
	v_dual_mov_b32 v2, 0 :: v_dual_add_nc_u32 v1, s2, v0
	v_add_nc_u32_e32 v0, 0x100, v0
	s_delay_alu instid0(VALU_DEP_2) | instskip(NEXT) | instid1(VALU_DEP_1)
	v_lshlrev_b64 v[1:2], 2, v[1:2]
	v_add_co_u32 v1, vcc_lo, s4, v1
	s_delay_alu instid0(VALU_DEP_2) | instskip(SKIP_2) | instid1(SALU_CYCLE_1)
	v_add_co_ci_u32_e32 v2, vcc_lo, s5, v2, vcc_lo
	global_store_b32 v[1:2], v3, off
	s_or_b32 exec_lo, exec_lo, s0
	s_mov_b32 s0, exec_lo
	v_cmpx_gt_i32_e64 s12, v0
	s_cbranch_execnz .LBB42_106
	s_branch .LBB42_107
	.section	.rodata,"a",@progbits
	.p2align	6, 0x0
	.amdhsa_kernel _ZN2at6native29vectorized_elementwise_kernelILi4ENS0_13BinaryFunctorIfffZZZNS0_12_GLOBAL__N_132hermite_polynomial_h_kernel_cudaERNS_18TensorIteratorBaseEENKUlvE_clEvENKUlvE0_clEvEUlffE_EESt5arrayIPcLm3EEEEviT0_T1_
		.amdhsa_group_segment_fixed_size 0
		.amdhsa_private_segment_fixed_size 0
		.amdhsa_kernarg_size 32
		.amdhsa_user_sgpr_count 15
		.amdhsa_user_sgpr_dispatch_ptr 0
		.amdhsa_user_sgpr_queue_ptr 0
		.amdhsa_user_sgpr_kernarg_segment_ptr 1
		.amdhsa_user_sgpr_dispatch_id 0
		.amdhsa_user_sgpr_private_segment_size 0
		.amdhsa_wavefront_size32 1
		.amdhsa_uses_dynamic_stack 0
		.amdhsa_enable_private_segment 0
		.amdhsa_system_sgpr_workgroup_id_x 1
		.amdhsa_system_sgpr_workgroup_id_y 0
		.amdhsa_system_sgpr_workgroup_id_z 0
		.amdhsa_system_sgpr_workgroup_info 0
		.amdhsa_system_vgpr_workitem_id 0
		.amdhsa_next_free_vgpr 16
		.amdhsa_next_free_sgpr 20
		.amdhsa_reserve_vcc 1
		.amdhsa_float_round_mode_32 0
		.amdhsa_float_round_mode_16_64 0
		.amdhsa_float_denorm_mode_32 3
		.amdhsa_float_denorm_mode_16_64 3
		.amdhsa_dx10_clamp 1
		.amdhsa_ieee_mode 1
		.amdhsa_fp16_overflow 0
		.amdhsa_workgroup_processor_mode 1
		.amdhsa_memory_ordered 1
		.amdhsa_forward_progress 0
		.amdhsa_shared_vgpr_count 0
		.amdhsa_exception_fp_ieee_invalid_op 0
		.amdhsa_exception_fp_denorm_src 0
		.amdhsa_exception_fp_ieee_div_zero 0
		.amdhsa_exception_fp_ieee_overflow 0
		.amdhsa_exception_fp_ieee_underflow 0
		.amdhsa_exception_fp_ieee_inexact 0
		.amdhsa_exception_int_div_zero 0
	.end_amdhsa_kernel
	.section	.text._ZN2at6native29vectorized_elementwise_kernelILi4ENS0_13BinaryFunctorIfffZZZNS0_12_GLOBAL__N_132hermite_polynomial_h_kernel_cudaERNS_18TensorIteratorBaseEENKUlvE_clEvENKUlvE0_clEvEUlffE_EESt5arrayIPcLm3EEEEviT0_T1_,"axG",@progbits,_ZN2at6native29vectorized_elementwise_kernelILi4ENS0_13BinaryFunctorIfffZZZNS0_12_GLOBAL__N_132hermite_polynomial_h_kernel_cudaERNS_18TensorIteratorBaseEENKUlvE_clEvENKUlvE0_clEvEUlffE_EESt5arrayIPcLm3EEEEviT0_T1_,comdat
.Lfunc_end42:
	.size	_ZN2at6native29vectorized_elementwise_kernelILi4ENS0_13BinaryFunctorIfffZZZNS0_12_GLOBAL__N_132hermite_polynomial_h_kernel_cudaERNS_18TensorIteratorBaseEENKUlvE_clEvENKUlvE0_clEvEUlffE_EESt5arrayIPcLm3EEEEviT0_T1_, .Lfunc_end42-_ZN2at6native29vectorized_elementwise_kernelILi4ENS0_13BinaryFunctorIfffZZZNS0_12_GLOBAL__N_132hermite_polynomial_h_kernel_cudaERNS_18TensorIteratorBaseEENKUlvE_clEvENKUlvE0_clEvEUlffE_EESt5arrayIPcLm3EEEEviT0_T1_
                                        ; -- End function
	.section	.AMDGPU.csdata,"",@progbits
; Kernel info:
; codeLenInByte = 3920
; NumSgprs: 22
; NumVgprs: 16
; ScratchSize: 0
; MemoryBound: 0
; FloatMode: 240
; IeeeMode: 1
; LDSByteSize: 0 bytes/workgroup (compile time only)
; SGPRBlocks: 2
; VGPRBlocks: 1
; NumSGPRsForWavesPerEU: 22
; NumVGPRsForWavesPerEU: 16
; Occupancy: 16
; WaveLimiterHint : 0
; COMPUTE_PGM_RSRC2:SCRATCH_EN: 0
; COMPUTE_PGM_RSRC2:USER_SGPR: 15
; COMPUTE_PGM_RSRC2:TRAP_HANDLER: 0
; COMPUTE_PGM_RSRC2:TGID_X_EN: 1
; COMPUTE_PGM_RSRC2:TGID_Y_EN: 0
; COMPUTE_PGM_RSRC2:TGID_Z_EN: 0
; COMPUTE_PGM_RSRC2:TIDIG_COMP_CNT: 0
	.section	.text._ZN2at6native29vectorized_elementwise_kernelILi2ENS0_13BinaryFunctorIfffZZZNS0_12_GLOBAL__N_132hermite_polynomial_h_kernel_cudaERNS_18TensorIteratorBaseEENKUlvE_clEvENKUlvE0_clEvEUlffE_EESt5arrayIPcLm3EEEEviT0_T1_,"axG",@progbits,_ZN2at6native29vectorized_elementwise_kernelILi2ENS0_13BinaryFunctorIfffZZZNS0_12_GLOBAL__N_132hermite_polynomial_h_kernel_cudaERNS_18TensorIteratorBaseEENKUlvE_clEvENKUlvE0_clEvEUlffE_EESt5arrayIPcLm3EEEEviT0_T1_,comdat
	.globl	_ZN2at6native29vectorized_elementwise_kernelILi2ENS0_13BinaryFunctorIfffZZZNS0_12_GLOBAL__N_132hermite_polynomial_h_kernel_cudaERNS_18TensorIteratorBaseEENKUlvE_clEvENKUlvE0_clEvEUlffE_EESt5arrayIPcLm3EEEEviT0_T1_ ; -- Begin function _ZN2at6native29vectorized_elementwise_kernelILi2ENS0_13BinaryFunctorIfffZZZNS0_12_GLOBAL__N_132hermite_polynomial_h_kernel_cudaERNS_18TensorIteratorBaseEENKUlvE_clEvENKUlvE0_clEvEUlffE_EESt5arrayIPcLm3EEEEviT0_T1_
	.p2align	8
	.type	_ZN2at6native29vectorized_elementwise_kernelILi2ENS0_13BinaryFunctorIfffZZZNS0_12_GLOBAL__N_132hermite_polynomial_h_kernel_cudaERNS_18TensorIteratorBaseEENKUlvE_clEvENKUlvE0_clEvEUlffE_EESt5arrayIPcLm3EEEEviT0_T1_,@function
_ZN2at6native29vectorized_elementwise_kernelILi2ENS0_13BinaryFunctorIfffZZZNS0_12_GLOBAL__N_132hermite_polynomial_h_kernel_cudaERNS_18TensorIteratorBaseEENKUlvE_clEvENKUlvE0_clEvEUlffE_EESt5arrayIPcLm3EEEEviT0_T1_: ; @_ZN2at6native29vectorized_elementwise_kernelILi2ENS0_13BinaryFunctorIfffZZZNS0_12_GLOBAL__N_132hermite_polynomial_h_kernel_cudaERNS_18TensorIteratorBaseEENKUlvE_clEvENKUlvE0_clEvEUlffE_EESt5arrayIPcLm3EEEEviT0_T1_
; %bb.0:
	s_clause 0x2
	s_load_b32 s3, s[0:1], 0x0
	s_load_b128 s[4:7], s[0:1], 0x8
	s_load_b64 s[8:9], s[0:1], 0x18
	s_lshl_b32 s2, s15, 10
	s_mov_b32 s0, -1
	s_waitcnt lgkmcnt(0)
	s_sub_i32 s12, s3, s2
	s_delay_alu instid0(SALU_CYCLE_1)
	s_cmpk_gt_i32 s12, 0x3ff
	s_cbranch_scc0 .LBB43_50
; %bb.1:
	s_ashr_i32 s3, s2, 31
	v_lshlrev_b32_e32 v11, 3, v0
	s_lshl_b64 s[0:1], s[2:3], 2
	s_mov_b32 s3, exec_lo
	s_add_u32 s10, s6, s0
	s_addc_u32 s11, s7, s1
	s_add_u32 s14, s8, s0
	s_addc_u32 s15, s9, s1
	s_clause 0x3
	global_load_b64 v[1:2], v11, s[14:15]
	global_load_b64 v[7:8], v11, s[10:11]
	global_load_b64 v[3:4], v11, s[10:11] offset:2048
	global_load_b64 v[5:6], v11, s[14:15] offset:2048
	s_waitcnt vmcnt(3)
	v_trunc_f32_e32 v9, v1
	s_delay_alu instid0(VALU_DEP_1) | instskip(NEXT) | instid1(VALU_DEP_1)
	v_mul_f32_e64 v10, 0x2f800000, |v9|
	v_floor_f32_e32 v10, v10
	s_delay_alu instid0(VALU_DEP_1) | instskip(SKIP_2) | instid1(VALU_DEP_3)
	v_fma_f32 v12, 0xcf800000, v10, |v9|
	v_ashrrev_i32_e32 v9, 31, v9
	v_cvt_u32_f32_e32 v10, v10
	v_cvt_u32_f32_e32 v12, v12
	s_delay_alu instid0(VALU_DEP_2) | instskip(NEXT) | instid1(VALU_DEP_2)
	v_xor_b32_e32 v10, v10, v9
	v_xor_b32_e32 v12, v12, v9
	s_delay_alu instid0(VALU_DEP_1) | instskip(NEXT) | instid1(VALU_DEP_3)
	v_sub_co_u32 v12, vcc_lo, v12, v9
	v_sub_co_ci_u32_e32 v9, vcc_lo, v10, v9, vcc_lo
	v_cmp_class_f32_e64 vcc_lo, v1, 0x1f8
	s_delay_alu instid0(VALU_DEP_2) | instskip(NEXT) | instid1(VALU_DEP_4)
	v_dual_mov_b32 v1, 0 :: v_dual_cndmask_b32 v10, -1, v9
	v_cndmask_b32_e32 v9, -1, v12, vcc_lo
	s_delay_alu instid0(VALU_DEP_1)
	v_cmpx_lt_i64_e32 -1, v[9:10]
	s_cbranch_execz .LBB43_13
; %bb.2:
	v_mov_b32_e32 v1, 1.0
	s_mov_b32 s13, exec_lo
	v_cmpx_lt_i64_e32 0, v[9:10]
	s_cbranch_execz .LBB43_12
; %bb.3:
                                        ; implicit-def: $vgpr1
	s_mov_b32 s10, exec_lo
	v_cmpx_ne_u64_e32 1, v[9:10]
	s_xor_b32 s14, exec_lo, s10
	s_cbranch_execz .LBB43_9
; %bb.4:
	v_mov_b32_e32 v1, 0x7fc00000
	s_mov_b32 s15, exec_lo
	v_cmpx_gt_u64_e32 0x81, v[9:10]
	s_cbranch_execz .LBB43_8
; %bb.5:
	s_waitcnt vmcnt(2)
	v_dual_add_f32 v12, v7, v7 :: v_dual_mov_b32 v13, 1.0
	v_lshlrev_b64 v[9:10], 1, v[9:10]
	s_mov_b64 s[10:11], 2
	s_mov_b32 s16, 0
	s_delay_alu instid0(VALU_DEP_2)
	v_mov_b32_e32 v1, v12
	.p2align	6
.LBB43_6:                               ; =>This Inner Loop Header: Depth=1
	s_clz_i32_u32 s17, s11
	s_delay_alu instid0(SALU_CYCLE_1) | instskip(NEXT) | instid1(SALU_CYCLE_1)
	s_min_u32 s17, s17, 32
	s_lshl_b64 s[18:19], s[10:11], s17
	s_sub_i32 s17, 32, s17
	s_min_u32 s18, s18, 1
	s_delay_alu instid0(SALU_CYCLE_1) | instskip(SKIP_3) | instid1(SALU_CYCLE_1)
	s_or_b32 s18, s19, s18
	s_add_u32 s10, s10, 2
	v_cvt_f32_u32_e32 v14, s18
	s_addc_u32 s11, s11, 0
	v_cmp_ge_u64_e32 vcc_lo, s[10:11], v[9:10]
	s_delay_alu instid0(VALU_DEP_2) | instskip(SKIP_1) | instid1(VALU_DEP_1)
	v_ldexp_f32 v14, v14, s17
	s_or_b32 s16, vcc_lo, s16
	v_mul_f32_e32 v14, v13, v14
	v_mov_b32_e32 v13, v1
	s_delay_alu instid0(VALU_DEP_2)
	v_fma_f32 v1, v12, v1, -v14
	s_and_not1_b32 exec_lo, exec_lo, s16
	s_cbranch_execnz .LBB43_6
; %bb.7:
	s_or_b32 exec_lo, exec_lo, s16
.LBB43_8:
	s_delay_alu instid0(SALU_CYCLE_1)
	s_or_b32 exec_lo, exec_lo, s15
.LBB43_9:
	s_and_not1_saveexec_b32 s10, s14
	s_cbranch_execz .LBB43_11
; %bb.10:
	s_waitcnt vmcnt(2)
	v_add_f32_e32 v1, v7, v7
.LBB43_11:
	s_or_b32 exec_lo, exec_lo, s10
.LBB43_12:
	s_delay_alu instid0(SALU_CYCLE_1)
	s_or_b32 exec_lo, exec_lo, s13
.LBB43_13:
	s_delay_alu instid0(SALU_CYCLE_1) | instskip(SKIP_3) | instid1(VALU_DEP_1)
	s_or_b32 exec_lo, exec_lo, s3
	s_waitcnt vmcnt(2)
	v_trunc_f32_e32 v7, v2
	s_mov_b32 s3, exec_lo
	v_mul_f32_e64 v9, 0x2f800000, |v7|
	s_delay_alu instid0(VALU_DEP_1) | instskip(NEXT) | instid1(VALU_DEP_1)
	v_floor_f32_e32 v9, v9
	v_fma_f32 v10, 0xcf800000, v9, |v7|
	v_ashrrev_i32_e32 v7, 31, v7
	v_cvt_u32_f32_e32 v9, v9
	s_delay_alu instid0(VALU_DEP_3) | instskip(NEXT) | instid1(VALU_DEP_2)
	v_cvt_u32_f32_e32 v10, v10
	v_xor_b32_e32 v9, v9, v7
	s_delay_alu instid0(VALU_DEP_2) | instskip(NEXT) | instid1(VALU_DEP_1)
	v_xor_b32_e32 v10, v10, v7
	v_sub_co_u32 v12, vcc_lo, v10, v7
	s_delay_alu instid0(VALU_DEP_3) | instskip(SKIP_2) | instid1(VALU_DEP_3)
	v_sub_co_ci_u32_e32 v7, vcc_lo, v9, v7, vcc_lo
	v_cmp_class_f32_e64 vcc_lo, v2, 0x1f8
	v_mov_b32_e32 v2, 0
	v_dual_cndmask_b32 v10, -1, v7 :: v_dual_cndmask_b32 v9, -1, v12
	s_delay_alu instid0(VALU_DEP_1)
	v_cmpx_lt_i64_e32 -1, v[9:10]
	s_cbranch_execz .LBB43_25
; %bb.14:
	v_mov_b32_e32 v2, 1.0
	s_mov_b32 s13, exec_lo
	v_cmpx_lt_i64_e32 0, v[9:10]
	s_cbranch_execz .LBB43_24
; %bb.15:
	s_mov_b32 s10, exec_lo
	v_cmpx_ne_u64_e32 1, v[9:10]
	s_xor_b32 s14, exec_lo, s10
	s_cbranch_execz .LBB43_21
; %bb.16:
	v_mov_b32_e32 v2, 0x7fc00000
	s_mov_b32 s15, exec_lo
	v_cmpx_gt_u64_e32 0x81, v[9:10]
	s_cbranch_execz .LBB43_20
; %bb.17:
	v_add_f32_e32 v12, v8, v8
	v_lshlrev_b64 v[7:8], 1, v[9:10]
	v_mov_b32_e32 v9, 1.0
	s_mov_b64 s[10:11], 2
	s_mov_b32 s16, 0
	v_mov_b32_e32 v2, v12
	.p2align	6
.LBB43_18:                              ; =>This Inner Loop Header: Depth=1
	s_clz_i32_u32 s17, s11
	s_delay_alu instid0(SALU_CYCLE_1) | instskip(NEXT) | instid1(SALU_CYCLE_1)
	s_min_u32 s17, s17, 32
	s_lshl_b64 s[18:19], s[10:11], s17
	s_sub_i32 s17, 32, s17
	s_min_u32 s18, s18, 1
	s_delay_alu instid0(SALU_CYCLE_1) | instskip(SKIP_3) | instid1(SALU_CYCLE_1)
	s_or_b32 s18, s19, s18
	s_add_u32 s10, s10, 2
	v_cvt_f32_u32_e32 v10, s18
	s_addc_u32 s11, s11, 0
	v_cmp_ge_u64_e32 vcc_lo, s[10:11], v[7:8]
	s_delay_alu instid0(VALU_DEP_2) | instskip(SKIP_1) | instid1(VALU_DEP_1)
	v_ldexp_f32 v10, v10, s17
	s_or_b32 s16, vcc_lo, s16
	v_dual_mul_f32 v10, v9, v10 :: v_dual_mov_b32 v9, v2
	s_delay_alu instid0(VALU_DEP_1)
	v_fma_f32 v2, v12, v2, -v10
	s_and_not1_b32 exec_lo, exec_lo, s16
	s_cbranch_execnz .LBB43_18
; %bb.19:
	s_or_b32 exec_lo, exec_lo, s16
.LBB43_20:
	s_delay_alu instid0(SALU_CYCLE_1)
	s_or_b32 exec_lo, exec_lo, s15
                                        ; implicit-def: $vgpr7_vgpr8
.LBB43_21:
	s_and_not1_saveexec_b32 s10, s14
; %bb.22:
	v_add_f32_e32 v2, v8, v8
; %bb.23:
	s_or_b32 exec_lo, exec_lo, s10
.LBB43_24:
	s_delay_alu instid0(SALU_CYCLE_1)
	s_or_b32 exec_lo, exec_lo, s13
.LBB43_25:
	s_delay_alu instid0(SALU_CYCLE_1) | instskip(SKIP_3) | instid1(VALU_DEP_1)
	s_or_b32 exec_lo, exec_lo, s3
	s_waitcnt vmcnt(0)
	v_trunc_f32_e32 v7, v5
	s_mov_b32 s3, exec_lo
	v_mul_f32_e64 v8, 0x2f800000, |v7|
	s_delay_alu instid0(VALU_DEP_1) | instskip(NEXT) | instid1(VALU_DEP_1)
	v_floor_f32_e32 v8, v8
	v_fma_f32 v9, 0xcf800000, v8, |v7|
	v_ashrrev_i32_e32 v7, 31, v7
	v_cvt_u32_f32_e32 v8, v8
	s_delay_alu instid0(VALU_DEP_3) | instskip(NEXT) | instid1(VALU_DEP_2)
	v_cvt_u32_f32_e32 v9, v9
	v_xor_b32_e32 v8, v8, v7
	s_delay_alu instid0(VALU_DEP_2) | instskip(NEXT) | instid1(VALU_DEP_1)
	v_xor_b32_e32 v9, v9, v7
	v_sub_co_u32 v9, vcc_lo, v9, v7
	s_delay_alu instid0(VALU_DEP_3) | instskip(SKIP_1) | instid1(VALU_DEP_2)
	v_sub_co_ci_u32_e32 v7, vcc_lo, v8, v7, vcc_lo
	v_cmp_class_f32_e64 vcc_lo, v5, 0x1f8
	v_dual_mov_b32 v5, 0 :: v_dual_cndmask_b32 v8, -1, v7
	s_delay_alu instid0(VALU_DEP_4) | instskip(NEXT) | instid1(VALU_DEP_1)
	v_cndmask_b32_e32 v7, -1, v9, vcc_lo
	v_cmpx_lt_i64_e32 -1, v[7:8]
	s_cbranch_execz .LBB43_37
; %bb.26:
	v_mov_b32_e32 v5, 1.0
	s_mov_b32 s13, exec_lo
	v_cmpx_lt_i64_e32 0, v[7:8]
	s_cbranch_execz .LBB43_36
; %bb.27:
                                        ; implicit-def: $vgpr5
	s_mov_b32 s10, exec_lo
	v_cmpx_ne_u64_e32 1, v[7:8]
	s_xor_b32 s14, exec_lo, s10
	s_cbranch_execz .LBB43_33
; %bb.28:
	v_mov_b32_e32 v5, 0x7fc00000
	s_mov_b32 s15, exec_lo
	v_cmpx_gt_u64_e32 0x81, v[7:8]
	s_cbranch_execz .LBB43_32
; %bb.29:
	v_dual_add_f32 v9, v3, v3 :: v_dual_mov_b32 v10, 1.0
	v_lshlrev_b64 v[7:8], 1, v[7:8]
	s_mov_b64 s[10:11], 2
	s_mov_b32 s16, 0
	s_delay_alu instid0(VALU_DEP_2)
	v_mov_b32_e32 v5, v9
	.p2align	6
.LBB43_30:                              ; =>This Inner Loop Header: Depth=1
	s_clz_i32_u32 s17, s11
	s_delay_alu instid0(SALU_CYCLE_1) | instskip(NEXT) | instid1(SALU_CYCLE_1)
	s_min_u32 s17, s17, 32
	s_lshl_b64 s[18:19], s[10:11], s17
	s_sub_i32 s17, 32, s17
	s_min_u32 s18, s18, 1
	s_delay_alu instid0(SALU_CYCLE_1) | instskip(SKIP_3) | instid1(SALU_CYCLE_1)
	s_or_b32 s18, s19, s18
	s_add_u32 s10, s10, 2
	v_cvt_f32_u32_e32 v12, s18
	s_addc_u32 s11, s11, 0
	v_cmp_ge_u64_e32 vcc_lo, s[10:11], v[7:8]
	s_delay_alu instid0(VALU_DEP_2) | instskip(SKIP_1) | instid1(VALU_DEP_1)
	v_ldexp_f32 v12, v12, s17
	s_or_b32 s16, vcc_lo, s16
	v_mul_f32_e32 v12, v10, v12
	v_mov_b32_e32 v10, v5
	s_delay_alu instid0(VALU_DEP_2)
	v_fma_f32 v5, v9, v5, -v12
	s_and_not1_b32 exec_lo, exec_lo, s16
	s_cbranch_execnz .LBB43_30
; %bb.31:
	s_or_b32 exec_lo, exec_lo, s16
.LBB43_32:
	s_delay_alu instid0(SALU_CYCLE_1)
	s_or_b32 exec_lo, exec_lo, s15
.LBB43_33:
	s_and_not1_saveexec_b32 s10, s14
; %bb.34:
	v_add_f32_e32 v5, v3, v3
; %bb.35:
	s_or_b32 exec_lo, exec_lo, s10
.LBB43_36:
	s_delay_alu instid0(SALU_CYCLE_1)
	s_or_b32 exec_lo, exec_lo, s13
.LBB43_37:
	s_delay_alu instid0(SALU_CYCLE_1) | instskip(SKIP_2) | instid1(VALU_DEP_1)
	s_or_b32 exec_lo, exec_lo, s3
	v_trunc_f32_e32 v3, v6
	s_mov_b32 s3, exec_lo
	v_mul_f32_e64 v7, 0x2f800000, |v3|
	s_delay_alu instid0(VALU_DEP_1) | instskip(NEXT) | instid1(VALU_DEP_1)
	v_floor_f32_e32 v7, v7
	v_fma_f32 v8, 0xcf800000, v7, |v3|
	v_ashrrev_i32_e32 v3, 31, v3
	v_cvt_u32_f32_e32 v7, v7
	s_delay_alu instid0(VALU_DEP_3) | instskip(NEXT) | instid1(VALU_DEP_2)
	v_cvt_u32_f32_e32 v8, v8
	v_xor_b32_e32 v7, v7, v3
	s_delay_alu instid0(VALU_DEP_2) | instskip(NEXT) | instid1(VALU_DEP_1)
	v_xor_b32_e32 v8, v8, v3
	v_sub_co_u32 v9, vcc_lo, v8, v3
	s_delay_alu instid0(VALU_DEP_3) | instskip(SKIP_2) | instid1(VALU_DEP_3)
	v_sub_co_ci_u32_e32 v3, vcc_lo, v7, v3, vcc_lo
	v_cmp_class_f32_e64 vcc_lo, v6, 0x1f8
	v_mov_b32_e32 v6, 0
	v_dual_cndmask_b32 v8, -1, v3 :: v_dual_cndmask_b32 v7, -1, v9
	s_delay_alu instid0(VALU_DEP_1)
	v_cmpx_lt_i64_e32 -1, v[7:8]
	s_cbranch_execz .LBB43_49
; %bb.38:
	v_mov_b32_e32 v6, 1.0
	s_mov_b32 s13, exec_lo
	v_cmpx_lt_i64_e32 0, v[7:8]
	s_cbranch_execz .LBB43_48
; %bb.39:
	s_mov_b32 s10, exec_lo
	v_cmpx_ne_u64_e32 1, v[7:8]
	s_xor_b32 s14, exec_lo, s10
	s_cbranch_execz .LBB43_45
; %bb.40:
	v_mov_b32_e32 v6, 0x7fc00000
	s_mov_b32 s15, exec_lo
	v_cmpx_gt_u64_e32 0x81, v[7:8]
	s_cbranch_execz .LBB43_44
; %bb.41:
	v_add_f32_e32 v9, v4, v4
	v_lshlrev_b64 v[3:4], 1, v[7:8]
	v_mov_b32_e32 v7, 1.0
	s_mov_b64 s[10:11], 2
	s_mov_b32 s16, 0
	v_mov_b32_e32 v6, v9
	.p2align	6
.LBB43_42:                              ; =>This Inner Loop Header: Depth=1
	s_clz_i32_u32 s17, s11
	s_delay_alu instid0(SALU_CYCLE_1) | instskip(NEXT) | instid1(SALU_CYCLE_1)
	s_min_u32 s17, s17, 32
	s_lshl_b64 s[18:19], s[10:11], s17
	s_sub_i32 s17, 32, s17
	s_min_u32 s18, s18, 1
	s_delay_alu instid0(SALU_CYCLE_1) | instskip(SKIP_3) | instid1(SALU_CYCLE_1)
	s_or_b32 s18, s19, s18
	s_add_u32 s10, s10, 2
	v_cvt_f32_u32_e32 v8, s18
	s_addc_u32 s11, s11, 0
	v_cmp_ge_u64_e32 vcc_lo, s[10:11], v[3:4]
	s_delay_alu instid0(VALU_DEP_2) | instskip(SKIP_1) | instid1(VALU_DEP_1)
	v_ldexp_f32 v8, v8, s17
	s_or_b32 s16, vcc_lo, s16
	v_dual_mul_f32 v8, v7, v8 :: v_dual_mov_b32 v7, v6
	s_delay_alu instid0(VALU_DEP_1)
	v_fma_f32 v6, v9, v6, -v8
	s_and_not1_b32 exec_lo, exec_lo, s16
	s_cbranch_execnz .LBB43_42
; %bb.43:
	s_or_b32 exec_lo, exec_lo, s16
.LBB43_44:
	s_delay_alu instid0(SALU_CYCLE_1)
	s_or_b32 exec_lo, exec_lo, s15
                                        ; implicit-def: $vgpr3_vgpr4
.LBB43_45:
	s_and_not1_saveexec_b32 s10, s14
; %bb.46:
	v_add_f32_e32 v6, v4, v4
; %bb.47:
	s_or_b32 exec_lo, exec_lo, s10
.LBB43_48:
	s_delay_alu instid0(SALU_CYCLE_1)
	s_or_b32 exec_lo, exec_lo, s13
.LBB43_49:
	s_delay_alu instid0(SALU_CYCLE_1)
	s_or_b32 exec_lo, exec_lo, s3
	s_add_u32 s10, s4, s0
	s_addc_u32 s11, s5, s1
	s_mov_b32 s0, 0
	s_clause 0x1
	global_store_b64 v11, v[1:2], s[10:11]
	global_store_b64 v11, v[5:6], s[10:11] offset:2048
.LBB43_50:
	s_and_b32 vcc_lo, exec_lo, s0
	s_cbranch_vccz .LBB43_107
; %bb.51:
	v_cmp_gt_i32_e32 vcc_lo, s12, v0
	v_dual_mov_b32 v13, 0 :: v_dual_mov_b32 v14, 0
	v_or_b32_e32 v5, s2, v0
	v_or_b32_e32 v8, 0x100, v0
	v_mov_b32_e32 v7, 0
	v_mov_b32_e32 v1, v0
	s_and_saveexec_b32 s1, vcc_lo
	s_cbranch_execz .LBB43_53
; %bb.52:
	v_mov_b32_e32 v6, 0
	s_delay_alu instid0(VALU_DEP_1) | instskip(NEXT) | instid1(VALU_DEP_1)
	v_lshlrev_b64 v[1:2], 2, v[5:6]
	v_add_co_u32 v3, s0, s6, v1
	s_delay_alu instid0(VALU_DEP_1) | instskip(SKIP_1) | instid1(VALU_DEP_1)
	v_add_co_ci_u32_e64 v4, s0, s7, v2, s0
	v_add_co_u32 v1, s0, s8, v1
	v_add_co_ci_u32_e64 v2, s0, s9, v2, s0
	global_load_b32 v7, v[3:4], off
	global_load_b32 v14, v[1:2], off
	v_or_b32_e32 v1, 0x100, v0
.LBB43_53:
	s_or_b32 exec_lo, exec_lo, s1
	v_mov_b32_e32 v6, 0
	s_mov_b32 s1, exec_lo
	s_delay_alu instid0(VALU_DEP_2)
	v_cmpx_gt_i32_e64 s12, v1
	s_cbranch_execz .LBB43_55
; %bb.54:
	v_dual_mov_b32 v3, 0 :: v_dual_add_nc_u32 v2, s2, v1
	v_add_nc_u32_e32 v1, 0x100, v1
	s_delay_alu instid0(VALU_DEP_2) | instskip(NEXT) | instid1(VALU_DEP_1)
	v_lshlrev_b64 v[2:3], 2, v[2:3]
	v_add_co_u32 v9, s0, s6, v2
	s_delay_alu instid0(VALU_DEP_1) | instskip(SKIP_1) | instid1(VALU_DEP_1)
	v_add_co_ci_u32_e64 v10, s0, s7, v3, s0
	v_add_co_u32 v2, s0, s8, v2
	v_add_co_ci_u32_e64 v3, s0, s9, v3, s0
	global_load_b32 v13, v[9:10], off
	global_load_b32 v6, v[2:3], off
.LBB43_55:
	s_or_b32 exec_lo, exec_lo, s1
	v_dual_mov_b32 v9, 0 :: v_dual_mov_b32 v12, 0
	v_mov_b32_e32 v11, 0
	s_mov_b32 s1, exec_lo
	v_cmpx_gt_i32_e64 s12, v1
	s_cbranch_execz .LBB43_57
; %bb.56:
	v_dual_mov_b32 v3, 0 :: v_dual_add_nc_u32 v2, s2, v1
	v_add_nc_u32_e32 v1, 0x100, v1
	s_delay_alu instid0(VALU_DEP_2) | instskip(NEXT) | instid1(VALU_DEP_1)
	v_lshlrev_b64 v[2:3], 2, v[2:3]
	v_add_co_u32 v10, s0, s6, v2
	s_delay_alu instid0(VALU_DEP_1) | instskip(SKIP_1) | instid1(VALU_DEP_1)
	v_add_co_ci_u32_e64 v11, s0, s7, v3, s0
	v_add_co_u32 v2, s0, s8, v2
	v_add_co_ci_u32_e64 v3, s0, s9, v3, s0
	global_load_b32 v11, v[10:11], off
	global_load_b32 v12, v[2:3], off
.LBB43_57:
	s_or_b32 exec_lo, exec_lo, s1
	v_mov_b32_e32 v10, 0
	s_mov_b32 s1, exec_lo
	v_cmpx_gt_i32_e64 s12, v1
	s_cbranch_execnz .LBB43_60
; %bb.58:
	s_or_b32 exec_lo, exec_lo, s1
                                        ; implicit-def: $vgpr1_vgpr2_vgpr3_vgpr4
	s_and_saveexec_b32 s1, vcc_lo
	s_cbranch_execnz .LBB43_61
.LBB43_59:
	s_or_b32 exec_lo, exec_lo, s1
	s_delay_alu instid0(SALU_CYCLE_1)
	s_mov_b32 s1, exec_lo
	v_cmpx_gt_i32_e64 s12, v8
	s_cbranch_execnz .LBB43_74
	s_branch .LBB43_87
.LBB43_60:
	v_dual_mov_b32 v2, 0 :: v_dual_add_nc_u32 v1, s2, v1
	s_delay_alu instid0(VALU_DEP_1) | instskip(NEXT) | instid1(VALU_DEP_1)
	v_lshlrev_b64 v[1:2], 2, v[1:2]
	v_add_co_u32 v3, s0, s6, v1
	s_delay_alu instid0(VALU_DEP_1) | instskip(SKIP_1) | instid1(VALU_DEP_1)
	v_add_co_ci_u32_e64 v4, s0, s7, v2, s0
	v_add_co_u32 v1, s0, s8, v1
	v_add_co_ci_u32_e64 v2, s0, s9, v2, s0
	global_load_b32 v9, v[3:4], off
	global_load_b32 v10, v[1:2], off
	s_or_b32 exec_lo, exec_lo, s1
                                        ; implicit-def: $vgpr1_vgpr2_vgpr3_vgpr4
	s_and_saveexec_b32 s1, vcc_lo
	s_cbranch_execz .LBB43_59
.LBB43_61:
	s_waitcnt vmcnt(0)
	v_trunc_f32_e32 v1, v14
	s_mov_b32 s3, exec_lo
	s_delay_alu instid0(VALU_DEP_1) | instskip(NEXT) | instid1(VALU_DEP_1)
	v_mul_f32_e64 v2, 0x2f800000, |v1|
	v_floor_f32_e32 v2, v2
	s_delay_alu instid0(VALU_DEP_1) | instskip(SKIP_2) | instid1(VALU_DEP_3)
	v_fma_f32 v3, 0xcf800000, v2, |v1|
	v_ashrrev_i32_e32 v1, 31, v1
	v_cvt_u32_f32_e32 v2, v2
	v_cvt_u32_f32_e32 v3, v3
	s_delay_alu instid0(VALU_DEP_2) | instskip(NEXT) | instid1(VALU_DEP_2)
	v_xor_b32_e32 v2, v2, v1
	v_xor_b32_e32 v3, v3, v1
	s_delay_alu instid0(VALU_DEP_1) | instskip(NEXT) | instid1(VALU_DEP_1)
	v_sub_co_u32 v4, s0, v3, v1
	v_sub_co_ci_u32_e64 v1, s0, v2, v1, s0
	v_cmp_class_f32_e64 s0, v14, 0x1f8
	s_delay_alu instid0(VALU_DEP_1) | instskip(NEXT) | instid1(VALU_DEP_4)
	v_cndmask_b32_e64 v3, -1, v1, s0
	v_cndmask_b32_e64 v2, -1, v4, s0
	v_mov_b32_e32 v1, 0
	s_delay_alu instid0(VALU_DEP_2)
	v_cmpx_lt_i64_e32 -1, v[2:3]
	s_cbranch_execz .LBB43_73
; %bb.62:
	v_mov_b32_e32 v1, 1.0
	s_mov_b32 s8, exec_lo
	v_cmpx_lt_i64_e32 0, v[2:3]
	s_cbranch_execz .LBB43_72
; %bb.63:
                                        ; implicit-def: $vgpr1
	s_mov_b32 s6, exec_lo
	v_cmpx_ne_u64_e32 1, v[2:3]
	s_xor_b32 s9, exec_lo, s6
	s_cbranch_execz .LBB43_69
; %bb.64:
	v_mov_b32_e32 v1, 0x7fc00000
	s_mov_b32 s10, exec_lo
	v_cmpx_gt_u64_e32 0x81, v[2:3]
	s_cbranch_execz .LBB43_68
; %bb.65:
	v_dual_add_f32 v4, v7, v7 :: v_dual_mov_b32 v7, 1.0
	v_lshlrev_b64 v[2:3], 1, v[2:3]
	s_mov_b64 s[6:7], 2
	s_mov_b32 s11, 0
	s_delay_alu instid0(VALU_DEP_2)
	v_mov_b32_e32 v1, v4
	.p2align	6
.LBB43_66:                              ; =>This Inner Loop Header: Depth=1
	s_clz_i32_u32 s0, s7
	s_delay_alu instid0(SALU_CYCLE_1) | instskip(NEXT) | instid1(SALU_CYCLE_1)
	s_min_u32 s0, s0, 32
	s_lshl_b64 s[14:15], s[6:7], s0
	s_sub_i32 s0, 32, s0
	s_min_u32 s13, s14, 1
	s_delay_alu instid0(SALU_CYCLE_1) | instskip(SKIP_3) | instid1(VALU_DEP_1)
	s_or_b32 s13, s15, s13
	s_add_u32 s6, s6, 2
	v_cvt_f32_u32_e32 v14, s13
	s_addc_u32 s7, s7, 0
	v_ldexp_f32 v14, v14, s0
	v_cmp_ge_u64_e64 s0, s[6:7], v[2:3]
	s_delay_alu instid0(VALU_DEP_2) | instskip(NEXT) | instid1(VALU_DEP_2)
	v_dual_mul_f32 v14, v7, v14 :: v_dual_mov_b32 v7, v1
	s_or_b32 s11, s0, s11
	s_delay_alu instid0(VALU_DEP_1)
	v_fma_f32 v1, v4, v1, -v14
	s_and_not1_b32 exec_lo, exec_lo, s11
	s_cbranch_execnz .LBB43_66
; %bb.67:
	s_or_b32 exec_lo, exec_lo, s11
.LBB43_68:
	s_delay_alu instid0(SALU_CYCLE_1)
	s_or_b32 exec_lo, exec_lo, s10
                                        ; implicit-def: $vgpr7
.LBB43_69:
	s_and_not1_saveexec_b32 s0, s9
; %bb.70:
	v_add_f32_e32 v1, v7, v7
; %bb.71:
	s_or_b32 exec_lo, exec_lo, s0
.LBB43_72:
	s_delay_alu instid0(SALU_CYCLE_1)
	s_or_b32 exec_lo, exec_lo, s8
.LBB43_73:
	s_delay_alu instid0(SALU_CYCLE_1) | instskip(NEXT) | instid1(SALU_CYCLE_1)
	s_or_b32 exec_lo, exec_lo, s3
	s_or_b32 exec_lo, exec_lo, s1
	s_delay_alu instid0(SALU_CYCLE_1)
	s_mov_b32 s1, exec_lo
	v_cmpx_gt_i32_e64 s12, v8
	s_cbranch_execz .LBB43_87
.LBB43_74:
	s_waitcnt vmcnt(0)
	v_trunc_f32_e32 v2, v6
	s_mov_b32 s3, exec_lo
	s_delay_alu instid0(VALU_DEP_1) | instskip(NEXT) | instid1(VALU_DEP_1)
	v_mul_f32_e64 v7, 0x2f800000, |v2|
	v_floor_f32_e32 v7, v7
	s_delay_alu instid0(VALU_DEP_1) | instskip(SKIP_2) | instid1(VALU_DEP_3)
	v_fma_f32 v14, 0xcf800000, v7, |v2|
	v_ashrrev_i32_e32 v2, 31, v2
	v_cvt_u32_f32_e32 v7, v7
	v_cvt_u32_f32_e32 v14, v14
	s_delay_alu instid0(VALU_DEP_2) | instskip(NEXT) | instid1(VALU_DEP_2)
	v_xor_b32_e32 v7, v7, v2
	v_xor_b32_e32 v14, v14, v2
	s_delay_alu instid0(VALU_DEP_1) | instskip(NEXT) | instid1(VALU_DEP_1)
	v_sub_co_u32 v14, s0, v14, v2
	v_sub_co_ci_u32_e64 v2, s0, v7, v2, s0
	v_cmp_class_f32_e64 s0, v6, 0x1f8
	s_delay_alu instid0(VALU_DEP_1) | instskip(NEXT) | instid1(VALU_DEP_4)
	v_cndmask_b32_e64 v7, -1, v2, s0
	v_cndmask_b32_e64 v6, -1, v14, s0
	v_mov_b32_e32 v2, 0
	s_delay_alu instid0(VALU_DEP_2)
	v_cmpx_lt_i64_e32 -1, v[6:7]
	s_cbranch_execz .LBB43_86
; %bb.75:
	v_mov_b32_e32 v2, 1.0
	s_mov_b32 s8, exec_lo
	v_cmpx_lt_i64_e32 0, v[6:7]
	s_cbranch_execz .LBB43_85
; %bb.76:
	s_mov_b32 s6, exec_lo
	v_cmpx_ne_u64_e32 1, v[6:7]
	s_xor_b32 s9, exec_lo, s6
	s_cbranch_execz .LBB43_82
; %bb.77:
	v_mov_b32_e32 v2, 0x7fc00000
	s_mov_b32 s10, exec_lo
	v_cmpx_gt_u64_e32 0x81, v[6:7]
	s_cbranch_execz .LBB43_81
; %bb.78:
	v_dual_add_f32 v13, v13, v13 :: v_dual_mov_b32 v14, 1.0
	v_lshlrev_b64 v[6:7], 1, v[6:7]
	s_mov_b64 s[6:7], 2
	s_mov_b32 s11, 0
	s_delay_alu instid0(VALU_DEP_2)
	v_mov_b32_e32 v2, v13
	.p2align	6
.LBB43_79:                              ; =>This Inner Loop Header: Depth=1
	s_clz_i32_u32 s0, s7
	s_delay_alu instid0(SALU_CYCLE_1) | instskip(NEXT) | instid1(SALU_CYCLE_1)
	s_min_u32 s0, s0, 32
	s_lshl_b64 s[14:15], s[6:7], s0
	s_sub_i32 s0, 32, s0
	s_min_u32 s13, s14, 1
	s_delay_alu instid0(SALU_CYCLE_1) | instskip(SKIP_3) | instid1(VALU_DEP_1)
	s_or_b32 s13, s15, s13
	s_add_u32 s6, s6, 2
	v_cvt_f32_u32_e32 v15, s13
	s_addc_u32 s7, s7, 0
	v_ldexp_f32 v15, v15, s0
	v_cmp_ge_u64_e64 s0, s[6:7], v[6:7]
	s_delay_alu instid0(VALU_DEP_2) | instskip(SKIP_1) | instid1(VALU_DEP_3)
	v_mul_f32_e32 v15, v14, v15
	v_mov_b32_e32 v14, v2
	s_or_b32 s11, s0, s11
	s_delay_alu instid0(VALU_DEP_2)
	v_fma_f32 v2, v13, v2, -v15
	s_and_not1_b32 exec_lo, exec_lo, s11
	s_cbranch_execnz .LBB43_79
; %bb.80:
	s_or_b32 exec_lo, exec_lo, s11
.LBB43_81:
	s_delay_alu instid0(SALU_CYCLE_1)
	s_or_b32 exec_lo, exec_lo, s10
                                        ; implicit-def: $vgpr13
.LBB43_82:
	s_and_not1_saveexec_b32 s0, s9
; %bb.83:
	v_add_f32_e32 v2, v13, v13
; %bb.84:
	s_or_b32 exec_lo, exec_lo, s0
.LBB43_85:
	s_delay_alu instid0(SALU_CYCLE_1)
	s_or_b32 exec_lo, exec_lo, s8
.LBB43_86:
	s_delay_alu instid0(SALU_CYCLE_1)
	s_or_b32 exec_lo, exec_lo, s3
.LBB43_87:
	s_delay_alu instid0(SALU_CYCLE_1) | instskip(SKIP_3) | instid1(VALU_DEP_1)
	s_or_b32 exec_lo, exec_lo, s1
	s_waitcnt vmcnt(0)
	v_or_b32_e32 v6, 0x200, v0
	s_mov_b32 s1, exec_lo
	v_cmpx_gt_i32_e64 s12, v6
	s_cbranch_execz .LBB43_101
; %bb.88:
	v_trunc_f32_e32 v3, v12
	s_mov_b32 s3, exec_lo
	s_delay_alu instid0(VALU_DEP_1) | instskip(NEXT) | instid1(VALU_DEP_1)
	v_mul_f32_e64 v6, 0x2f800000, |v3|
	v_floor_f32_e32 v6, v6
	s_delay_alu instid0(VALU_DEP_1) | instskip(SKIP_2) | instid1(VALU_DEP_3)
	v_fma_f32 v7, 0xcf800000, v6, |v3|
	v_ashrrev_i32_e32 v3, 31, v3
	v_cvt_u32_f32_e32 v6, v6
	v_cvt_u32_f32_e32 v7, v7
	s_delay_alu instid0(VALU_DEP_2) | instskip(NEXT) | instid1(VALU_DEP_2)
	v_xor_b32_e32 v6, v6, v3
	v_xor_b32_e32 v7, v7, v3
	s_delay_alu instid0(VALU_DEP_1) | instskip(NEXT) | instid1(VALU_DEP_1)
	v_sub_co_u32 v13, s0, v7, v3
	v_sub_co_ci_u32_e64 v3, s0, v6, v3, s0
	v_cmp_class_f32_e64 s0, v12, 0x1f8
	s_delay_alu instid0(VALU_DEP_1) | instskip(NEXT) | instid1(VALU_DEP_4)
	v_cndmask_b32_e64 v7, -1, v3, s0
	v_cndmask_b32_e64 v6, -1, v13, s0
	v_mov_b32_e32 v3, 0
	s_delay_alu instid0(VALU_DEP_2)
	v_cmpx_lt_i64_e32 -1, v[6:7]
	s_cbranch_execz .LBB43_100
; %bb.89:
	v_mov_b32_e32 v3, 1.0
	s_mov_b32 s8, exec_lo
	v_cmpx_lt_i64_e32 0, v[6:7]
	s_cbranch_execz .LBB43_99
; %bb.90:
	s_mov_b32 s6, exec_lo
	v_cmpx_ne_u64_e32 1, v[6:7]
	s_xor_b32 s9, exec_lo, s6
	s_cbranch_execz .LBB43_96
; %bb.91:
	v_mov_b32_e32 v3, 0x7fc00000
	s_mov_b32 s10, exec_lo
	v_cmpx_gt_u64_e32 0x81, v[6:7]
	s_cbranch_execz .LBB43_95
; %bb.92:
	v_dual_add_f32 v11, v11, v11 :: v_dual_mov_b32 v12, 1.0
	v_lshlrev_b64 v[6:7], 1, v[6:7]
	s_mov_b64 s[6:7], 2
	s_mov_b32 s11, 0
	s_delay_alu instid0(VALU_DEP_2)
	v_mov_b32_e32 v3, v11
	.p2align	6
.LBB43_93:                              ; =>This Inner Loop Header: Depth=1
	s_clz_i32_u32 s0, s7
	s_delay_alu instid0(SALU_CYCLE_1) | instskip(NEXT) | instid1(SALU_CYCLE_1)
	s_min_u32 s0, s0, 32
	s_lshl_b64 s[14:15], s[6:7], s0
	s_sub_i32 s0, 32, s0
	s_min_u32 s13, s14, 1
	s_delay_alu instid0(SALU_CYCLE_1) | instskip(SKIP_3) | instid1(VALU_DEP_1)
	s_or_b32 s13, s15, s13
	s_add_u32 s6, s6, 2
	v_cvt_f32_u32_e32 v13, s13
	s_addc_u32 s7, s7, 0
	v_ldexp_f32 v13, v13, s0
	v_cmp_ge_u64_e64 s0, s[6:7], v[6:7]
	s_delay_alu instid0(VALU_DEP_2) | instskip(NEXT) | instid1(VALU_DEP_2)
	v_dual_mul_f32 v13, v12, v13 :: v_dual_mov_b32 v12, v3
	s_or_b32 s11, s0, s11
	s_delay_alu instid0(VALU_DEP_1)
	v_fma_f32 v3, v11, v3, -v13
	s_and_not1_b32 exec_lo, exec_lo, s11
	s_cbranch_execnz .LBB43_93
; %bb.94:
	s_or_b32 exec_lo, exec_lo, s11
.LBB43_95:
	s_delay_alu instid0(SALU_CYCLE_1)
	s_or_b32 exec_lo, exec_lo, s10
                                        ; implicit-def: $vgpr11
.LBB43_96:
	s_and_not1_saveexec_b32 s0, s9
; %bb.97:
	v_add_f32_e32 v3, v11, v11
; %bb.98:
	s_or_b32 exec_lo, exec_lo, s0
.LBB43_99:
	s_delay_alu instid0(SALU_CYCLE_1)
	s_or_b32 exec_lo, exec_lo, s8
.LBB43_100:
	s_delay_alu instid0(SALU_CYCLE_1)
	s_or_b32 exec_lo, exec_lo, s3
.LBB43_101:
	s_delay_alu instid0(SALU_CYCLE_1) | instskip(SKIP_2) | instid1(VALU_DEP_1)
	s_or_b32 exec_lo, exec_lo, s1
	v_or_b32_e32 v6, 0x300, v0
	s_mov_b32 s1, exec_lo
	v_cmpx_gt_i32_e64 s12, v6
	s_cbranch_execnz .LBB43_108
; %bb.102:
	s_or_b32 exec_lo, exec_lo, s1
	s_and_saveexec_b32 s0, vcc_lo
	s_delay_alu instid0(SALU_CYCLE_1)
	s_xor_b32 s0, exec_lo, s0
	s_cbranch_execnz .LBB43_121
.LBB43_103:
	s_or_b32 exec_lo, exec_lo, s0
	s_delay_alu instid0(SALU_CYCLE_1)
	s_mov_b32 s0, exec_lo
	v_cmpx_gt_i32_e64 s12, v0
	s_cbranch_execnz .LBB43_122
.LBB43_104:
	s_or_b32 exec_lo, exec_lo, s0
	s_delay_alu instid0(SALU_CYCLE_1)
	s_mov_b32 s0, exec_lo
	v_cmpx_gt_i32_e64 s12, v0
	s_cbranch_execnz .LBB43_123
.LBB43_105:
	s_or_b32 exec_lo, exec_lo, s0
	s_delay_alu instid0(SALU_CYCLE_1)
	s_mov_b32 s0, exec_lo
	v_cmpx_gt_i32_e64 s12, v0
	s_cbranch_execz .LBB43_107
.LBB43_106:
	v_dual_mov_b32 v1, 0 :: v_dual_add_nc_u32 v0, s2, v0
	s_delay_alu instid0(VALU_DEP_1) | instskip(NEXT) | instid1(VALU_DEP_1)
	v_lshlrev_b64 v[0:1], 2, v[0:1]
	v_add_co_u32 v0, vcc_lo, s4, v0
	s_delay_alu instid0(VALU_DEP_2)
	v_add_co_ci_u32_e32 v1, vcc_lo, s5, v1, vcc_lo
	global_store_b32 v[0:1], v4, off
.LBB43_107:
	s_nop 0
	s_sendmsg sendmsg(MSG_DEALLOC_VGPRS)
	s_endpgm
.LBB43_108:
	v_trunc_f32_e32 v4, v10
	s_mov_b32 s3, exec_lo
	s_delay_alu instid0(VALU_DEP_1) | instskip(NEXT) | instid1(VALU_DEP_1)
	v_mul_f32_e64 v6, 0x2f800000, |v4|
	v_floor_f32_e32 v6, v6
	s_delay_alu instid0(VALU_DEP_1) | instskip(SKIP_2) | instid1(VALU_DEP_3)
	v_fma_f32 v7, 0xcf800000, v6, |v4|
	v_ashrrev_i32_e32 v4, 31, v4
	v_cvt_u32_f32_e32 v6, v6
	v_cvt_u32_f32_e32 v7, v7
	s_delay_alu instid0(VALU_DEP_2) | instskip(NEXT) | instid1(VALU_DEP_2)
	v_xor_b32_e32 v6, v6, v4
	v_xor_b32_e32 v7, v7, v4
	s_delay_alu instid0(VALU_DEP_1) | instskip(NEXT) | instid1(VALU_DEP_1)
	v_sub_co_u32 v11, s0, v7, v4
	v_sub_co_ci_u32_e64 v4, s0, v6, v4, s0
	v_cmp_class_f32_e64 s0, v10, 0x1f8
	s_delay_alu instid0(VALU_DEP_1) | instskip(NEXT) | instid1(VALU_DEP_4)
	v_cndmask_b32_e64 v7, -1, v4, s0
	v_cndmask_b32_e64 v6, -1, v11, s0
	v_mov_b32_e32 v4, 0
	s_delay_alu instid0(VALU_DEP_2)
	v_cmpx_lt_i64_e32 -1, v[6:7]
	s_cbranch_execz .LBB43_120
; %bb.109:
	v_mov_b32_e32 v4, 1.0
	s_mov_b32 s8, exec_lo
	v_cmpx_lt_i64_e32 0, v[6:7]
	s_cbranch_execz .LBB43_119
; %bb.110:
	s_mov_b32 s6, exec_lo
	v_cmpx_ne_u64_e32 1, v[6:7]
	s_xor_b32 s9, exec_lo, s6
	s_cbranch_execz .LBB43_116
; %bb.111:
	v_mov_b32_e32 v4, 0x7fc00000
	s_mov_b32 s10, exec_lo
	v_cmpx_gt_u64_e32 0x81, v[6:7]
	s_cbranch_execz .LBB43_115
; %bb.112:
	v_dual_add_f32 v9, v9, v9 :: v_dual_mov_b32 v10, 1.0
	v_lshlrev_b64 v[6:7], 1, v[6:7]
	s_mov_b64 s[6:7], 2
	s_mov_b32 s11, 0
	s_delay_alu instid0(VALU_DEP_2)
	v_mov_b32_e32 v4, v9
	.p2align	6
.LBB43_113:                             ; =>This Inner Loop Header: Depth=1
	s_clz_i32_u32 s0, s7
	s_delay_alu instid0(SALU_CYCLE_1) | instskip(NEXT) | instid1(SALU_CYCLE_1)
	s_min_u32 s0, s0, 32
	s_lshl_b64 s[14:15], s[6:7], s0
	s_sub_i32 s0, 32, s0
	s_min_u32 s13, s14, 1
	s_delay_alu instid0(SALU_CYCLE_1) | instskip(SKIP_3) | instid1(VALU_DEP_1)
	s_or_b32 s13, s15, s13
	s_add_u32 s6, s6, 2
	v_cvt_f32_u32_e32 v11, s13
	s_addc_u32 s7, s7, 0
	v_ldexp_f32 v11, v11, s0
	v_cmp_ge_u64_e64 s0, s[6:7], v[6:7]
	s_delay_alu instid0(VALU_DEP_2) | instskip(NEXT) | instid1(VALU_DEP_2)
	v_dual_mul_f32 v11, v10, v11 :: v_dual_mov_b32 v10, v4
	s_or_b32 s11, s0, s11
	s_delay_alu instid0(VALU_DEP_1)
	v_fma_f32 v4, v9, v4, -v11
	s_and_not1_b32 exec_lo, exec_lo, s11
	s_cbranch_execnz .LBB43_113
; %bb.114:
	s_or_b32 exec_lo, exec_lo, s11
.LBB43_115:
	s_delay_alu instid0(SALU_CYCLE_1)
	s_or_b32 exec_lo, exec_lo, s10
                                        ; implicit-def: $vgpr9
.LBB43_116:
	s_and_not1_saveexec_b32 s0, s9
; %bb.117:
	v_add_f32_e32 v4, v9, v9
; %bb.118:
	s_or_b32 exec_lo, exec_lo, s0
.LBB43_119:
	s_delay_alu instid0(SALU_CYCLE_1)
	s_or_b32 exec_lo, exec_lo, s8
.LBB43_120:
	s_delay_alu instid0(SALU_CYCLE_1) | instskip(NEXT) | instid1(SALU_CYCLE_1)
	s_or_b32 exec_lo, exec_lo, s3
	s_or_b32 exec_lo, exec_lo, s1
	s_and_saveexec_b32 s0, vcc_lo
	s_delay_alu instid0(SALU_CYCLE_1)
	s_xor_b32 s0, exec_lo, s0
	s_cbranch_execz .LBB43_103
.LBB43_121:
	v_mov_b32_e32 v6, 0
	v_mov_b32_e32 v0, v8
	s_delay_alu instid0(VALU_DEP_2) | instskip(NEXT) | instid1(VALU_DEP_1)
	v_lshlrev_b64 v[5:6], 2, v[5:6]
	v_add_co_u32 v5, vcc_lo, s4, v5
	s_delay_alu instid0(VALU_DEP_2) | instskip(SKIP_2) | instid1(SALU_CYCLE_1)
	v_add_co_ci_u32_e32 v6, vcc_lo, s5, v6, vcc_lo
	global_store_b32 v[5:6], v1, off
	s_or_b32 exec_lo, exec_lo, s0
	s_mov_b32 s0, exec_lo
	v_cmpx_gt_i32_e64 s12, v0
	s_cbranch_execz .LBB43_104
.LBB43_122:
	v_dual_mov_b32 v6, 0 :: v_dual_add_nc_u32 v5, s2, v0
	v_add_nc_u32_e32 v0, 0x100, v0
	s_delay_alu instid0(VALU_DEP_2) | instskip(NEXT) | instid1(VALU_DEP_1)
	v_lshlrev_b64 v[5:6], 2, v[5:6]
	v_add_co_u32 v5, vcc_lo, s4, v5
	s_delay_alu instid0(VALU_DEP_2) | instskip(SKIP_2) | instid1(SALU_CYCLE_1)
	v_add_co_ci_u32_e32 v6, vcc_lo, s5, v6, vcc_lo
	global_store_b32 v[5:6], v2, off
	s_or_b32 exec_lo, exec_lo, s0
	s_mov_b32 s0, exec_lo
	v_cmpx_gt_i32_e64 s12, v0
	s_cbranch_execz .LBB43_105
.LBB43_123:
	v_dual_mov_b32 v2, 0 :: v_dual_add_nc_u32 v1, s2, v0
	v_add_nc_u32_e32 v0, 0x100, v0
	s_delay_alu instid0(VALU_DEP_2) | instskip(NEXT) | instid1(VALU_DEP_1)
	v_lshlrev_b64 v[1:2], 2, v[1:2]
	v_add_co_u32 v1, vcc_lo, s4, v1
	s_delay_alu instid0(VALU_DEP_2) | instskip(SKIP_2) | instid1(SALU_CYCLE_1)
	v_add_co_ci_u32_e32 v2, vcc_lo, s5, v2, vcc_lo
	global_store_b32 v[1:2], v3, off
	s_or_b32 exec_lo, exec_lo, s0
	s_mov_b32 s0, exec_lo
	v_cmpx_gt_i32_e64 s12, v0
	s_cbranch_execnz .LBB43_106
	s_branch .LBB43_107
	.section	.rodata,"a",@progbits
	.p2align	6, 0x0
	.amdhsa_kernel _ZN2at6native29vectorized_elementwise_kernelILi2ENS0_13BinaryFunctorIfffZZZNS0_12_GLOBAL__N_132hermite_polynomial_h_kernel_cudaERNS_18TensorIteratorBaseEENKUlvE_clEvENKUlvE0_clEvEUlffE_EESt5arrayIPcLm3EEEEviT0_T1_
		.amdhsa_group_segment_fixed_size 0
		.amdhsa_private_segment_fixed_size 0
		.amdhsa_kernarg_size 32
		.amdhsa_user_sgpr_count 15
		.amdhsa_user_sgpr_dispatch_ptr 0
		.amdhsa_user_sgpr_queue_ptr 0
		.amdhsa_user_sgpr_kernarg_segment_ptr 1
		.amdhsa_user_sgpr_dispatch_id 0
		.amdhsa_user_sgpr_private_segment_size 0
		.amdhsa_wavefront_size32 1
		.amdhsa_uses_dynamic_stack 0
		.amdhsa_enable_private_segment 0
		.amdhsa_system_sgpr_workgroup_id_x 1
		.amdhsa_system_sgpr_workgroup_id_y 0
		.amdhsa_system_sgpr_workgroup_id_z 0
		.amdhsa_system_sgpr_workgroup_info 0
		.amdhsa_system_vgpr_workitem_id 0
		.amdhsa_next_free_vgpr 16
		.amdhsa_next_free_sgpr 20
		.amdhsa_reserve_vcc 1
		.amdhsa_float_round_mode_32 0
		.amdhsa_float_round_mode_16_64 0
		.amdhsa_float_denorm_mode_32 3
		.amdhsa_float_denorm_mode_16_64 3
		.amdhsa_dx10_clamp 1
		.amdhsa_ieee_mode 1
		.amdhsa_fp16_overflow 0
		.amdhsa_workgroup_processor_mode 1
		.amdhsa_memory_ordered 1
		.amdhsa_forward_progress 0
		.amdhsa_shared_vgpr_count 0
		.amdhsa_exception_fp_ieee_invalid_op 0
		.amdhsa_exception_fp_denorm_src 0
		.amdhsa_exception_fp_ieee_div_zero 0
		.amdhsa_exception_fp_ieee_overflow 0
		.amdhsa_exception_fp_ieee_underflow 0
		.amdhsa_exception_fp_ieee_inexact 0
		.amdhsa_exception_int_div_zero 0
	.end_amdhsa_kernel
	.section	.text._ZN2at6native29vectorized_elementwise_kernelILi2ENS0_13BinaryFunctorIfffZZZNS0_12_GLOBAL__N_132hermite_polynomial_h_kernel_cudaERNS_18TensorIteratorBaseEENKUlvE_clEvENKUlvE0_clEvEUlffE_EESt5arrayIPcLm3EEEEviT0_T1_,"axG",@progbits,_ZN2at6native29vectorized_elementwise_kernelILi2ENS0_13BinaryFunctorIfffZZZNS0_12_GLOBAL__N_132hermite_polynomial_h_kernel_cudaERNS_18TensorIteratorBaseEENKUlvE_clEvENKUlvE0_clEvEUlffE_EESt5arrayIPcLm3EEEEviT0_T1_,comdat
.Lfunc_end43:
	.size	_ZN2at6native29vectorized_elementwise_kernelILi2ENS0_13BinaryFunctorIfffZZZNS0_12_GLOBAL__N_132hermite_polynomial_h_kernel_cudaERNS_18TensorIteratorBaseEENKUlvE_clEvENKUlvE0_clEvEUlffE_EESt5arrayIPcLm3EEEEviT0_T1_, .Lfunc_end43-_ZN2at6native29vectorized_elementwise_kernelILi2ENS0_13BinaryFunctorIfffZZZNS0_12_GLOBAL__N_132hermite_polynomial_h_kernel_cudaERNS_18TensorIteratorBaseEENKUlvE_clEvENKUlvE0_clEvEUlffE_EESt5arrayIPcLm3EEEEviT0_T1_
                                        ; -- End function
	.section	.AMDGPU.csdata,"",@progbits
; Kernel info:
; codeLenInByte = 3944
; NumSgprs: 22
; NumVgprs: 16
; ScratchSize: 0
; MemoryBound: 0
; FloatMode: 240
; IeeeMode: 1
; LDSByteSize: 0 bytes/workgroup (compile time only)
; SGPRBlocks: 2
; VGPRBlocks: 1
; NumSGPRsForWavesPerEU: 22
; NumVGPRsForWavesPerEU: 16
; Occupancy: 16
; WaveLimiterHint : 1
; COMPUTE_PGM_RSRC2:SCRATCH_EN: 0
; COMPUTE_PGM_RSRC2:USER_SGPR: 15
; COMPUTE_PGM_RSRC2:TRAP_HANDLER: 0
; COMPUTE_PGM_RSRC2:TGID_X_EN: 1
; COMPUTE_PGM_RSRC2:TGID_Y_EN: 0
; COMPUTE_PGM_RSRC2:TGID_Z_EN: 0
; COMPUTE_PGM_RSRC2:TIDIG_COMP_CNT: 0
	.section	.text._ZN2at6native27unrolled_elementwise_kernelINS0_13BinaryFunctorIfffZZZNS0_12_GLOBAL__N_132hermite_polynomial_h_kernel_cudaERNS_18TensorIteratorBaseEENKUlvE_clEvENKUlvE0_clEvEUlffE_EESt5arrayIPcLm3EELi4E23TrivialOffsetCalculatorILi2EjESD_ILi1EjENS0_6memory15LoadWithoutCastENSG_16StoreWithoutCastEEEviT_T0_T2_T3_T4_T5_,"axG",@progbits,_ZN2at6native27unrolled_elementwise_kernelINS0_13BinaryFunctorIfffZZZNS0_12_GLOBAL__N_132hermite_polynomial_h_kernel_cudaERNS_18TensorIteratorBaseEENKUlvE_clEvENKUlvE0_clEvEUlffE_EESt5arrayIPcLm3EELi4E23TrivialOffsetCalculatorILi2EjESD_ILi1EjENS0_6memory15LoadWithoutCastENSG_16StoreWithoutCastEEEviT_T0_T2_T3_T4_T5_,comdat
	.globl	_ZN2at6native27unrolled_elementwise_kernelINS0_13BinaryFunctorIfffZZZNS0_12_GLOBAL__N_132hermite_polynomial_h_kernel_cudaERNS_18TensorIteratorBaseEENKUlvE_clEvENKUlvE0_clEvEUlffE_EESt5arrayIPcLm3EELi4E23TrivialOffsetCalculatorILi2EjESD_ILi1EjENS0_6memory15LoadWithoutCastENSG_16StoreWithoutCastEEEviT_T0_T2_T3_T4_T5_ ; -- Begin function _ZN2at6native27unrolled_elementwise_kernelINS0_13BinaryFunctorIfffZZZNS0_12_GLOBAL__N_132hermite_polynomial_h_kernel_cudaERNS_18TensorIteratorBaseEENKUlvE_clEvENKUlvE0_clEvEUlffE_EESt5arrayIPcLm3EELi4E23TrivialOffsetCalculatorILi2EjESD_ILi1EjENS0_6memory15LoadWithoutCastENSG_16StoreWithoutCastEEEviT_T0_T2_T3_T4_T5_
	.p2align	8
	.type	_ZN2at6native27unrolled_elementwise_kernelINS0_13BinaryFunctorIfffZZZNS0_12_GLOBAL__N_132hermite_polynomial_h_kernel_cudaERNS_18TensorIteratorBaseEENKUlvE_clEvENKUlvE0_clEvEUlffE_EESt5arrayIPcLm3EELi4E23TrivialOffsetCalculatorILi2EjESD_ILi1EjENS0_6memory15LoadWithoutCastENSG_16StoreWithoutCastEEEviT_T0_T2_T3_T4_T5_,@function
_ZN2at6native27unrolled_elementwise_kernelINS0_13BinaryFunctorIfffZZZNS0_12_GLOBAL__N_132hermite_polynomial_h_kernel_cudaERNS_18TensorIteratorBaseEENKUlvE_clEvENKUlvE0_clEvEUlffE_EESt5arrayIPcLm3EELi4E23TrivialOffsetCalculatorILi2EjESD_ILi1EjENS0_6memory15LoadWithoutCastENSG_16StoreWithoutCastEEEviT_T0_T2_T3_T4_T5_: ; @_ZN2at6native27unrolled_elementwise_kernelINS0_13BinaryFunctorIfffZZZNS0_12_GLOBAL__N_132hermite_polynomial_h_kernel_cudaERNS_18TensorIteratorBaseEENKUlvE_clEvENKUlvE0_clEvEUlffE_EESt5arrayIPcLm3EELi4E23TrivialOffsetCalculatorILi2EjESD_ILi1EjENS0_6memory15LoadWithoutCastENSG_16StoreWithoutCastEEEviT_T0_T2_T3_T4_T5_
; %bb.0:
	s_clause 0x2
	s_load_b32 s8, s[0:1], 0x0
	s_load_b128 s[4:7], s[0:1], 0x8
	s_load_b64 s[2:3], s[0:1], 0x18
	s_lshl_b32 s1, s15, 10
	v_dual_mov_b32 v13, 0 :: v_dual_mov_b32 v14, 0
	v_mov_b32_e32 v7, 0
	v_or_b32_e32 v5, s1, v0
	v_or_b32_e32 v8, 0x100, v0
	v_mov_b32_e32 v1, v0
	s_waitcnt lgkmcnt(0)
	s_sub_i32 s8, s8, s1
	s_delay_alu instid0(SALU_CYCLE_1)
	v_cmp_gt_i32_e32 vcc_lo, s8, v0
	s_and_saveexec_b32 s9, vcc_lo
	s_cbranch_execz .LBB44_2
; %bb.1:
	v_mov_b32_e32 v6, 0
	s_delay_alu instid0(VALU_DEP_1) | instskip(NEXT) | instid1(VALU_DEP_1)
	v_lshlrev_b64 v[1:2], 2, v[5:6]
	v_add_co_u32 v3, s0, s6, v1
	s_delay_alu instid0(VALU_DEP_1) | instskip(SKIP_1) | instid1(VALU_DEP_1)
	v_add_co_ci_u32_e64 v4, s0, s7, v2, s0
	v_add_co_u32 v1, s0, s2, v1
	v_add_co_ci_u32_e64 v2, s0, s3, v2, s0
	global_load_b32 v7, v[3:4], off
	global_load_b32 v14, v[1:2], off
	v_or_b32_e32 v1, 0x100, v0
.LBB44_2:
	s_or_b32 exec_lo, exec_lo, s9
	v_mov_b32_e32 v6, 0
	s_mov_b32 s9, exec_lo
	s_delay_alu instid0(VALU_DEP_2)
	v_cmpx_gt_i32_e64 s8, v1
	s_cbranch_execz .LBB44_4
; %bb.3:
	v_dual_mov_b32 v3, 0 :: v_dual_add_nc_u32 v2, s1, v1
	v_add_nc_u32_e32 v1, 0x100, v1
	s_delay_alu instid0(VALU_DEP_2) | instskip(NEXT) | instid1(VALU_DEP_1)
	v_lshlrev_b64 v[2:3], 2, v[2:3]
	v_add_co_u32 v9, s0, s6, v2
	s_delay_alu instid0(VALU_DEP_1) | instskip(SKIP_1) | instid1(VALU_DEP_1)
	v_add_co_ci_u32_e64 v10, s0, s7, v3, s0
	v_add_co_u32 v2, s0, s2, v2
	v_add_co_ci_u32_e64 v3, s0, s3, v3, s0
	global_load_b32 v13, v[9:10], off
	global_load_b32 v6, v[2:3], off
.LBB44_4:
	s_or_b32 exec_lo, exec_lo, s9
	v_dual_mov_b32 v9, 0 :: v_dual_mov_b32 v12, 0
	v_mov_b32_e32 v11, 0
	s_mov_b32 s9, exec_lo
	v_cmpx_gt_i32_e64 s8, v1
	s_cbranch_execz .LBB44_6
; %bb.5:
	v_dual_mov_b32 v3, 0 :: v_dual_add_nc_u32 v2, s1, v1
	v_add_nc_u32_e32 v1, 0x100, v1
	s_delay_alu instid0(VALU_DEP_2) | instskip(NEXT) | instid1(VALU_DEP_1)
	v_lshlrev_b64 v[2:3], 2, v[2:3]
	v_add_co_u32 v10, s0, s6, v2
	s_delay_alu instid0(VALU_DEP_1) | instskip(SKIP_1) | instid1(VALU_DEP_1)
	v_add_co_ci_u32_e64 v11, s0, s7, v3, s0
	v_add_co_u32 v2, s0, s2, v2
	v_add_co_ci_u32_e64 v3, s0, s3, v3, s0
	global_load_b32 v11, v[10:11], off
	global_load_b32 v12, v[2:3], off
.LBB44_6:
	s_or_b32 exec_lo, exec_lo, s9
	v_mov_b32_e32 v10, 0
	s_mov_b32 s9, exec_lo
	v_cmpx_gt_i32_e64 s8, v1
	s_cbranch_execnz .LBB44_9
; %bb.7:
	s_or_b32 exec_lo, exec_lo, s9
                                        ; implicit-def: $vgpr1_vgpr2_vgpr3_vgpr4
	s_and_saveexec_b32 s6, vcc_lo
	s_cbranch_execnz .LBB44_10
.LBB44_8:
	s_or_b32 exec_lo, exec_lo, s6
	s_delay_alu instid0(SALU_CYCLE_1)
	s_mov_b32 s6, exec_lo
	v_cmpx_gt_i32_e64 s8, v8
	s_cbranch_execnz .LBB44_23
	s_branch .LBB44_36
.LBB44_9:
	v_dual_mov_b32 v2, 0 :: v_dual_add_nc_u32 v1, s1, v1
	s_delay_alu instid0(VALU_DEP_1) | instskip(NEXT) | instid1(VALU_DEP_1)
	v_lshlrev_b64 v[1:2], 2, v[1:2]
	v_add_co_u32 v3, s0, s6, v1
	s_delay_alu instid0(VALU_DEP_1) | instskip(SKIP_1) | instid1(VALU_DEP_1)
	v_add_co_ci_u32_e64 v4, s0, s7, v2, s0
	v_add_co_u32 v1, s0, s2, v1
	v_add_co_ci_u32_e64 v2, s0, s3, v2, s0
	global_load_b32 v9, v[3:4], off
	global_load_b32 v10, v[1:2], off
	s_or_b32 exec_lo, exec_lo, s9
                                        ; implicit-def: $vgpr1_vgpr2_vgpr3_vgpr4
	s_and_saveexec_b32 s6, vcc_lo
	s_cbranch_execz .LBB44_8
.LBB44_10:
	s_waitcnt vmcnt(0)
	v_trunc_f32_e32 v1, v14
	s_mov_b32 s7, exec_lo
	s_delay_alu instid0(VALU_DEP_1) | instskip(NEXT) | instid1(VALU_DEP_1)
	v_mul_f32_e64 v2, 0x2f800000, |v1|
	v_floor_f32_e32 v2, v2
	s_delay_alu instid0(VALU_DEP_1) | instskip(SKIP_2) | instid1(VALU_DEP_3)
	v_fma_f32 v3, 0xcf800000, v2, |v1|
	v_ashrrev_i32_e32 v1, 31, v1
	v_cvt_u32_f32_e32 v2, v2
	v_cvt_u32_f32_e32 v3, v3
	s_delay_alu instid0(VALU_DEP_2) | instskip(NEXT) | instid1(VALU_DEP_2)
	v_xor_b32_e32 v2, v2, v1
	v_xor_b32_e32 v3, v3, v1
	s_delay_alu instid0(VALU_DEP_1) | instskip(NEXT) | instid1(VALU_DEP_1)
	v_sub_co_u32 v4, s0, v3, v1
	v_sub_co_ci_u32_e64 v1, s0, v2, v1, s0
	v_cmp_class_f32_e64 s0, v14, 0x1f8
	s_delay_alu instid0(VALU_DEP_1) | instskip(NEXT) | instid1(VALU_DEP_4)
	v_cndmask_b32_e64 v3, -1, v1, s0
	v_cndmask_b32_e64 v2, -1, v4, s0
	v_mov_b32_e32 v1, 0
	s_delay_alu instid0(VALU_DEP_2)
	v_cmpx_lt_i64_e32 -1, v[2:3]
	s_cbranch_execz .LBB44_22
; %bb.11:
	v_mov_b32_e32 v1, 1.0
	s_mov_b32 s9, exec_lo
	v_cmpx_lt_i64_e32 0, v[2:3]
	s_cbranch_execz .LBB44_21
; %bb.12:
                                        ; implicit-def: $vgpr1
	s_mov_b32 s2, exec_lo
	v_cmpx_ne_u64_e32 1, v[2:3]
	s_xor_b32 s10, exec_lo, s2
	s_cbranch_execz .LBB44_18
; %bb.13:
	v_mov_b32_e32 v1, 0x7fc00000
	s_mov_b32 s11, exec_lo
	v_cmpx_gt_u64_e32 0x81, v[2:3]
	s_cbranch_execz .LBB44_17
; %bb.14:
	v_dual_add_f32 v4, v7, v7 :: v_dual_mov_b32 v7, 1.0
	v_lshlrev_b64 v[2:3], 1, v[2:3]
	s_mov_b64 s[2:3], 2
	s_mov_b32 s12, 0
	s_delay_alu instid0(VALU_DEP_2)
	v_mov_b32_e32 v1, v4
	.p2align	6
.LBB44_15:                              ; =>This Inner Loop Header: Depth=1
	s_clz_i32_u32 s0, s3
	s_delay_alu instid0(SALU_CYCLE_1) | instskip(NEXT) | instid1(SALU_CYCLE_1)
	s_min_u32 s0, s0, 32
	s_lshl_b64 s[14:15], s[2:3], s0
	s_sub_i32 s0, 32, s0
	s_min_u32 s13, s14, 1
	s_delay_alu instid0(SALU_CYCLE_1) | instskip(SKIP_3) | instid1(VALU_DEP_1)
	s_or_b32 s13, s15, s13
	s_add_u32 s2, s2, 2
	v_cvt_f32_u32_e32 v14, s13
	s_addc_u32 s3, s3, 0
	v_ldexp_f32 v14, v14, s0
	v_cmp_ge_u64_e64 s0, s[2:3], v[2:3]
	s_delay_alu instid0(VALU_DEP_2) | instskip(NEXT) | instid1(VALU_DEP_2)
	v_dual_mul_f32 v14, v7, v14 :: v_dual_mov_b32 v7, v1
	s_or_b32 s12, s0, s12
	s_delay_alu instid0(VALU_DEP_1)
	v_fma_f32 v1, v4, v1, -v14
	s_and_not1_b32 exec_lo, exec_lo, s12
	s_cbranch_execnz .LBB44_15
; %bb.16:
	s_or_b32 exec_lo, exec_lo, s12
.LBB44_17:
	s_delay_alu instid0(SALU_CYCLE_1)
	s_or_b32 exec_lo, exec_lo, s11
                                        ; implicit-def: $vgpr7
.LBB44_18:
	s_and_not1_saveexec_b32 s0, s10
; %bb.19:
	v_add_f32_e32 v1, v7, v7
; %bb.20:
	s_or_b32 exec_lo, exec_lo, s0
.LBB44_21:
	s_delay_alu instid0(SALU_CYCLE_1)
	s_or_b32 exec_lo, exec_lo, s9
.LBB44_22:
	s_delay_alu instid0(SALU_CYCLE_1) | instskip(NEXT) | instid1(SALU_CYCLE_1)
	s_or_b32 exec_lo, exec_lo, s7
	s_or_b32 exec_lo, exec_lo, s6
	s_delay_alu instid0(SALU_CYCLE_1)
	s_mov_b32 s6, exec_lo
	v_cmpx_gt_i32_e64 s8, v8
	s_cbranch_execz .LBB44_36
.LBB44_23:
	s_waitcnt vmcnt(0)
	v_trunc_f32_e32 v2, v6
	s_mov_b32 s7, exec_lo
	s_delay_alu instid0(VALU_DEP_1) | instskip(NEXT) | instid1(VALU_DEP_1)
	v_mul_f32_e64 v7, 0x2f800000, |v2|
	v_floor_f32_e32 v7, v7
	s_delay_alu instid0(VALU_DEP_1) | instskip(SKIP_2) | instid1(VALU_DEP_3)
	v_fma_f32 v14, 0xcf800000, v7, |v2|
	v_ashrrev_i32_e32 v2, 31, v2
	v_cvt_u32_f32_e32 v7, v7
	v_cvt_u32_f32_e32 v14, v14
	s_delay_alu instid0(VALU_DEP_2) | instskip(NEXT) | instid1(VALU_DEP_2)
	v_xor_b32_e32 v7, v7, v2
	v_xor_b32_e32 v14, v14, v2
	s_delay_alu instid0(VALU_DEP_1) | instskip(NEXT) | instid1(VALU_DEP_1)
	v_sub_co_u32 v14, s0, v14, v2
	v_sub_co_ci_u32_e64 v2, s0, v7, v2, s0
	v_cmp_class_f32_e64 s0, v6, 0x1f8
	s_delay_alu instid0(VALU_DEP_1) | instskip(NEXT) | instid1(VALU_DEP_4)
	v_cndmask_b32_e64 v7, -1, v2, s0
	v_cndmask_b32_e64 v6, -1, v14, s0
	v_mov_b32_e32 v2, 0
	s_delay_alu instid0(VALU_DEP_2)
	v_cmpx_lt_i64_e32 -1, v[6:7]
	s_cbranch_execz .LBB44_35
; %bb.24:
	v_mov_b32_e32 v2, 1.0
	s_mov_b32 s9, exec_lo
	v_cmpx_lt_i64_e32 0, v[6:7]
	s_cbranch_execz .LBB44_34
; %bb.25:
	s_mov_b32 s2, exec_lo
	v_cmpx_ne_u64_e32 1, v[6:7]
	s_xor_b32 s10, exec_lo, s2
	s_cbranch_execz .LBB44_31
; %bb.26:
	v_mov_b32_e32 v2, 0x7fc00000
	s_mov_b32 s11, exec_lo
	v_cmpx_gt_u64_e32 0x81, v[6:7]
	s_cbranch_execz .LBB44_30
; %bb.27:
	v_dual_add_f32 v13, v13, v13 :: v_dual_mov_b32 v14, 1.0
	v_lshlrev_b64 v[6:7], 1, v[6:7]
	s_mov_b64 s[2:3], 2
	s_mov_b32 s12, 0
	s_delay_alu instid0(VALU_DEP_2)
	v_mov_b32_e32 v2, v13
	.p2align	6
.LBB44_28:                              ; =>This Inner Loop Header: Depth=1
	s_clz_i32_u32 s0, s3
	s_delay_alu instid0(SALU_CYCLE_1) | instskip(NEXT) | instid1(SALU_CYCLE_1)
	s_min_u32 s0, s0, 32
	s_lshl_b64 s[14:15], s[2:3], s0
	s_sub_i32 s0, 32, s0
	s_min_u32 s13, s14, 1
	s_delay_alu instid0(SALU_CYCLE_1) | instskip(SKIP_3) | instid1(VALU_DEP_1)
	s_or_b32 s13, s15, s13
	s_add_u32 s2, s2, 2
	v_cvt_f32_u32_e32 v15, s13
	s_addc_u32 s3, s3, 0
	v_ldexp_f32 v15, v15, s0
	v_cmp_ge_u64_e64 s0, s[2:3], v[6:7]
	s_delay_alu instid0(VALU_DEP_2) | instskip(SKIP_1) | instid1(VALU_DEP_3)
	v_mul_f32_e32 v15, v14, v15
	v_mov_b32_e32 v14, v2
	s_or_b32 s12, s0, s12
	s_delay_alu instid0(VALU_DEP_2)
	v_fma_f32 v2, v13, v2, -v15
	s_and_not1_b32 exec_lo, exec_lo, s12
	s_cbranch_execnz .LBB44_28
; %bb.29:
	s_or_b32 exec_lo, exec_lo, s12
.LBB44_30:
	s_delay_alu instid0(SALU_CYCLE_1)
	s_or_b32 exec_lo, exec_lo, s11
                                        ; implicit-def: $vgpr13
.LBB44_31:
	s_and_not1_saveexec_b32 s0, s10
; %bb.32:
	v_add_f32_e32 v2, v13, v13
; %bb.33:
	s_or_b32 exec_lo, exec_lo, s0
.LBB44_34:
	s_delay_alu instid0(SALU_CYCLE_1)
	s_or_b32 exec_lo, exec_lo, s9
.LBB44_35:
	s_delay_alu instid0(SALU_CYCLE_1)
	s_or_b32 exec_lo, exec_lo, s7
.LBB44_36:
	s_delay_alu instid0(SALU_CYCLE_1) | instskip(SKIP_3) | instid1(VALU_DEP_1)
	s_or_b32 exec_lo, exec_lo, s6
	s_waitcnt vmcnt(0)
	v_or_b32_e32 v6, 0x200, v0
	s_mov_b32 s6, exec_lo
	v_cmpx_gt_i32_e64 s8, v6
	s_cbranch_execz .LBB44_50
; %bb.37:
	v_trunc_f32_e32 v3, v12
	s_mov_b32 s7, exec_lo
	s_delay_alu instid0(VALU_DEP_1) | instskip(NEXT) | instid1(VALU_DEP_1)
	v_mul_f32_e64 v6, 0x2f800000, |v3|
	v_floor_f32_e32 v6, v6
	s_delay_alu instid0(VALU_DEP_1) | instskip(SKIP_2) | instid1(VALU_DEP_3)
	v_fma_f32 v7, 0xcf800000, v6, |v3|
	v_ashrrev_i32_e32 v3, 31, v3
	v_cvt_u32_f32_e32 v6, v6
	v_cvt_u32_f32_e32 v7, v7
	s_delay_alu instid0(VALU_DEP_2) | instskip(NEXT) | instid1(VALU_DEP_2)
	v_xor_b32_e32 v6, v6, v3
	v_xor_b32_e32 v7, v7, v3
	s_delay_alu instid0(VALU_DEP_1) | instskip(NEXT) | instid1(VALU_DEP_1)
	v_sub_co_u32 v13, s0, v7, v3
	v_sub_co_ci_u32_e64 v3, s0, v6, v3, s0
	v_cmp_class_f32_e64 s0, v12, 0x1f8
	s_delay_alu instid0(VALU_DEP_1) | instskip(NEXT) | instid1(VALU_DEP_4)
	v_cndmask_b32_e64 v7, -1, v3, s0
	v_cndmask_b32_e64 v6, -1, v13, s0
	v_mov_b32_e32 v3, 0
	s_delay_alu instid0(VALU_DEP_2)
	v_cmpx_lt_i64_e32 -1, v[6:7]
	s_cbranch_execz .LBB44_49
; %bb.38:
	v_mov_b32_e32 v3, 1.0
	s_mov_b32 s9, exec_lo
	v_cmpx_lt_i64_e32 0, v[6:7]
	s_cbranch_execz .LBB44_48
; %bb.39:
	s_mov_b32 s2, exec_lo
	v_cmpx_ne_u64_e32 1, v[6:7]
	s_xor_b32 s10, exec_lo, s2
	s_cbranch_execz .LBB44_45
; %bb.40:
	v_mov_b32_e32 v3, 0x7fc00000
	s_mov_b32 s11, exec_lo
	v_cmpx_gt_u64_e32 0x81, v[6:7]
	s_cbranch_execz .LBB44_44
; %bb.41:
	v_dual_add_f32 v11, v11, v11 :: v_dual_mov_b32 v12, 1.0
	v_lshlrev_b64 v[6:7], 1, v[6:7]
	s_mov_b64 s[2:3], 2
	s_mov_b32 s12, 0
	s_delay_alu instid0(VALU_DEP_2)
	v_mov_b32_e32 v3, v11
	.p2align	6
.LBB44_42:                              ; =>This Inner Loop Header: Depth=1
	s_clz_i32_u32 s0, s3
	s_delay_alu instid0(SALU_CYCLE_1) | instskip(NEXT) | instid1(SALU_CYCLE_1)
	s_min_u32 s0, s0, 32
	s_lshl_b64 s[14:15], s[2:3], s0
	s_sub_i32 s0, 32, s0
	s_min_u32 s13, s14, 1
	s_delay_alu instid0(SALU_CYCLE_1) | instskip(SKIP_3) | instid1(VALU_DEP_1)
	s_or_b32 s13, s15, s13
	s_add_u32 s2, s2, 2
	v_cvt_f32_u32_e32 v13, s13
	s_addc_u32 s3, s3, 0
	v_ldexp_f32 v13, v13, s0
	v_cmp_ge_u64_e64 s0, s[2:3], v[6:7]
	s_delay_alu instid0(VALU_DEP_2) | instskip(NEXT) | instid1(VALU_DEP_2)
	v_dual_mul_f32 v13, v12, v13 :: v_dual_mov_b32 v12, v3
	s_or_b32 s12, s0, s12
	s_delay_alu instid0(VALU_DEP_1)
	v_fma_f32 v3, v11, v3, -v13
	s_and_not1_b32 exec_lo, exec_lo, s12
	s_cbranch_execnz .LBB44_42
; %bb.43:
	s_or_b32 exec_lo, exec_lo, s12
.LBB44_44:
	s_delay_alu instid0(SALU_CYCLE_1)
	s_or_b32 exec_lo, exec_lo, s11
                                        ; implicit-def: $vgpr11
.LBB44_45:
	s_and_not1_saveexec_b32 s0, s10
; %bb.46:
	v_add_f32_e32 v3, v11, v11
; %bb.47:
	s_or_b32 exec_lo, exec_lo, s0
.LBB44_48:
	s_delay_alu instid0(SALU_CYCLE_1)
	s_or_b32 exec_lo, exec_lo, s9
.LBB44_49:
	s_delay_alu instid0(SALU_CYCLE_1)
	s_or_b32 exec_lo, exec_lo, s7
.LBB44_50:
	s_delay_alu instid0(SALU_CYCLE_1) | instskip(SKIP_2) | instid1(VALU_DEP_1)
	s_or_b32 exec_lo, exec_lo, s6
	v_or_b32_e32 v6, 0x300, v0
	s_mov_b32 s6, exec_lo
	v_cmpx_gt_i32_e64 s8, v6
	s_cbranch_execnz .LBB44_56
; %bb.51:
	s_or_b32 exec_lo, exec_lo, s6
	s_and_saveexec_b32 s0, vcc_lo
	s_delay_alu instid0(SALU_CYCLE_1)
	s_xor_b32 s0, exec_lo, s0
	s_cbranch_execnz .LBB44_69
.LBB44_52:
	s_or_b32 exec_lo, exec_lo, s0
	s_delay_alu instid0(SALU_CYCLE_1)
	s_mov_b32 s0, exec_lo
	v_cmpx_gt_i32_e64 s8, v0
	s_cbranch_execnz .LBB44_70
.LBB44_53:
	s_or_b32 exec_lo, exec_lo, s0
	s_delay_alu instid0(SALU_CYCLE_1)
	s_mov_b32 s0, exec_lo
	v_cmpx_gt_i32_e64 s8, v0
	s_cbranch_execnz .LBB44_71
.LBB44_54:
	s_or_b32 exec_lo, exec_lo, s0
	s_delay_alu instid0(SALU_CYCLE_1)
	s_mov_b32 s0, exec_lo
	v_cmpx_gt_i32_e64 s8, v0
	s_cbranch_execnz .LBB44_72
.LBB44_55:
	s_nop 0
	s_sendmsg sendmsg(MSG_DEALLOC_VGPRS)
	s_endpgm
.LBB44_56:
	v_trunc_f32_e32 v4, v10
	s_mov_b32 s7, exec_lo
	s_delay_alu instid0(VALU_DEP_1) | instskip(NEXT) | instid1(VALU_DEP_1)
	v_mul_f32_e64 v6, 0x2f800000, |v4|
	v_floor_f32_e32 v6, v6
	s_delay_alu instid0(VALU_DEP_1) | instskip(SKIP_2) | instid1(VALU_DEP_3)
	v_fma_f32 v7, 0xcf800000, v6, |v4|
	v_ashrrev_i32_e32 v4, 31, v4
	v_cvt_u32_f32_e32 v6, v6
	v_cvt_u32_f32_e32 v7, v7
	s_delay_alu instid0(VALU_DEP_2) | instskip(NEXT) | instid1(VALU_DEP_2)
	v_xor_b32_e32 v6, v6, v4
	v_xor_b32_e32 v7, v7, v4
	s_delay_alu instid0(VALU_DEP_1) | instskip(NEXT) | instid1(VALU_DEP_1)
	v_sub_co_u32 v11, s0, v7, v4
	v_sub_co_ci_u32_e64 v4, s0, v6, v4, s0
	v_cmp_class_f32_e64 s0, v10, 0x1f8
	s_delay_alu instid0(VALU_DEP_1) | instskip(NEXT) | instid1(VALU_DEP_4)
	v_cndmask_b32_e64 v7, -1, v4, s0
	v_cndmask_b32_e64 v6, -1, v11, s0
	v_mov_b32_e32 v4, 0
	s_delay_alu instid0(VALU_DEP_2)
	v_cmpx_lt_i64_e32 -1, v[6:7]
	s_cbranch_execz .LBB44_68
; %bb.57:
	v_mov_b32_e32 v4, 1.0
	s_mov_b32 s9, exec_lo
	v_cmpx_lt_i64_e32 0, v[6:7]
	s_cbranch_execz .LBB44_67
; %bb.58:
	s_mov_b32 s2, exec_lo
	v_cmpx_ne_u64_e32 1, v[6:7]
	s_xor_b32 s10, exec_lo, s2
	s_cbranch_execz .LBB44_64
; %bb.59:
	v_mov_b32_e32 v4, 0x7fc00000
	s_mov_b32 s11, exec_lo
	v_cmpx_gt_u64_e32 0x81, v[6:7]
	s_cbranch_execz .LBB44_63
; %bb.60:
	v_dual_add_f32 v9, v9, v9 :: v_dual_mov_b32 v10, 1.0
	v_lshlrev_b64 v[6:7], 1, v[6:7]
	s_mov_b64 s[2:3], 2
	s_mov_b32 s12, 0
	s_delay_alu instid0(VALU_DEP_2)
	v_mov_b32_e32 v4, v9
	.p2align	6
.LBB44_61:                              ; =>This Inner Loop Header: Depth=1
	s_clz_i32_u32 s0, s3
	s_delay_alu instid0(SALU_CYCLE_1) | instskip(NEXT) | instid1(SALU_CYCLE_1)
	s_min_u32 s0, s0, 32
	s_lshl_b64 s[14:15], s[2:3], s0
	s_sub_i32 s0, 32, s0
	s_min_u32 s13, s14, 1
	s_delay_alu instid0(SALU_CYCLE_1) | instskip(SKIP_3) | instid1(VALU_DEP_1)
	s_or_b32 s13, s15, s13
	s_add_u32 s2, s2, 2
	v_cvt_f32_u32_e32 v11, s13
	s_addc_u32 s3, s3, 0
	v_ldexp_f32 v11, v11, s0
	v_cmp_ge_u64_e64 s0, s[2:3], v[6:7]
	s_delay_alu instid0(VALU_DEP_2) | instskip(NEXT) | instid1(VALU_DEP_2)
	v_dual_mul_f32 v11, v10, v11 :: v_dual_mov_b32 v10, v4
	s_or_b32 s12, s0, s12
	s_delay_alu instid0(VALU_DEP_1)
	v_fma_f32 v4, v9, v4, -v11
	s_and_not1_b32 exec_lo, exec_lo, s12
	s_cbranch_execnz .LBB44_61
; %bb.62:
	s_or_b32 exec_lo, exec_lo, s12
.LBB44_63:
	s_delay_alu instid0(SALU_CYCLE_1)
	s_or_b32 exec_lo, exec_lo, s11
                                        ; implicit-def: $vgpr9
.LBB44_64:
	s_and_not1_saveexec_b32 s0, s10
; %bb.65:
	v_add_f32_e32 v4, v9, v9
; %bb.66:
	s_or_b32 exec_lo, exec_lo, s0
.LBB44_67:
	s_delay_alu instid0(SALU_CYCLE_1)
	s_or_b32 exec_lo, exec_lo, s9
.LBB44_68:
	s_delay_alu instid0(SALU_CYCLE_1) | instskip(NEXT) | instid1(SALU_CYCLE_1)
	s_or_b32 exec_lo, exec_lo, s7
	s_or_b32 exec_lo, exec_lo, s6
	s_and_saveexec_b32 s0, vcc_lo
	s_delay_alu instid0(SALU_CYCLE_1)
	s_xor_b32 s0, exec_lo, s0
	s_cbranch_execz .LBB44_52
.LBB44_69:
	v_mov_b32_e32 v6, 0
	v_mov_b32_e32 v0, v8
	s_delay_alu instid0(VALU_DEP_2) | instskip(NEXT) | instid1(VALU_DEP_1)
	v_lshlrev_b64 v[5:6], 2, v[5:6]
	v_add_co_u32 v5, vcc_lo, s4, v5
	s_delay_alu instid0(VALU_DEP_2) | instskip(SKIP_2) | instid1(SALU_CYCLE_1)
	v_add_co_ci_u32_e32 v6, vcc_lo, s5, v6, vcc_lo
	global_store_b32 v[5:6], v1, off
	s_or_b32 exec_lo, exec_lo, s0
	s_mov_b32 s0, exec_lo
	v_cmpx_gt_i32_e64 s8, v0
	s_cbranch_execz .LBB44_53
.LBB44_70:
	v_dual_mov_b32 v6, 0 :: v_dual_add_nc_u32 v5, s1, v0
	v_add_nc_u32_e32 v0, 0x100, v0
	s_delay_alu instid0(VALU_DEP_2) | instskip(NEXT) | instid1(VALU_DEP_1)
	v_lshlrev_b64 v[5:6], 2, v[5:6]
	v_add_co_u32 v5, vcc_lo, s4, v5
	s_delay_alu instid0(VALU_DEP_2) | instskip(SKIP_2) | instid1(SALU_CYCLE_1)
	v_add_co_ci_u32_e32 v6, vcc_lo, s5, v6, vcc_lo
	global_store_b32 v[5:6], v2, off
	s_or_b32 exec_lo, exec_lo, s0
	s_mov_b32 s0, exec_lo
	v_cmpx_gt_i32_e64 s8, v0
	s_cbranch_execz .LBB44_54
.LBB44_71:
	v_dual_mov_b32 v2, 0 :: v_dual_add_nc_u32 v1, s1, v0
	v_add_nc_u32_e32 v0, 0x100, v0
	s_delay_alu instid0(VALU_DEP_2) | instskip(NEXT) | instid1(VALU_DEP_1)
	v_lshlrev_b64 v[1:2], 2, v[1:2]
	v_add_co_u32 v1, vcc_lo, s4, v1
	s_delay_alu instid0(VALU_DEP_2) | instskip(SKIP_2) | instid1(SALU_CYCLE_1)
	v_add_co_ci_u32_e32 v2, vcc_lo, s5, v2, vcc_lo
	global_store_b32 v[1:2], v3, off
	s_or_b32 exec_lo, exec_lo, s0
	s_mov_b32 s0, exec_lo
	v_cmpx_gt_i32_e64 s8, v0
	s_cbranch_execz .LBB44_55
.LBB44_72:
	v_dual_mov_b32 v1, 0 :: v_dual_add_nc_u32 v0, s1, v0
	s_delay_alu instid0(VALU_DEP_1) | instskip(NEXT) | instid1(VALU_DEP_1)
	v_lshlrev_b64 v[0:1], 2, v[0:1]
	v_add_co_u32 v0, vcc_lo, s4, v0
	s_delay_alu instid0(VALU_DEP_2)
	v_add_co_ci_u32_e32 v1, vcc_lo, s5, v1, vcc_lo
	global_store_b32 v[0:1], v4, off
	s_nop 0
	s_sendmsg sendmsg(MSG_DEALLOC_VGPRS)
	s_endpgm
	.section	.rodata,"a",@progbits
	.p2align	6, 0x0
	.amdhsa_kernel _ZN2at6native27unrolled_elementwise_kernelINS0_13BinaryFunctorIfffZZZNS0_12_GLOBAL__N_132hermite_polynomial_h_kernel_cudaERNS_18TensorIteratorBaseEENKUlvE_clEvENKUlvE0_clEvEUlffE_EESt5arrayIPcLm3EELi4E23TrivialOffsetCalculatorILi2EjESD_ILi1EjENS0_6memory15LoadWithoutCastENSG_16StoreWithoutCastEEEviT_T0_T2_T3_T4_T5_
		.amdhsa_group_segment_fixed_size 0
		.amdhsa_private_segment_fixed_size 0
		.amdhsa_kernarg_size 36
		.amdhsa_user_sgpr_count 15
		.amdhsa_user_sgpr_dispatch_ptr 0
		.amdhsa_user_sgpr_queue_ptr 0
		.amdhsa_user_sgpr_kernarg_segment_ptr 1
		.amdhsa_user_sgpr_dispatch_id 0
		.amdhsa_user_sgpr_private_segment_size 0
		.amdhsa_wavefront_size32 1
		.amdhsa_uses_dynamic_stack 0
		.amdhsa_enable_private_segment 0
		.amdhsa_system_sgpr_workgroup_id_x 1
		.amdhsa_system_sgpr_workgroup_id_y 0
		.amdhsa_system_sgpr_workgroup_id_z 0
		.amdhsa_system_sgpr_workgroup_info 0
		.amdhsa_system_vgpr_workitem_id 0
		.amdhsa_next_free_vgpr 16
		.amdhsa_next_free_sgpr 16
		.amdhsa_reserve_vcc 1
		.amdhsa_float_round_mode_32 0
		.amdhsa_float_round_mode_16_64 0
		.amdhsa_float_denorm_mode_32 3
		.amdhsa_float_denorm_mode_16_64 3
		.amdhsa_dx10_clamp 1
		.amdhsa_ieee_mode 1
		.amdhsa_fp16_overflow 0
		.amdhsa_workgroup_processor_mode 1
		.amdhsa_memory_ordered 1
		.amdhsa_forward_progress 0
		.amdhsa_shared_vgpr_count 0
		.amdhsa_exception_fp_ieee_invalid_op 0
		.amdhsa_exception_fp_denorm_src 0
		.amdhsa_exception_fp_ieee_div_zero 0
		.amdhsa_exception_fp_ieee_overflow 0
		.amdhsa_exception_fp_ieee_underflow 0
		.amdhsa_exception_fp_ieee_inexact 0
		.amdhsa_exception_int_div_zero 0
	.end_amdhsa_kernel
	.section	.text._ZN2at6native27unrolled_elementwise_kernelINS0_13BinaryFunctorIfffZZZNS0_12_GLOBAL__N_132hermite_polynomial_h_kernel_cudaERNS_18TensorIteratorBaseEENKUlvE_clEvENKUlvE0_clEvEUlffE_EESt5arrayIPcLm3EELi4E23TrivialOffsetCalculatorILi2EjESD_ILi1EjENS0_6memory15LoadWithoutCastENSG_16StoreWithoutCastEEEviT_T0_T2_T3_T4_T5_,"axG",@progbits,_ZN2at6native27unrolled_elementwise_kernelINS0_13BinaryFunctorIfffZZZNS0_12_GLOBAL__N_132hermite_polynomial_h_kernel_cudaERNS_18TensorIteratorBaseEENKUlvE_clEvENKUlvE0_clEvEUlffE_EESt5arrayIPcLm3EELi4E23TrivialOffsetCalculatorILi2EjESD_ILi1EjENS0_6memory15LoadWithoutCastENSG_16StoreWithoutCastEEEviT_T0_T2_T3_T4_T5_,comdat
.Lfunc_end44:
	.size	_ZN2at6native27unrolled_elementwise_kernelINS0_13BinaryFunctorIfffZZZNS0_12_GLOBAL__N_132hermite_polynomial_h_kernel_cudaERNS_18TensorIteratorBaseEENKUlvE_clEvENKUlvE0_clEvEUlffE_EESt5arrayIPcLm3EELi4E23TrivialOffsetCalculatorILi2EjESD_ILi1EjENS0_6memory15LoadWithoutCastENSG_16StoreWithoutCastEEEviT_T0_T2_T3_T4_T5_, .Lfunc_end44-_ZN2at6native27unrolled_elementwise_kernelINS0_13BinaryFunctorIfffZZZNS0_12_GLOBAL__N_132hermite_polynomial_h_kernel_cudaERNS_18TensorIteratorBaseEENKUlvE_clEvENKUlvE0_clEvEUlffE_EESt5arrayIPcLm3EELi4E23TrivialOffsetCalculatorILi2EjESD_ILi1EjENS0_6memory15LoadWithoutCastENSG_16StoreWithoutCastEEEviT_T0_T2_T3_T4_T5_
                                        ; -- End function
	.section	.AMDGPU.csdata,"",@progbits
; Kernel info:
; codeLenInByte = 2456
; NumSgprs: 18
; NumVgprs: 16
; ScratchSize: 0
; MemoryBound: 0
; FloatMode: 240
; IeeeMode: 1
; LDSByteSize: 0 bytes/workgroup (compile time only)
; SGPRBlocks: 2
; VGPRBlocks: 1
; NumSGPRsForWavesPerEU: 18
; NumVGPRsForWavesPerEU: 16
; Occupancy: 16
; WaveLimiterHint : 0
; COMPUTE_PGM_RSRC2:SCRATCH_EN: 0
; COMPUTE_PGM_RSRC2:USER_SGPR: 15
; COMPUTE_PGM_RSRC2:TRAP_HANDLER: 0
; COMPUTE_PGM_RSRC2:TGID_X_EN: 1
; COMPUTE_PGM_RSRC2:TGID_Y_EN: 0
; COMPUTE_PGM_RSRC2:TGID_Z_EN: 0
; COMPUTE_PGM_RSRC2:TIDIG_COMP_CNT: 0
	.section	.text._ZN2at6native32elementwise_kernel_manual_unrollILi128ELi4EZNS0_22gpu_kernel_impl_nocastINS0_13BinaryFunctorIfffZZZNS0_12_GLOBAL__N_132hermite_polynomial_h_kernel_cudaERNS_18TensorIteratorBaseEENKUlvE_clEvENKUlvE0_clEvEUlffE_EEEEvS6_RKT_EUlibE_EEviT1_,"axG",@progbits,_ZN2at6native32elementwise_kernel_manual_unrollILi128ELi4EZNS0_22gpu_kernel_impl_nocastINS0_13BinaryFunctorIfffZZZNS0_12_GLOBAL__N_132hermite_polynomial_h_kernel_cudaERNS_18TensorIteratorBaseEENKUlvE_clEvENKUlvE0_clEvEUlffE_EEEEvS6_RKT_EUlibE_EEviT1_,comdat
	.globl	_ZN2at6native32elementwise_kernel_manual_unrollILi128ELi4EZNS0_22gpu_kernel_impl_nocastINS0_13BinaryFunctorIfffZZZNS0_12_GLOBAL__N_132hermite_polynomial_h_kernel_cudaERNS_18TensorIteratorBaseEENKUlvE_clEvENKUlvE0_clEvEUlffE_EEEEvS6_RKT_EUlibE_EEviT1_ ; -- Begin function _ZN2at6native32elementwise_kernel_manual_unrollILi128ELi4EZNS0_22gpu_kernel_impl_nocastINS0_13BinaryFunctorIfffZZZNS0_12_GLOBAL__N_132hermite_polynomial_h_kernel_cudaERNS_18TensorIteratorBaseEENKUlvE_clEvENKUlvE0_clEvEUlffE_EEEEvS6_RKT_EUlibE_EEviT1_
	.p2align	8
	.type	_ZN2at6native32elementwise_kernel_manual_unrollILi128ELi4EZNS0_22gpu_kernel_impl_nocastINS0_13BinaryFunctorIfffZZZNS0_12_GLOBAL__N_132hermite_polynomial_h_kernel_cudaERNS_18TensorIteratorBaseEENKUlvE_clEvENKUlvE0_clEvEUlffE_EEEEvS6_RKT_EUlibE_EEviT1_,@function
_ZN2at6native32elementwise_kernel_manual_unrollILi128ELi4EZNS0_22gpu_kernel_impl_nocastINS0_13BinaryFunctorIfffZZZNS0_12_GLOBAL__N_132hermite_polynomial_h_kernel_cudaERNS_18TensorIteratorBaseEENKUlvE_clEvENKUlvE0_clEvEUlffE_EEEEvS6_RKT_EUlibE_EEviT1_: ; @_ZN2at6native32elementwise_kernel_manual_unrollILi128ELi4EZNS0_22gpu_kernel_impl_nocastINS0_13BinaryFunctorIfffZZZNS0_12_GLOBAL__N_132hermite_polynomial_h_kernel_cudaERNS_18TensorIteratorBaseEENKUlvE_clEvENKUlvE0_clEvEUlffE_EEEEvS6_RKT_EUlibE_EEviT1_
; %bb.0:
	s_clause 0x1
	s_load_b32 s22, s[0:1], 0x8
	s_load_b32 s28, s[0:1], 0x0
	v_lshl_or_b32 v7, s15, 9, v0
	s_or_b32 s0, s0, 8
	s_mov_b32 s2, exec_lo
	s_delay_alu instid0(VALU_DEP_1) | instskip(SKIP_2) | instid1(SALU_CYCLE_1)
	v_or_b32_e32 v12, 0x180, v7
	s_waitcnt lgkmcnt(0)
	s_add_i32 s23, s22, -1
	s_cmp_gt_u32 s23, 1
	s_cselect_b32 s24, -1, 0
	v_cmpx_le_i32_e64 s28, v12
	s_xor_b32 s25, exec_lo, s2
	s_cbranch_execz .LBB45_8
; %bb.1:
	s_clause 0x5
	s_load_b128 s[12:15], s[0:1], 0x4
	s_load_b64 s[18:19], s[0:1], 0x14
	s_load_b128 s[8:11], s[0:1], 0xc4
	s_load_b64 s[16:17], s[0:1], 0xd4
	s_load_b64 s[2:3], s[0:1], 0x198
	s_load_b128 s[4:7], s[0:1], 0x188
	s_cmp_lg_u32 s22, 0
	s_mov_b32 s30, exec_lo
	s_cselect_b32 s29, -1, 0
	s_min_u32 s27, s23, 15
	s_cmp_gt_u32 s22, 1
	s_cselect_b32 s26, -1, 0
	v_cmpx_gt_i32_e64 s28, v7
	s_cbranch_execz .LBB45_15
; %bb.2:
	s_and_not1_b32 vcc_lo, exec_lo, s24
	s_cbranch_vccnz .LBB45_105
; %bb.3:
	v_dual_mov_b32 v0, 0 :: v_dual_mov_b32 v1, 0
	v_mov_b32_e32 v2, 0
	s_and_not1_b32 vcc_lo, exec_lo, s29
	s_mov_b32 s31, 0
	s_cbranch_vccnz .LBB45_106
; %bb.4:
	s_add_i32 s20, s27, 1
	v_dual_mov_b32 v2, 0 :: v_dual_mov_b32 v1, 0
	v_dual_mov_b32 v0, 0 :: v_dual_mov_b32 v3, v7
	s_and_b32 s33, s20, 30
	s_add_u32 s20, s0, 0xffffffec
	s_addc_u32 s21, s1, -1
	s_set_inst_prefetch_distance 0x1
	.p2align	6
.LBB45_5:                               ; =>This Inner Loop Header: Depth=1
	s_clause 0x2
	s_load_b128 s[36:39], s[20:21], 0x18
	s_load_b64 s[34:35], s[20:21], 0x28
	s_load_b128 s[40:43], s[20:21], 0xd8
	s_waitcnt lgkmcnt(0)
	v_mul_hi_u32 v4, s37, v3
	s_delay_alu instid0(VALU_DEP_1) | instskip(NEXT) | instid1(VALU_DEP_1)
	v_add_nc_u32_e32 v4, v3, v4
	v_lshrrev_b32_e32 v4, s38, v4
	s_delay_alu instid0(VALU_DEP_1)
	v_mul_hi_u32 v5, s34, v4
	v_mul_lo_u32 v6, v4, s36
	s_load_b64 s[36:37], s[20:21], 0xe8
	s_add_u32 s20, s20, 24
	s_addc_u32 s21, s21, 0
	s_add_i32 s33, s33, -2
	s_delay_alu instid0(SALU_CYCLE_1) | instskip(NEXT) | instid1(VALU_DEP_2)
	s_cmp_lg_u32 s33, 0
	v_add_nc_u32_e32 v5, v4, v5
	s_delay_alu instid0(VALU_DEP_2) | instskip(NEXT) | instid1(VALU_DEP_2)
	v_sub_nc_u32_e32 v6, v3, v6
	v_lshrrev_b32_e32 v3, s35, v5
	s_delay_alu instid0(VALU_DEP_2) | instskip(NEXT) | instid1(VALU_DEP_2)
	v_mul_lo_u32 v8, v6, s40
	v_mul_lo_u32 v5, v3, s39
	s_delay_alu instid0(VALU_DEP_1) | instskip(SKIP_2) | instid1(VALU_DEP_3)
	v_sub_nc_u32_e32 v4, v4, v5
	v_mul_lo_u32 v5, v6, s41
	v_mul_lo_u32 v6, v6, s42
	;; [unrolled: 1-line block ×3, first 2 shown]
	s_waitcnt lgkmcnt(0)
	v_mul_lo_u32 v10, v4, s36
	v_mul_lo_u32 v4, v4, s37
	s_delay_alu instid0(VALU_DEP_3) | instskip(NEXT) | instid1(VALU_DEP_3)
	v_add3_u32 v0, v8, v0, v9
	v_add3_u32 v1, v5, v1, v10
	s_delay_alu instid0(VALU_DEP_3)
	v_add3_u32 v2, v6, v2, v4
	s_cbranch_scc1 .LBB45_5
; %bb.6:
	s_set_inst_prefetch_distance 0x2
	s_bitcmp1_b32 s27, 0
	s_cselect_b32 s33, -1, 0
	s_delay_alu instid0(SALU_CYCLE_1)
	s_and_b32 vcc_lo, exec_lo, s33
	s_cbranch_vccnz .LBB45_106
; %bb.7:
	s_clause 0x3
	s_load_b64 s[34:35], s[20:21], 0x18
	s_load_b32 s33, s[20:21], 0x20
	s_load_b64 s[36:37], s[20:21], 0xd8
	s_load_b32 s20, s[20:21], 0xe0
	s_waitcnt lgkmcnt(0)
	v_mul_hi_u32 v4, s35, v3
	s_delay_alu instid0(VALU_DEP_1) | instskip(NEXT) | instid1(VALU_DEP_1)
	v_add_nc_u32_e32 v4, v3, v4
	v_lshrrev_b32_e32 v4, s33, v4
	s_delay_alu instid0(VALU_DEP_1) | instskip(NEXT) | instid1(VALU_DEP_1)
	v_mul_lo_u32 v4, v4, s34
	v_sub_nc_u32_e32 v8, v3, v4
	s_delay_alu instid0(VALU_DEP_1) | instskip(SKIP_1) | instid1(VALU_DEP_2)
	v_mad_u64_u32 v[3:4], null, v8, s36, v[0:1]
	v_mad_u64_u32 v[4:5], null, v8, s37, v[1:2]
	;; [unrolled: 1-line block ×3, first 2 shown]
	s_delay_alu instid0(VALU_DEP_2) | instskip(NEXT) | instid1(VALU_DEP_2)
	v_dual_mov_b32 v0, v3 :: v_dual_mov_b32 v1, v4
	v_mov_b32_e32 v2, v5
	s_branch .LBB45_106
.LBB45_8:
	s_and_not1_saveexec_b32 s2, s25
	s_cbranch_execz .LBB45_148
.LBB45_9:
	v_cndmask_b32_e64 v10, 0, 1, s24
	s_and_not1_b32 vcc_lo, exec_lo, s24
	s_cbranch_vccnz .LBB45_22
; %bb.10:
	v_dual_mov_b32 v0, 0 :: v_dual_mov_b32 v3, 0
	v_mov_b32_e32 v4, 0
	s_cmp_lg_u32 s22, 0
	s_mov_b32 s4, 0
	s_cbranch_scc0 .LBB45_23
; %bb.11:
	s_min_u32 s5, s23, 15
	v_dual_mov_b32 v4, 0 :: v_dual_mov_b32 v3, 0
	s_add_i32 s2, s5, 1
	s_waitcnt vmcnt(0)
	v_dual_mov_b32 v0, 0 :: v_dual_mov_b32 v1, v7
	s_and_b32 s6, s2, 30
	s_add_u32 s2, s0, 0xffffffec
	s_addc_u32 s3, s1, -1
	s_set_inst_prefetch_distance 0x1
	.p2align	6
.LBB45_12:                              ; =>This Inner Loop Header: Depth=1
	s_clause 0x2
	s_load_b128 s[8:11], s[2:3], 0x18
	s_load_b64 s[16:17], s[2:3], 0x28
	s_load_b128 s[12:15], s[2:3], 0xd8
	s_waitcnt lgkmcnt(0)
	v_mul_hi_u32 v2, s9, v1
	s_delay_alu instid0(VALU_DEP_1) | instskip(NEXT) | instid1(VALU_DEP_1)
	v_add_nc_u32_e32 v2, v1, v2
	v_lshrrev_b32_e32 v2, s10, v2
	s_delay_alu instid0(VALU_DEP_1)
	v_mul_hi_u32 v5, s16, v2
	v_mul_lo_u32 v6, v2, s8
	s_load_b64 s[8:9], s[2:3], 0xe8
	s_add_u32 s2, s2, 24
	s_addc_u32 s3, s3, 0
	s_add_i32 s6, s6, -2
	s_delay_alu instid0(SALU_CYCLE_1) | instskip(NEXT) | instid1(VALU_DEP_2)
	s_cmp_lg_u32 s6, 0
	v_add_nc_u32_e32 v5, v2, v5
	s_delay_alu instid0(VALU_DEP_2) | instskip(NEXT) | instid1(VALU_DEP_2)
	v_sub_nc_u32_e32 v6, v1, v6
	v_lshrrev_b32_e32 v1, s17, v5
	s_delay_alu instid0(VALU_DEP_2) | instskip(NEXT) | instid1(VALU_DEP_2)
	v_mul_lo_u32 v8, v6, s12
	v_mul_lo_u32 v5, v1, s11
	s_delay_alu instid0(VALU_DEP_1) | instskip(SKIP_2) | instid1(VALU_DEP_3)
	v_sub_nc_u32_e32 v2, v2, v5
	v_mul_lo_u32 v5, v6, s13
	v_mul_lo_u32 v6, v6, s14
	;; [unrolled: 1-line block ×3, first 2 shown]
	s_waitcnt lgkmcnt(0)
	v_mul_lo_u32 v11, v2, s8
	v_mul_lo_u32 v2, v2, s9
	s_delay_alu instid0(VALU_DEP_3) | instskip(NEXT) | instid1(VALU_DEP_3)
	v_add3_u32 v0, v8, v0, v9
	v_add3_u32 v3, v5, v3, v11
	s_delay_alu instid0(VALU_DEP_3)
	v_add3_u32 v4, v6, v4, v2
	s_cbranch_scc1 .LBB45_12
; %bb.13:
	s_set_inst_prefetch_distance 0x2
	s_bitcmp1_b32 s5, 0
	s_cselect_b32 s5, -1, 0
	s_delay_alu instid0(SALU_CYCLE_1)
	s_and_b32 vcc_lo, exec_lo, s5
	s_cbranch_vccnz .LBB45_23
; %bb.14:
	s_clause 0x3
	s_load_b64 s[6:7], s[2:3], 0x18
	s_load_b32 s5, s[2:3], 0x20
	s_load_b64 s[8:9], s[2:3], 0xd8
	s_load_b32 s2, s[2:3], 0xe0
	s_waitcnt lgkmcnt(0)
	v_mul_hi_u32 v2, s7, v1
	s_delay_alu instid0(VALU_DEP_1) | instskip(NEXT) | instid1(VALU_DEP_1)
	v_add_nc_u32_e32 v2, v1, v2
	v_lshrrev_b32_e32 v2, s5, v2
	s_delay_alu instid0(VALU_DEP_1) | instskip(NEXT) | instid1(VALU_DEP_1)
	v_mul_lo_u32 v2, v2, s6
	v_sub_nc_u32_e32 v8, v1, v2
	s_delay_alu instid0(VALU_DEP_1) | instskip(SKIP_1) | instid1(VALU_DEP_2)
	v_mad_u64_u32 v[5:6], null, v8, s9, v[3:4]
	v_mad_u64_u32 v[1:2], null, v8, s8, v[0:1]
	;; [unrolled: 1-line block ×3, first 2 shown]
	s_delay_alu instid0(VALU_DEP_2) | instskip(NEXT) | instid1(VALU_DEP_2)
	v_mov_b32_e32 v0, v1
	v_dual_mov_b32 v3, v5 :: v_dual_mov_b32 v4, v2
	s_branch .LBB45_23
.LBB45_15:
	s_or_b32 exec_lo, exec_lo, s30
	s_delay_alu instid0(SALU_CYCLE_1)
	s_mov_b32 s30, exec_lo
	v_cmpx_gt_i32_e64 s28, v7
	s_cbranch_execz .LBB45_122
.LBB45_16:
	s_and_not1_b32 vcc_lo, exec_lo, s24
	s_cbranch_vccnz .LBB45_129
; %bb.17:
	s_waitcnt vmcnt(0)
	v_dual_mov_b32 v0, 0 :: v_dual_mov_b32 v1, 0
	v_mov_b32_e32 v2, 0
	s_and_not1_b32 vcc_lo, exec_lo, s29
	s_mov_b32 s31, 0
	s_cbranch_vccnz .LBB45_130
; %bb.18:
	s_add_i32 s20, s27, 1
	v_dual_mov_b32 v2, 0 :: v_dual_mov_b32 v1, 0
	v_dual_mov_b32 v0, 0 :: v_dual_mov_b32 v3, v7
	s_and_b32 s33, s20, 30
	s_add_u32 s20, s0, 0xffffffec
	s_addc_u32 s21, s1, -1
	s_set_inst_prefetch_distance 0x1
	.p2align	6
.LBB45_19:                              ; =>This Inner Loop Header: Depth=1
	s_clause 0x2
	s_load_b128 s[36:39], s[20:21], 0x18
	s_load_b64 s[34:35], s[20:21], 0x28
	s_load_b128 s[40:43], s[20:21], 0xd8
	s_waitcnt lgkmcnt(0)
	v_mul_hi_u32 v4, s37, v3
	s_delay_alu instid0(VALU_DEP_1) | instskip(NEXT) | instid1(VALU_DEP_1)
	v_add_nc_u32_e32 v4, v3, v4
	v_lshrrev_b32_e32 v4, s38, v4
	s_delay_alu instid0(VALU_DEP_1)
	v_mul_hi_u32 v5, s34, v4
	v_mul_lo_u32 v6, v4, s36
	s_load_b64 s[36:37], s[20:21], 0xe8
	s_add_u32 s20, s20, 24
	s_addc_u32 s21, s21, 0
	s_add_i32 s33, s33, -2
	s_delay_alu instid0(SALU_CYCLE_1) | instskip(NEXT) | instid1(VALU_DEP_2)
	s_cmp_eq_u32 s33, 0
	v_add_nc_u32_e32 v5, v4, v5
	s_delay_alu instid0(VALU_DEP_2) | instskip(NEXT) | instid1(VALU_DEP_2)
	v_sub_nc_u32_e32 v6, v3, v6
	v_lshrrev_b32_e32 v3, s35, v5
	s_delay_alu instid0(VALU_DEP_2) | instskip(NEXT) | instid1(VALU_DEP_2)
	v_mul_lo_u32 v8, v6, s40
	v_mul_lo_u32 v5, v3, s39
	s_delay_alu instid0(VALU_DEP_1) | instskip(SKIP_2) | instid1(VALU_DEP_3)
	v_sub_nc_u32_e32 v4, v4, v5
	v_mul_lo_u32 v5, v6, s41
	v_mul_lo_u32 v6, v6, s42
	;; [unrolled: 1-line block ×3, first 2 shown]
	s_waitcnt lgkmcnt(0)
	v_mul_lo_u32 v10, v4, s36
	v_mul_lo_u32 v4, v4, s37
	s_delay_alu instid0(VALU_DEP_3) | instskip(NEXT) | instid1(VALU_DEP_3)
	v_add3_u32 v0, v8, v0, v9
	v_add3_u32 v1, v5, v1, v10
	s_delay_alu instid0(VALU_DEP_3)
	v_add3_u32 v2, v6, v2, v4
	s_cbranch_scc0 .LBB45_19
; %bb.20:
	s_set_inst_prefetch_distance 0x2
	s_bitcmp1_b32 s27, 0
	s_cselect_b32 s33, -1, 0
	s_delay_alu instid0(SALU_CYCLE_1)
	s_and_b32 vcc_lo, exec_lo, s33
	s_cbranch_vccnz .LBB45_130
; %bb.21:
	s_clause 0x3
	s_load_b64 s[34:35], s[20:21], 0x18
	s_load_b32 s33, s[20:21], 0x20
	s_load_b64 s[36:37], s[20:21], 0xd8
	s_load_b32 s20, s[20:21], 0xe0
	s_waitcnt lgkmcnt(0)
	v_mul_hi_u32 v4, s35, v3
	s_delay_alu instid0(VALU_DEP_1) | instskip(NEXT) | instid1(VALU_DEP_1)
	v_add_nc_u32_e32 v4, v3, v4
	v_lshrrev_b32_e32 v4, s33, v4
	s_delay_alu instid0(VALU_DEP_1) | instskip(NEXT) | instid1(VALU_DEP_1)
	v_mul_lo_u32 v4, v4, s34
	v_sub_nc_u32_e32 v8, v3, v4
	s_delay_alu instid0(VALU_DEP_1) | instskip(SKIP_1) | instid1(VALU_DEP_2)
	v_mad_u64_u32 v[3:4], null, v8, s36, v[0:1]
	v_mad_u64_u32 v[4:5], null, v8, s37, v[1:2]
	;; [unrolled: 1-line block ×3, first 2 shown]
	s_delay_alu instid0(VALU_DEP_2) | instskip(NEXT) | instid1(VALU_DEP_2)
	v_dual_mov_b32 v0, v3 :: v_dual_mov_b32 v1, v4
	v_mov_b32_e32 v2, v5
	s_branch .LBB45_130
.LBB45_22:
	s_mov_b32 s4, -1
                                        ; implicit-def: $vgpr0
                                        ; implicit-def: $vgpr3
                                        ; implicit-def: $vgpr4
.LBB45_23:
	s_delay_alu instid0(SALU_CYCLE_1)
	s_and_not1_b32 vcc_lo, exec_lo, s4
	s_cbranch_vccnz .LBB45_26
; %bb.24:
	s_clause 0x1
	s_load_b128 s[4:7], s[0:1], 0x4
	s_load_b128 s[8:11], s[0:1], 0xc4
	s_cmp_lt_u32 s22, 2
	s_waitcnt lgkmcnt(0)
	v_mul_hi_u32 v0, s5, v7
	s_delay_alu instid0(VALU_DEP_1) | instskip(SKIP_1) | instid1(VALU_DEP_1)
	v_add_nc_u32_e32 v0, v7, v0
	s_waitcnt vmcnt(0)
	v_lshrrev_b32_e32 v1, s6, v0
	s_delay_alu instid0(VALU_DEP_1) | instskip(NEXT) | instid1(VALU_DEP_1)
	v_mul_lo_u32 v0, v1, s4
	v_sub_nc_u32_e32 v2, v7, v0
	s_delay_alu instid0(VALU_DEP_1)
	v_mul_lo_u32 v0, v2, s8
	v_mul_lo_u32 v3, v2, s9
	;; [unrolled: 1-line block ×3, first 2 shown]
	s_cbranch_scc1 .LBB45_26
; %bb.25:
	s_clause 0x1
	s_load_b128 s[4:7], s[0:1], 0x10
	s_load_b128 s[8:11], s[0:1], 0xd0
	s_waitcnt lgkmcnt(0)
	v_mul_hi_u32 v2, s5, v1
	s_delay_alu instid0(VALU_DEP_1) | instskip(NEXT) | instid1(VALU_DEP_1)
	v_add_nc_u32_e32 v2, v1, v2
	v_lshrrev_b32_e32 v2, s6, v2
	s_delay_alu instid0(VALU_DEP_1) | instskip(NEXT) | instid1(VALU_DEP_1)
	v_mul_lo_u32 v2, v2, s4
	v_sub_nc_u32_e32 v8, v1, v2
	s_delay_alu instid0(VALU_DEP_1) | instskip(SKIP_1) | instid1(VALU_DEP_2)
	v_mad_u64_u32 v[5:6], null, v8, s9, v[3:4]
	v_mad_u64_u32 v[1:2], null, v8, s8, v[0:1]
	;; [unrolled: 1-line block ×3, first 2 shown]
	s_delay_alu instid0(VALU_DEP_2) | instskip(NEXT) | instid1(VALU_DEP_2)
	v_mov_b32_e32 v0, v1
	v_dual_mov_b32 v3, v5 :: v_dual_mov_b32 v4, v2
.LBB45_26:
	v_cmp_ne_u32_e32 vcc_lo, 1, v10
	v_add_nc_u32_e32 v2, 0x80, v7
	s_cbranch_vccnz .LBB45_32
; %bb.27:
	s_waitcnt vmcnt(0)
	v_dual_mov_b32 v1, 0 :: v_dual_mov_b32 v6, 0
	v_mov_b32_e32 v5, 0
	s_cmp_lg_u32 s22, 0
	s_mov_b32 s4, 0
	s_cbranch_scc0 .LBB45_33
; %bb.28:
	s_min_u32 s5, s23, 15
	v_dual_mov_b32 v6, 0 :: v_dual_mov_b32 v5, 0
	s_add_i32 s2, s5, 1
	v_dual_mov_b32 v1, 0 :: v_dual_mov_b32 v8, v2
	s_and_b32 s6, s2, 30
	s_add_u32 s2, s0, 0xffffffec
	s_addc_u32 s3, s1, -1
	s_set_inst_prefetch_distance 0x1
	.p2align	6
.LBB45_29:                              ; =>This Inner Loop Header: Depth=1
	s_clause 0x2
	s_load_b128 s[8:11], s[2:3], 0x18
	s_load_b64 s[16:17], s[2:3], 0x28
	s_load_b128 s[12:15], s[2:3], 0xd8
	s_waitcnt lgkmcnt(0)
	v_mul_hi_u32 v9, s9, v8
	s_delay_alu instid0(VALU_DEP_1) | instskip(NEXT) | instid1(VALU_DEP_1)
	v_add_nc_u32_e32 v9, v8, v9
	v_lshrrev_b32_e32 v9, s10, v9
	s_delay_alu instid0(VALU_DEP_1)
	v_mul_hi_u32 v11, s16, v9
	v_mul_lo_u32 v13, v9, s8
	s_load_b64 s[8:9], s[2:3], 0xe8
	s_add_u32 s2, s2, 24
	s_addc_u32 s3, s3, 0
	s_add_i32 s6, s6, -2
	s_delay_alu instid0(SALU_CYCLE_1) | instskip(NEXT) | instid1(VALU_DEP_2)
	s_cmp_lg_u32 s6, 0
	v_add_nc_u32_e32 v11, v9, v11
	s_delay_alu instid0(VALU_DEP_2) | instskip(NEXT) | instid1(VALU_DEP_2)
	v_sub_nc_u32_e32 v13, v8, v13
	v_lshrrev_b32_e32 v8, s17, v11
	s_delay_alu instid0(VALU_DEP_2) | instskip(NEXT) | instid1(VALU_DEP_2)
	v_mul_lo_u32 v14, v13, s12
	v_mul_lo_u32 v11, v8, s11
	s_delay_alu instid0(VALU_DEP_1) | instskip(SKIP_2) | instid1(VALU_DEP_3)
	v_sub_nc_u32_e32 v9, v9, v11
	v_mul_lo_u32 v11, v13, s13
	v_mul_lo_u32 v13, v13, s14
	;; [unrolled: 1-line block ×3, first 2 shown]
	s_waitcnt lgkmcnt(0)
	v_mul_lo_u32 v16, v9, s8
	v_mul_lo_u32 v9, v9, s9
	s_delay_alu instid0(VALU_DEP_3) | instskip(NEXT) | instid1(VALU_DEP_3)
	v_add3_u32 v1, v14, v1, v15
	v_add3_u32 v5, v11, v5, v16
	s_delay_alu instid0(VALU_DEP_3)
	v_add3_u32 v6, v13, v6, v9
	s_cbranch_scc1 .LBB45_29
; %bb.30:
	s_set_inst_prefetch_distance 0x2
	s_bitcmp1_b32 s5, 0
	s_cselect_b32 s5, -1, 0
	s_delay_alu instid0(SALU_CYCLE_1)
	s_and_b32 vcc_lo, exec_lo, s5
	s_cbranch_vccnz .LBB45_33
; %bb.31:
	s_clause 0x3
	s_load_b64 s[6:7], s[2:3], 0x18
	s_load_b32 s5, s[2:3], 0x20
	s_load_b64 s[8:9], s[2:3], 0xd8
	s_load_b32 s2, s[2:3], 0xe0
	s_waitcnt lgkmcnt(0)
	v_mul_hi_u32 v9, s7, v8
	s_delay_alu instid0(VALU_DEP_1) | instskip(NEXT) | instid1(VALU_DEP_1)
	v_add_nc_u32_e32 v9, v8, v9
	v_lshrrev_b32_e32 v9, s5, v9
	s_delay_alu instid0(VALU_DEP_1) | instskip(NEXT) | instid1(VALU_DEP_1)
	v_mul_lo_u32 v9, v9, s6
	v_sub_nc_u32_e32 v11, v8, v9
	s_delay_alu instid0(VALU_DEP_1) | instskip(SKIP_2) | instid1(VALU_DEP_3)
	v_mad_u64_u32 v[13:14], null, v11, s9, v[5:6]
	v_mad_u64_u32 v[8:9], null, v11, s8, v[1:2]
	v_mad_u64_u32 v[14:15], null, v11, s2, v[6:7]
	v_mov_b32_e32 v5, v13
	s_delay_alu instid0(VALU_DEP_2)
	v_dual_mov_b32 v1, v8 :: v_dual_mov_b32 v6, v14
	s_branch .LBB45_33
.LBB45_32:
	s_mov_b32 s4, -1
                                        ; implicit-def: $vgpr1
                                        ; implicit-def: $vgpr5
                                        ; implicit-def: $vgpr6
.LBB45_33:
	s_delay_alu instid0(SALU_CYCLE_1)
	s_and_not1_b32 vcc_lo, exec_lo, s4
	s_cbranch_vccnz .LBB45_36
; %bb.34:
	s_clause 0x1
	s_load_b128 s[4:7], s[0:1], 0x4
	s_load_b128 s[8:11], s[0:1], 0xc4
	s_cmp_lt_u32 s22, 2
	s_waitcnt vmcnt(0) lgkmcnt(0)
	v_mul_hi_u32 v1, s5, v2
	s_delay_alu instid0(VALU_DEP_1) | instskip(NEXT) | instid1(VALU_DEP_1)
	v_add_nc_u32_e32 v1, v2, v1
	v_lshrrev_b32_e32 v8, s6, v1
	s_delay_alu instid0(VALU_DEP_1) | instskip(NEXT) | instid1(VALU_DEP_1)
	v_mul_lo_u32 v1, v8, s4
	v_sub_nc_u32_e32 v2, v2, v1
	s_delay_alu instid0(VALU_DEP_1)
	v_mul_lo_u32 v1, v2, s8
	v_mul_lo_u32 v5, v2, s9
	;; [unrolled: 1-line block ×3, first 2 shown]
	s_cbranch_scc1 .LBB45_36
; %bb.35:
	s_clause 0x1
	s_load_b128 s[4:7], s[0:1], 0x10
	s_load_b128 s[8:11], s[0:1], 0xd0
	s_waitcnt lgkmcnt(0)
	v_mul_hi_u32 v2, s5, v8
	s_delay_alu instid0(VALU_DEP_1) | instskip(NEXT) | instid1(VALU_DEP_1)
	v_add_nc_u32_e32 v2, v8, v2
	v_lshrrev_b32_e32 v2, s6, v2
	s_delay_alu instid0(VALU_DEP_1) | instskip(NEXT) | instid1(VALU_DEP_1)
	v_mul_lo_u32 v2, v2, s4
	v_sub_nc_u32_e32 v2, v8, v2
	s_delay_alu instid0(VALU_DEP_1) | instskip(SKIP_2) | instid1(VALU_DEP_3)
	v_mad_u64_u32 v[13:14], null, v2, s9, v[5:6]
	v_mad_u64_u32 v[8:9], null, v2, s8, v[1:2]
	;; [unrolled: 1-line block ×3, first 2 shown]
	v_mov_b32_e32 v5, v13
	s_delay_alu instid0(VALU_DEP_2)
	v_dual_mov_b32 v1, v8 :: v_dual_mov_b32 v6, v14
.LBB45_36:
	v_cmp_ne_u32_e32 vcc_lo, 1, v10
	v_add_nc_u32_e32 v7, 0x100, v7
	s_cbranch_vccnz .LBB45_42
; %bb.37:
	v_dual_mov_b32 v2, 0 :: v_dual_mov_b32 v9, 0
	v_mov_b32_e32 v8, 0
	s_cmp_lg_u32 s22, 0
	s_mov_b32 s4, 0
	s_cbranch_scc0 .LBB45_43
; %bb.38:
	s_min_u32 s5, s23, 15
	v_dual_mov_b32 v9, 0 :: v_dual_mov_b32 v8, 0
	s_add_i32 s2, s5, 1
	v_dual_mov_b32 v2, 0 :: v_dual_mov_b32 v11, v7
	s_and_b32 s6, s2, 30
	s_add_u32 s2, s0, 0xffffffec
	s_addc_u32 s3, s1, -1
	s_set_inst_prefetch_distance 0x1
	.p2align	6
.LBB45_39:                              ; =>This Inner Loop Header: Depth=1
	s_clause 0x2
	s_load_b128 s[8:11], s[2:3], 0x18
	s_load_b64 s[16:17], s[2:3], 0x28
	s_load_b128 s[12:15], s[2:3], 0xd8
	s_waitcnt lgkmcnt(0)
	v_mul_hi_u32 v13, s9, v11
	s_delay_alu instid0(VALU_DEP_1) | instskip(NEXT) | instid1(VALU_DEP_1)
	v_add_nc_u32_e32 v13, v11, v13
	v_lshrrev_b32_e32 v13, s10, v13
	s_delay_alu instid0(VALU_DEP_1)
	v_mul_hi_u32 v14, s16, v13
	v_mul_lo_u32 v15, v13, s8
	s_load_b64 s[8:9], s[2:3], 0xe8
	s_add_u32 s2, s2, 24
	s_addc_u32 s3, s3, 0
	s_add_i32 s6, s6, -2
	s_delay_alu instid0(SALU_CYCLE_1) | instskip(NEXT) | instid1(VALU_DEP_2)
	s_cmp_lg_u32 s6, 0
	v_add_nc_u32_e32 v14, v13, v14
	s_delay_alu instid0(VALU_DEP_2) | instskip(NEXT) | instid1(VALU_DEP_2)
	v_sub_nc_u32_e32 v15, v11, v15
	v_lshrrev_b32_e32 v11, s17, v14
	s_delay_alu instid0(VALU_DEP_2) | instskip(NEXT) | instid1(VALU_DEP_2)
	v_mul_lo_u32 v16, v15, s12
	v_mul_lo_u32 v14, v11, s11
	s_delay_alu instid0(VALU_DEP_1) | instskip(SKIP_2) | instid1(VALU_DEP_3)
	v_sub_nc_u32_e32 v13, v13, v14
	v_mul_lo_u32 v14, v15, s13
	v_mul_lo_u32 v15, v15, s14
	;; [unrolled: 1-line block ×3, first 2 shown]
	s_waitcnt lgkmcnt(0)
	v_mul_lo_u32 v18, v13, s8
	v_mul_lo_u32 v13, v13, s9
	s_delay_alu instid0(VALU_DEP_3) | instskip(NEXT) | instid1(VALU_DEP_3)
	v_add3_u32 v2, v16, v2, v17
	v_add3_u32 v8, v14, v8, v18
	s_delay_alu instid0(VALU_DEP_3)
	v_add3_u32 v9, v15, v9, v13
	s_cbranch_scc1 .LBB45_39
; %bb.40:
	s_set_inst_prefetch_distance 0x2
	s_bitcmp1_b32 s5, 0
	s_cselect_b32 s5, -1, 0
	s_delay_alu instid0(SALU_CYCLE_1)
	s_and_b32 vcc_lo, exec_lo, s5
	s_cbranch_vccnz .LBB45_43
; %bb.41:
	s_clause 0x3
	s_load_b64 s[6:7], s[2:3], 0x18
	s_load_b32 s5, s[2:3], 0x20
	s_load_b64 s[8:9], s[2:3], 0xd8
	s_load_b32 s2, s[2:3], 0xe0
	s_waitcnt lgkmcnt(0)
	v_mul_hi_u32 v13, s7, v11
	s_delay_alu instid0(VALU_DEP_1) | instskip(NEXT) | instid1(VALU_DEP_1)
	v_add_nc_u32_e32 v13, v11, v13
	v_lshrrev_b32_e32 v13, s5, v13
	s_delay_alu instid0(VALU_DEP_1) | instskip(NEXT) | instid1(VALU_DEP_1)
	v_mul_lo_u32 v13, v13, s6
	v_sub_nc_u32_e32 v11, v11, v13
	s_delay_alu instid0(VALU_DEP_1) | instskip(SKIP_2) | instid1(VALU_DEP_3)
	v_mad_u64_u32 v[13:14], null, v11, s8, v[2:3]
	v_mad_u64_u32 v[14:15], null, v11, s9, v[8:9]
	;; [unrolled: 1-line block ×3, first 2 shown]
	v_mov_b32_e32 v2, v13
	s_delay_alu instid0(VALU_DEP_2)
	v_dual_mov_b32 v8, v14 :: v_dual_mov_b32 v9, v15
	s_branch .LBB45_43
.LBB45_42:
	s_mov_b32 s4, -1
                                        ; implicit-def: $vgpr2
                                        ; implicit-def: $vgpr8
                                        ; implicit-def: $vgpr9
.LBB45_43:
	s_delay_alu instid0(SALU_CYCLE_1)
	s_and_not1_b32 vcc_lo, exec_lo, s4
	s_cbranch_vccnz .LBB45_46
; %bb.44:
	s_clause 0x1
	s_load_b128 s[4:7], s[0:1], 0x4
	s_load_b128 s[8:11], s[0:1], 0xc4
	s_cmp_lt_u32 s22, 2
	s_waitcnt lgkmcnt(0)
	v_mul_hi_u32 v2, s5, v7
	s_delay_alu instid0(VALU_DEP_1) | instskip(NEXT) | instid1(VALU_DEP_1)
	v_add_nc_u32_e32 v2, v7, v2
	v_lshrrev_b32_e32 v11, s6, v2
	s_delay_alu instid0(VALU_DEP_1) | instskip(NEXT) | instid1(VALU_DEP_1)
	v_mul_lo_u32 v2, v11, s4
	v_sub_nc_u32_e32 v7, v7, v2
	s_delay_alu instid0(VALU_DEP_1)
	v_mul_lo_u32 v2, v7, s8
	v_mul_lo_u32 v8, v7, s9
	;; [unrolled: 1-line block ×3, first 2 shown]
	s_cbranch_scc1 .LBB45_46
; %bb.45:
	s_clause 0x1
	s_load_b128 s[4:7], s[0:1], 0x10
	s_load_b128 s[8:11], s[0:1], 0xd0
	s_waitcnt lgkmcnt(0)
	v_mul_hi_u32 v7, s5, v11
	s_delay_alu instid0(VALU_DEP_1) | instskip(NEXT) | instid1(VALU_DEP_1)
	v_add_nc_u32_e32 v7, v11, v7
	v_lshrrev_b32_e32 v7, s6, v7
	s_delay_alu instid0(VALU_DEP_1) | instskip(NEXT) | instid1(VALU_DEP_1)
	v_mul_lo_u32 v7, v7, s4
	v_sub_nc_u32_e32 v11, v11, v7
	s_delay_alu instid0(VALU_DEP_1) | instskip(SKIP_2) | instid1(VALU_DEP_3)
	v_mad_u64_u32 v[13:14], null, v11, s8, v[2:3]
	v_mad_u64_u32 v[14:15], null, v11, s9, v[8:9]
	;; [unrolled: 1-line block ×3, first 2 shown]
	v_mov_b32_e32 v2, v13
	s_delay_alu instid0(VALU_DEP_2)
	v_dual_mov_b32 v8, v14 :: v_dual_mov_b32 v9, v7
.LBB45_46:
	v_cmp_ne_u32_e32 vcc_lo, 1, v10
	s_cbranch_vccnz .LBB45_52
; %bb.47:
	v_dual_mov_b32 v7, 0 :: v_dual_mov_b32 v10, 0
	v_mov_b32_e32 v11, 0
	s_cmp_lg_u32 s22, 0
	s_mov_b32 s4, 0
	s_cbranch_scc0 .LBB45_53
; %bb.48:
	s_min_u32 s5, s23, 15
	v_dual_mov_b32 v11, 0 :: v_dual_mov_b32 v10, 0
	s_add_i32 s2, s5, 1
	v_mov_b32_e32 v7, 0
	v_mov_b32_e32 v13, v12
	s_and_b32 s6, s2, 30
	s_add_u32 s2, s0, 0xffffffec
	s_addc_u32 s3, s1, -1
	s_set_inst_prefetch_distance 0x1
	.p2align	6
.LBB45_49:                              ; =>This Inner Loop Header: Depth=1
	s_clause 0x2
	s_load_b128 s[8:11], s[2:3], 0x18
	s_load_b64 s[16:17], s[2:3], 0x28
	s_load_b128 s[12:15], s[2:3], 0xd8
	s_waitcnt lgkmcnt(0)
	v_mul_hi_u32 v14, s9, v13
	s_delay_alu instid0(VALU_DEP_1) | instskip(NEXT) | instid1(VALU_DEP_1)
	v_add_nc_u32_e32 v14, v13, v14
	v_lshrrev_b32_e32 v14, s10, v14
	s_delay_alu instid0(VALU_DEP_1)
	v_mul_hi_u32 v15, s16, v14
	v_mul_lo_u32 v16, v14, s8
	s_load_b64 s[8:9], s[2:3], 0xe8
	s_add_u32 s2, s2, 24
	s_addc_u32 s3, s3, 0
	s_add_i32 s6, s6, -2
	s_delay_alu instid0(SALU_CYCLE_1) | instskip(NEXT) | instid1(VALU_DEP_2)
	s_cmp_lg_u32 s6, 0
	v_add_nc_u32_e32 v15, v14, v15
	s_delay_alu instid0(VALU_DEP_2) | instskip(NEXT) | instid1(VALU_DEP_2)
	v_sub_nc_u32_e32 v16, v13, v16
	v_lshrrev_b32_e32 v13, s17, v15
	s_delay_alu instid0(VALU_DEP_2) | instskip(NEXT) | instid1(VALU_DEP_2)
	v_mul_lo_u32 v17, v16, s12
	v_mul_lo_u32 v15, v13, s11
	s_delay_alu instid0(VALU_DEP_1) | instskip(SKIP_2) | instid1(VALU_DEP_3)
	v_sub_nc_u32_e32 v14, v14, v15
	v_mul_lo_u32 v15, v16, s13
	v_mul_lo_u32 v16, v16, s14
	;; [unrolled: 1-line block ×3, first 2 shown]
	s_waitcnt lgkmcnt(0)
	v_mul_lo_u32 v19, v14, s8
	v_mul_lo_u32 v14, v14, s9
	s_delay_alu instid0(VALU_DEP_3) | instskip(NEXT) | instid1(VALU_DEP_3)
	v_add3_u32 v7, v17, v7, v18
	v_add3_u32 v10, v15, v10, v19
	s_delay_alu instid0(VALU_DEP_3)
	v_add3_u32 v11, v16, v11, v14
	s_cbranch_scc1 .LBB45_49
; %bb.50:
	s_set_inst_prefetch_distance 0x2
	s_bitcmp1_b32 s5, 0
	s_cselect_b32 s5, -1, 0
	s_delay_alu instid0(SALU_CYCLE_1)
	s_and_b32 vcc_lo, exec_lo, s5
	s_cbranch_vccnz .LBB45_53
; %bb.51:
	s_clause 0x3
	s_load_b64 s[6:7], s[2:3], 0x18
	s_load_b32 s5, s[2:3], 0x20
	s_load_b64 s[8:9], s[2:3], 0xd8
	s_load_b32 s2, s[2:3], 0xe0
	s_waitcnt lgkmcnt(0)
	v_mul_hi_u32 v14, s7, v13
	s_delay_alu instid0(VALU_DEP_1) | instskip(NEXT) | instid1(VALU_DEP_1)
	v_add_nc_u32_e32 v14, v13, v14
	v_lshrrev_b32_e32 v14, s5, v14
	s_delay_alu instid0(VALU_DEP_1) | instskip(NEXT) | instid1(VALU_DEP_1)
	v_mul_lo_u32 v14, v14, s6
	v_sub_nc_u32_e32 v17, v13, v14
	s_delay_alu instid0(VALU_DEP_1) | instskip(SKIP_2) | instid1(VALU_DEP_2)
	v_mad_u64_u32 v[13:14], null, v17, s8, v[7:8]
	v_mad_u64_u32 v[14:15], null, v17, s9, v[10:11]
	;; [unrolled: 1-line block ×3, first 2 shown]
	v_dual_mov_b32 v7, v13 :: v_dual_mov_b32 v10, v14
	s_delay_alu instid0(VALU_DEP_2)
	v_mov_b32_e32 v11, v15
	s_branch .LBB45_53
.LBB45_52:
	s_mov_b32 s4, -1
                                        ; implicit-def: $vgpr7
                                        ; implicit-def: $vgpr10
                                        ; implicit-def: $vgpr11
.LBB45_53:
	s_delay_alu instid0(SALU_CYCLE_1)
	s_and_not1_b32 vcc_lo, exec_lo, s4
	s_cbranch_vccnz .LBB45_56
; %bb.54:
	s_clause 0x1
	s_load_b128 s[4:7], s[0:1], 0x4
	s_load_b128 s[8:11], s[0:1], 0xc4
	s_cmp_lt_u32 s22, 2
	s_waitcnt lgkmcnt(0)
	v_mul_hi_u32 v7, s5, v12
	s_delay_alu instid0(VALU_DEP_1) | instskip(NEXT) | instid1(VALU_DEP_1)
	v_add_nc_u32_e32 v7, v12, v7
	v_lshrrev_b32_e32 v13, s6, v7
	s_delay_alu instid0(VALU_DEP_1) | instskip(NEXT) | instid1(VALU_DEP_1)
	v_mul_lo_u32 v7, v13, s4
	v_sub_nc_u32_e32 v11, v12, v7
	s_delay_alu instid0(VALU_DEP_1)
	v_mul_lo_u32 v7, v11, s8
	v_mul_lo_u32 v10, v11, s9
	;; [unrolled: 1-line block ×3, first 2 shown]
	s_cbranch_scc1 .LBB45_56
; %bb.55:
	s_clause 0x1
	s_load_b128 s[4:7], s[0:1], 0x10
	s_load_b128 s[8:11], s[0:1], 0xd0
	s_waitcnt lgkmcnt(0)
	v_mul_hi_u32 v12, s5, v13
	s_delay_alu instid0(VALU_DEP_1) | instskip(NEXT) | instid1(VALU_DEP_1)
	v_add_nc_u32_e32 v12, v13, v12
	v_lshrrev_b32_e32 v12, s6, v12
	s_delay_alu instid0(VALU_DEP_1) | instskip(NEXT) | instid1(VALU_DEP_1)
	v_mul_lo_u32 v12, v12, s4
	v_sub_nc_u32_e32 v16, v13, v12
	s_delay_alu instid0(VALU_DEP_1) | instskip(SKIP_1) | instid1(VALU_DEP_2)
	v_mad_u64_u32 v[12:13], null, v16, s8, v[7:8]
	v_mad_u64_u32 v[13:14], null, v16, s9, v[10:11]
	v_mad_u64_u32 v[14:15], null, v16, s10, v[11:12]
	s_delay_alu instid0(VALU_DEP_2) | instskip(NEXT) | instid1(VALU_DEP_2)
	v_dual_mov_b32 v7, v12 :: v_dual_mov_b32 v10, v13
	v_mov_b32_e32 v11, v14
.LBB45_56:
	s_clause 0x1
	s_load_b64 s[4:5], s[0:1], 0x198
	s_load_b128 s[0:3], s[0:1], 0x188
	s_mov_b32 s8, exec_lo
	s_waitcnt lgkmcnt(0)
	global_load_b32 v4, v4, s[4:5]
	s_waitcnt vmcnt(0)
	v_trunc_f32_e32 v12, v4
	s_delay_alu instid0(VALU_DEP_1) | instskip(NEXT) | instid1(VALU_DEP_1)
	v_mul_f32_e64 v13, 0x2f800000, |v12|
	v_floor_f32_e32 v13, v13
	s_delay_alu instid0(VALU_DEP_1) | instskip(SKIP_2) | instid1(VALU_DEP_3)
	v_fma_f32 v14, 0xcf800000, v13, |v12|
	v_ashrrev_i32_e32 v12, 31, v12
	v_cvt_u32_f32_e32 v13, v13
	v_cvt_u32_f32_e32 v14, v14
	s_delay_alu instid0(VALU_DEP_2) | instskip(NEXT) | instid1(VALU_DEP_2)
	v_xor_b32_e32 v13, v13, v12
	v_xor_b32_e32 v14, v14, v12
	s_delay_alu instid0(VALU_DEP_1) | instskip(NEXT) | instid1(VALU_DEP_3)
	v_sub_co_u32 v14, vcc_lo, v14, v12
	v_sub_co_ci_u32_e32 v12, vcc_lo, v13, v12, vcc_lo
	v_cmp_class_f32_e64 vcc_lo, v4, 0x1f8
	s_delay_alu instid0(VALU_DEP_2) | instskip(SKIP_1) | instid1(VALU_DEP_2)
	v_dual_cndmask_b32 v13, -1, v12 :: v_dual_cndmask_b32 v12, -1, v14
	v_mov_b32_e32 v14, 0
	v_cmpx_lt_i64_e32 -1, v[12:13]
	s_cbranch_execz .LBB45_68
; %bb.57:
	v_mov_b32_e32 v14, 1.0
	s_mov_b32 s9, exec_lo
	v_cmpx_lt_i64_e32 0, v[12:13]
	s_cbranch_execz .LBB45_67
; %bb.58:
	global_load_b32 v3, v3, s[2:3]
                                        ; implicit-def: $vgpr14
	s_mov_b32 s6, exec_lo
	v_cmpx_ne_u64_e32 1, v[12:13]
	s_xor_b32 s10, exec_lo, s6
	s_cbranch_execz .LBB45_64
; %bb.59:
	v_mov_b32_e32 v14, 0x7fc00000
	s_mov_b32 s11, exec_lo
	v_cmpx_gt_u64_e32 0x81, v[12:13]
	s_cbranch_execz .LBB45_63
; %bb.60:
	s_waitcnt vmcnt(0)
	v_add_f32_e32 v15, v3, v3
	v_lshlrev_b64 v[3:4], 1, v[12:13]
	v_mov_b32_e32 v12, 1.0
	s_mov_b64 s[6:7], 2
	s_mov_b32 s12, 0
	v_mov_b32_e32 v14, v15
	.p2align	6
.LBB45_61:                              ; =>This Inner Loop Header: Depth=1
	s_clz_i32_u32 s13, s7
	s_delay_alu instid0(SALU_CYCLE_1) | instskip(NEXT) | instid1(SALU_CYCLE_1)
	s_min_u32 s13, s13, 32
	s_lshl_b64 s[14:15], s[6:7], s13
	s_sub_i32 s13, 32, s13
	s_min_u32 s14, s14, 1
	s_delay_alu instid0(SALU_CYCLE_1) | instskip(SKIP_3) | instid1(SALU_CYCLE_1)
	s_or_b32 s14, s15, s14
	s_add_u32 s6, s6, 2
	v_cvt_f32_u32_e32 v13, s14
	s_addc_u32 s7, s7, 0
	v_cmp_ge_u64_e32 vcc_lo, s[6:7], v[3:4]
	s_delay_alu instid0(VALU_DEP_2) | instskip(SKIP_1) | instid1(VALU_DEP_1)
	v_ldexp_f32 v13, v13, s13
	s_or_b32 s12, vcc_lo, s12
	v_dual_mul_f32 v13, v12, v13 :: v_dual_mov_b32 v12, v14
	s_delay_alu instid0(VALU_DEP_1)
	v_fma_f32 v14, v15, v14, -v13
	s_and_not1_b32 exec_lo, exec_lo, s12
	s_cbranch_execnz .LBB45_61
; %bb.62:
	s_or_b32 exec_lo, exec_lo, s12
.LBB45_63:
	s_delay_alu instid0(SALU_CYCLE_1)
	s_or_b32 exec_lo, exec_lo, s11
                                        ; implicit-def: $vgpr3
.LBB45_64:
	s_and_not1_saveexec_b32 s6, s10
	s_cbranch_execz .LBB45_66
; %bb.65:
	s_waitcnt vmcnt(0)
	v_add_f32_e32 v14, v3, v3
.LBB45_66:
	s_or_b32 exec_lo, exec_lo, s6
.LBB45_67:
	s_delay_alu instid0(SALU_CYCLE_1)
	s_or_b32 exec_lo, exec_lo, s9
.LBB45_68:
	s_delay_alu instid0(SALU_CYCLE_1) | instskip(SKIP_4) | instid1(VALU_DEP_1)
	s_or_b32 exec_lo, exec_lo, s8
	global_load_b32 v3, v6, s[4:5]
	s_mov_b32 s8, exec_lo
	s_waitcnt vmcnt(0)
	v_trunc_f32_e32 v4, v3
	v_mul_f32_e64 v6, 0x2f800000, |v4|
	s_delay_alu instid0(VALU_DEP_1) | instskip(NEXT) | instid1(VALU_DEP_1)
	v_floor_f32_e32 v6, v6
	v_fma_f32 v12, 0xcf800000, v6, |v4|
	v_ashrrev_i32_e32 v4, 31, v4
	v_cvt_u32_f32_e32 v6, v6
	s_delay_alu instid0(VALU_DEP_3) | instskip(NEXT) | instid1(VALU_DEP_2)
	v_cvt_u32_f32_e32 v12, v12
	v_xor_b32_e32 v6, v6, v4
	s_delay_alu instid0(VALU_DEP_2) | instskip(NEXT) | instid1(VALU_DEP_1)
	v_xor_b32_e32 v12, v12, v4
	v_sub_co_u32 v12, vcc_lo, v12, v4
	s_delay_alu instid0(VALU_DEP_3) | instskip(SKIP_2) | instid1(VALU_DEP_3)
	v_sub_co_ci_u32_e32 v4, vcc_lo, v6, v4, vcc_lo
	v_cmp_class_f32_e64 vcc_lo, v3, 0x1f8
	v_mov_b32_e32 v6, 0
	v_cndmask_b32_e32 v4, -1, v4, vcc_lo
	v_cndmask_b32_e32 v3, -1, v12, vcc_lo
	s_delay_alu instid0(VALU_DEP_1)
	v_cmpx_lt_i64_e32 -1, v[3:4]
	s_cbranch_execz .LBB45_80
; %bb.69:
	v_mov_b32_e32 v6, 1.0
	s_mov_b32 s9, exec_lo
	v_cmpx_lt_i64_e32 0, v[3:4]
	s_cbranch_execz .LBB45_79
; %bb.70:
	global_load_b32 v5, v5, s[2:3]
                                        ; implicit-def: $vgpr6
	s_mov_b32 s6, exec_lo
	v_cmpx_ne_u64_e32 1, v[3:4]
	s_xor_b32 s10, exec_lo, s6
	s_cbranch_execz .LBB45_76
; %bb.71:
	v_mov_b32_e32 v6, 0x7fc00000
	s_mov_b32 s11, exec_lo
	v_cmpx_gt_u64_e32 0x81, v[3:4]
	s_cbranch_execz .LBB45_75
; %bb.72:
	s_waitcnt vmcnt(0)
	v_dual_add_f32 v5, v5, v5 :: v_dual_mov_b32 v12, 1.0
	v_lshlrev_b64 v[3:4], 1, v[3:4]
	s_mov_b64 s[6:7], 2
	s_mov_b32 s12, 0
	s_delay_alu instid0(VALU_DEP_2)
	v_mov_b32_e32 v6, v5
	.p2align	6
.LBB45_73:                              ; =>This Inner Loop Header: Depth=1
	s_clz_i32_u32 s13, s7
	s_delay_alu instid0(SALU_CYCLE_1) | instskip(NEXT) | instid1(SALU_CYCLE_1)
	s_min_u32 s13, s13, 32
	s_lshl_b64 s[14:15], s[6:7], s13
	s_sub_i32 s13, 32, s13
	s_min_u32 s14, s14, 1
	s_delay_alu instid0(SALU_CYCLE_1) | instskip(SKIP_3) | instid1(SALU_CYCLE_1)
	s_or_b32 s14, s15, s14
	s_add_u32 s6, s6, 2
	v_cvt_f32_u32_e32 v13, s14
	s_addc_u32 s7, s7, 0
	v_cmp_ge_u64_e32 vcc_lo, s[6:7], v[3:4]
	s_delay_alu instid0(VALU_DEP_2) | instskip(SKIP_1) | instid1(VALU_DEP_1)
	v_ldexp_f32 v13, v13, s13
	s_or_b32 s12, vcc_lo, s12
	v_dual_mul_f32 v13, v12, v13 :: v_dual_mov_b32 v12, v6
	s_delay_alu instid0(VALU_DEP_1)
	v_fma_f32 v6, v5, v6, -v13
	s_and_not1_b32 exec_lo, exec_lo, s12
	s_cbranch_execnz .LBB45_73
; %bb.74:
	s_or_b32 exec_lo, exec_lo, s12
.LBB45_75:
	s_delay_alu instid0(SALU_CYCLE_1)
	s_or_b32 exec_lo, exec_lo, s11
                                        ; implicit-def: $vgpr5
.LBB45_76:
	s_and_not1_saveexec_b32 s6, s10
	s_cbranch_execz .LBB45_78
; %bb.77:
	s_waitcnt vmcnt(0)
	v_add_f32_e32 v6, v5, v5
.LBB45_78:
	s_or_b32 exec_lo, exec_lo, s6
.LBB45_79:
	s_delay_alu instid0(SALU_CYCLE_1)
	s_or_b32 exec_lo, exec_lo, s9
.LBB45_80:
	s_delay_alu instid0(SALU_CYCLE_1) | instskip(SKIP_4) | instid1(VALU_DEP_1)
	s_or_b32 exec_lo, exec_lo, s8
	global_load_b32 v3, v9, s[4:5]
	s_mov_b32 s8, exec_lo
	s_waitcnt vmcnt(0)
	v_trunc_f32_e32 v4, v3
	v_mul_f32_e64 v5, 0x2f800000, |v4|
	s_delay_alu instid0(VALU_DEP_1) | instskip(NEXT) | instid1(VALU_DEP_1)
	v_floor_f32_e32 v5, v5
	v_fma_f32 v9, 0xcf800000, v5, |v4|
	v_ashrrev_i32_e32 v4, 31, v4
	v_cvt_u32_f32_e32 v5, v5
	s_delay_alu instid0(VALU_DEP_3) | instskip(NEXT) | instid1(VALU_DEP_2)
	v_cvt_u32_f32_e32 v9, v9
	v_xor_b32_e32 v5, v5, v4
	s_delay_alu instid0(VALU_DEP_2) | instskip(NEXT) | instid1(VALU_DEP_1)
	v_xor_b32_e32 v9, v9, v4
	v_sub_co_u32 v9, vcc_lo, v9, v4
	s_delay_alu instid0(VALU_DEP_3) | instskip(SKIP_1) | instid1(VALU_DEP_2)
	v_sub_co_ci_u32_e32 v4, vcc_lo, v5, v4, vcc_lo
	v_cmp_class_f32_e64 vcc_lo, v3, 0x1f8
	v_dual_mov_b32 v5, 0 :: v_dual_cndmask_b32 v4, -1, v4
	s_delay_alu instid0(VALU_DEP_4) | instskip(NEXT) | instid1(VALU_DEP_1)
	v_cndmask_b32_e32 v3, -1, v9, vcc_lo
	v_cmpx_lt_i64_e32 -1, v[3:4]
	s_cbranch_execz .LBB45_92
; %bb.81:
	v_mov_b32_e32 v5, 1.0
	s_mov_b32 s9, exec_lo
	v_cmpx_lt_i64_e32 0, v[3:4]
	s_cbranch_execz .LBB45_91
; %bb.82:
	global_load_b32 v8, v8, s[2:3]
                                        ; implicit-def: $vgpr5
	s_mov_b32 s6, exec_lo
	v_cmpx_ne_u64_e32 1, v[3:4]
	s_xor_b32 s10, exec_lo, s6
	s_cbranch_execz .LBB45_88
; %bb.83:
	v_mov_b32_e32 v5, 0x7fc00000
	s_mov_b32 s11, exec_lo
	v_cmpx_gt_u64_e32 0x81, v[3:4]
	s_cbranch_execz .LBB45_87
; %bb.84:
	s_waitcnt vmcnt(0)
	v_dual_add_f32 v8, v8, v8 :: v_dual_mov_b32 v9, 1.0
	v_lshlrev_b64 v[3:4], 1, v[3:4]
	s_mov_b64 s[6:7], 2
	s_mov_b32 s12, 0
	s_delay_alu instid0(VALU_DEP_2)
	v_mov_b32_e32 v5, v8
	.p2align	6
.LBB45_85:                              ; =>This Inner Loop Header: Depth=1
	s_clz_i32_u32 s13, s7
	s_delay_alu instid0(SALU_CYCLE_1) | instskip(NEXT) | instid1(SALU_CYCLE_1)
	s_min_u32 s13, s13, 32
	s_lshl_b64 s[14:15], s[6:7], s13
	s_sub_i32 s13, 32, s13
	s_min_u32 s14, s14, 1
	s_delay_alu instid0(SALU_CYCLE_1) | instskip(SKIP_3) | instid1(SALU_CYCLE_1)
	s_or_b32 s14, s15, s14
	s_add_u32 s6, s6, 2
	v_cvt_f32_u32_e32 v12, s14
	s_addc_u32 s7, s7, 0
	v_cmp_ge_u64_e32 vcc_lo, s[6:7], v[3:4]
	s_delay_alu instid0(VALU_DEP_2) | instskip(SKIP_1) | instid1(VALU_DEP_1)
	v_ldexp_f32 v12, v12, s13
	s_or_b32 s12, vcc_lo, s12
	v_mul_f32_e32 v12, v9, v12
	v_mov_b32_e32 v9, v5
	s_delay_alu instid0(VALU_DEP_2)
	v_fma_f32 v5, v8, v5, -v12
	s_and_not1_b32 exec_lo, exec_lo, s12
	s_cbranch_execnz .LBB45_85
; %bb.86:
	s_or_b32 exec_lo, exec_lo, s12
.LBB45_87:
	s_delay_alu instid0(SALU_CYCLE_1)
	s_or_b32 exec_lo, exec_lo, s11
                                        ; implicit-def: $vgpr8
.LBB45_88:
	s_and_not1_saveexec_b32 s6, s10
	s_cbranch_execz .LBB45_90
; %bb.89:
	s_waitcnt vmcnt(0)
	v_add_f32_e32 v5, v8, v8
.LBB45_90:
	s_or_b32 exec_lo, exec_lo, s6
.LBB45_91:
	s_delay_alu instid0(SALU_CYCLE_1)
	s_or_b32 exec_lo, exec_lo, s9
.LBB45_92:
	s_delay_alu instid0(SALU_CYCLE_1) | instskip(SKIP_4) | instid1(VALU_DEP_1)
	s_or_b32 exec_lo, exec_lo, s8
	global_load_b32 v3, v11, s[4:5]
	s_mov_b32 s4, exec_lo
	s_waitcnt vmcnt(0)
	v_trunc_f32_e32 v4, v3
	v_mul_f32_e64 v8, 0x2f800000, |v4|
	s_delay_alu instid0(VALU_DEP_1) | instskip(NEXT) | instid1(VALU_DEP_1)
	v_floor_f32_e32 v8, v8
	v_fma_f32 v9, 0xcf800000, v8, |v4|
	v_ashrrev_i32_e32 v4, 31, v4
	v_cvt_u32_f32_e32 v8, v8
	s_delay_alu instid0(VALU_DEP_3) | instskip(NEXT) | instid1(VALU_DEP_2)
	v_cvt_u32_f32_e32 v9, v9
	v_xor_b32_e32 v8, v8, v4
	s_delay_alu instid0(VALU_DEP_2) | instskip(NEXT) | instid1(VALU_DEP_1)
	v_xor_b32_e32 v9, v9, v4
	v_sub_co_u32 v9, vcc_lo, v9, v4
	s_delay_alu instid0(VALU_DEP_3) | instskip(SKIP_2) | instid1(VALU_DEP_3)
	v_sub_co_ci_u32_e32 v4, vcc_lo, v8, v4, vcc_lo
	v_cmp_class_f32_e64 vcc_lo, v3, 0x1f8
	v_mov_b32_e32 v8, 0
	v_dual_cndmask_b32 v4, -1, v4 :: v_dual_cndmask_b32 v3, -1, v9
	s_delay_alu instid0(VALU_DEP_1)
	v_cmpx_lt_i64_e32 -1, v[3:4]
	s_cbranch_execz .LBB45_104
; %bb.93:
	v_mov_b32_e32 v8, 1.0
	s_mov_b32 s5, exec_lo
	v_cmpx_lt_i64_e32 0, v[3:4]
	s_cbranch_execz .LBB45_103
; %bb.94:
	global_load_b32 v9, v10, s[2:3]
                                        ; implicit-def: $vgpr8
	s_mov_b32 s2, exec_lo
	v_cmpx_ne_u64_e32 1, v[3:4]
	s_xor_b32 s6, exec_lo, s2
	s_cbranch_execz .LBB45_100
; %bb.95:
	v_mov_b32_e32 v8, 0x7fc00000
	s_mov_b32 s7, exec_lo
	v_cmpx_gt_u64_e32 0x81, v[3:4]
	s_cbranch_execz .LBB45_99
; %bb.96:
	s_waitcnt vmcnt(0)
	v_dual_add_f32 v9, v9, v9 :: v_dual_mov_b32 v10, 1.0
	v_lshlrev_b64 v[3:4], 1, v[3:4]
	s_mov_b64 s[2:3], 2
	s_mov_b32 s8, 0
	s_delay_alu instid0(VALU_DEP_2)
	v_mov_b32_e32 v8, v9
	.p2align	6
.LBB45_97:                              ; =>This Inner Loop Header: Depth=1
	s_clz_i32_u32 s9, s3
	s_delay_alu instid0(SALU_CYCLE_1) | instskip(NEXT) | instid1(SALU_CYCLE_1)
	s_min_u32 s9, s9, 32
	s_lshl_b64 s[10:11], s[2:3], s9
	s_sub_i32 s9, 32, s9
	s_min_u32 s10, s10, 1
	s_delay_alu instid0(SALU_CYCLE_1) | instskip(SKIP_3) | instid1(SALU_CYCLE_1)
	s_or_b32 s10, s11, s10
	s_add_u32 s2, s2, 2
	v_cvt_f32_u32_e32 v11, s10
	s_addc_u32 s3, s3, 0
	v_cmp_ge_u64_e32 vcc_lo, s[2:3], v[3:4]
	s_delay_alu instid0(VALU_DEP_2) | instskip(SKIP_1) | instid1(VALU_DEP_1)
	v_ldexp_f32 v11, v11, s9
	s_or_b32 s8, vcc_lo, s8
	v_dual_mul_f32 v11, v10, v11 :: v_dual_mov_b32 v10, v8
	s_delay_alu instid0(VALU_DEP_1)
	v_fma_f32 v8, v9, v8, -v11
	s_and_not1_b32 exec_lo, exec_lo, s8
	s_cbranch_execnz .LBB45_97
; %bb.98:
	s_or_b32 exec_lo, exec_lo, s8
.LBB45_99:
	s_delay_alu instid0(SALU_CYCLE_1)
	s_or_b32 exec_lo, exec_lo, s7
                                        ; implicit-def: $vgpr9
.LBB45_100:
	s_and_not1_saveexec_b32 s2, s6
	s_cbranch_execz .LBB45_102
; %bb.101:
	s_waitcnt vmcnt(0)
	v_add_f32_e32 v8, v9, v9
.LBB45_102:
	s_or_b32 exec_lo, exec_lo, s2
.LBB45_103:
	s_delay_alu instid0(SALU_CYCLE_1)
	s_or_b32 exec_lo, exec_lo, s5
.LBB45_104:
	s_delay_alu instid0(SALU_CYCLE_1)
	s_or_b32 exec_lo, exec_lo, s4
	s_clause 0x3
	global_store_b32 v0, v14, s[0:1]
	global_store_b32 v1, v6, s[0:1]
	;; [unrolled: 1-line block ×4, first 2 shown]
	s_nop 0
	s_sendmsg sendmsg(MSG_DEALLOC_VGPRS)
	s_endpgm
.LBB45_105:
	s_mov_b32 s31, -1
                                        ; implicit-def: $vgpr0
                                        ; implicit-def: $vgpr1
                                        ; implicit-def: $vgpr2
.LBB45_106:
	s_delay_alu instid0(SALU_CYCLE_1)
	s_and_not1_b32 vcc_lo, exec_lo, s31
	s_cbranch_vccnz .LBB45_109
; %bb.107:
	s_waitcnt lgkmcnt(0)
	v_mul_hi_u32 v0, s13, v7
	s_and_not1_b32 vcc_lo, exec_lo, s26
	s_delay_alu instid0(VALU_DEP_1) | instskip(NEXT) | instid1(VALU_DEP_1)
	v_add_nc_u32_e32 v0, v7, v0
	v_lshrrev_b32_e32 v3, s14, v0
	s_delay_alu instid0(VALU_DEP_1) | instskip(NEXT) | instid1(VALU_DEP_1)
	v_mul_lo_u32 v0, v3, s12
	v_sub_nc_u32_e32 v2, v7, v0
	s_delay_alu instid0(VALU_DEP_1)
	v_mul_lo_u32 v0, v2, s8
	v_mul_lo_u32 v1, v2, s9
	;; [unrolled: 1-line block ×3, first 2 shown]
	s_cbranch_vccnz .LBB45_109
; %bb.108:
	v_mul_hi_u32 v4, s18, v3
	s_delay_alu instid0(VALU_DEP_1) | instskip(NEXT) | instid1(VALU_DEP_1)
	v_add_nc_u32_e32 v4, v3, v4
	v_lshrrev_b32_e32 v4, s19, v4
	s_delay_alu instid0(VALU_DEP_1) | instskip(NEXT) | instid1(VALU_DEP_1)
	v_mul_lo_u32 v4, v4, s15
	v_sub_nc_u32_e32 v8, v3, v4
	s_delay_alu instid0(VALU_DEP_1) | instskip(SKIP_1) | instid1(VALU_DEP_2)
	v_mad_u64_u32 v[3:4], null, v8, s11, v[0:1]
	v_mad_u64_u32 v[4:5], null, v8, s16, v[1:2]
	;; [unrolled: 1-line block ×3, first 2 shown]
	s_delay_alu instid0(VALU_DEP_2) | instskip(NEXT) | instid1(VALU_DEP_2)
	v_dual_mov_b32 v0, v3 :: v_dual_mov_b32 v1, v4
	v_mov_b32_e32 v2, v5
.LBB45_109:
	s_waitcnt lgkmcnt(0)
	global_load_b32 v2, v2, s[2:3]
	s_mov_b32 s31, exec_lo
	s_waitcnt vmcnt(0)
	v_trunc_f32_e32 v3, v2
	s_delay_alu instid0(VALU_DEP_1) | instskip(NEXT) | instid1(VALU_DEP_1)
	v_mul_f32_e64 v4, 0x2f800000, |v3|
	v_floor_f32_e32 v4, v4
	s_delay_alu instid0(VALU_DEP_1) | instskip(SKIP_2) | instid1(VALU_DEP_3)
	v_fma_f32 v5, 0xcf800000, v4, |v3|
	v_ashrrev_i32_e32 v3, 31, v3
	v_cvt_u32_f32_e32 v4, v4
	v_cvt_u32_f32_e32 v5, v5
	s_delay_alu instid0(VALU_DEP_2) | instskip(NEXT) | instid1(VALU_DEP_2)
	v_xor_b32_e32 v4, v4, v3
	v_xor_b32_e32 v5, v5, v3
	s_delay_alu instid0(VALU_DEP_1) | instskip(NEXT) | instid1(VALU_DEP_3)
	v_sub_co_u32 v5, vcc_lo, v5, v3
	v_sub_co_ci_u32_e32 v3, vcc_lo, v4, v3, vcc_lo
	v_cmp_class_f32_e64 vcc_lo, v2, 0x1f8
	s_delay_alu instid0(VALU_DEP_2) | instskip(NEXT) | instid1(VALU_DEP_4)
	v_dual_mov_b32 v4, 0 :: v_dual_cndmask_b32 v3, -1, v3
	v_cndmask_b32_e32 v2, -1, v5, vcc_lo
	s_delay_alu instid0(VALU_DEP_1)
	v_cmpx_lt_i64_e32 -1, v[2:3]
	s_cbranch_execz .LBB45_121
; %bb.110:
	v_mov_b32_e32 v4, 1.0
	s_mov_b32 s33, exec_lo
	v_cmpx_lt_i64_e32 0, v[2:3]
	s_cbranch_execz .LBB45_120
; %bb.111:
	global_load_b32 v1, v1, s[6:7]
                                        ; implicit-def: $vgpr4
	s_mov_b32 s20, exec_lo
	v_cmpx_ne_u64_e32 1, v[2:3]
	s_xor_b32 s34, exec_lo, s20
	s_cbranch_execz .LBB45_117
; %bb.112:
	v_mov_b32_e32 v4, 0x7fc00000
	s_mov_b32 s35, exec_lo
	v_cmpx_gt_u64_e32 0x81, v[2:3]
	s_cbranch_execz .LBB45_116
; %bb.113:
	s_waitcnt vmcnt(0)
	v_add_f32_e32 v5, v1, v1
	v_lshlrev_b64 v[1:2], 1, v[2:3]
	v_mov_b32_e32 v3, 1.0
	s_mov_b64 s[20:21], 2
	s_mov_b32 s36, 0
	v_mov_b32_e32 v4, v5
	.p2align	6
.LBB45_114:                             ; =>This Inner Loop Header: Depth=1
	s_clz_i32_u32 s37, s21
	s_delay_alu instid0(SALU_CYCLE_1) | instskip(NEXT) | instid1(SALU_CYCLE_1)
	s_min_u32 s37, s37, 32
	s_lshl_b64 s[38:39], s[20:21], s37
	s_sub_i32 s37, 32, s37
	s_min_u32 s38, s38, 1
	s_delay_alu instid0(SALU_CYCLE_1) | instskip(SKIP_3) | instid1(SALU_CYCLE_1)
	s_or_b32 s38, s39, s38
	s_add_u32 s20, s20, 2
	v_cvt_f32_u32_e32 v6, s38
	s_addc_u32 s21, s21, 0
	v_cmp_ge_u64_e32 vcc_lo, s[20:21], v[1:2]
	s_delay_alu instid0(VALU_DEP_2) | instskip(SKIP_1) | instid1(VALU_DEP_1)
	v_ldexp_f32 v6, v6, s37
	s_or_b32 s36, vcc_lo, s36
	v_dual_mul_f32 v6, v3, v6 :: v_dual_mov_b32 v3, v4
	s_delay_alu instid0(VALU_DEP_1)
	v_fma_f32 v4, v5, v4, -v6
	s_and_not1_b32 exec_lo, exec_lo, s36
	s_cbranch_execnz .LBB45_114
; %bb.115:
	s_or_b32 exec_lo, exec_lo, s36
.LBB45_116:
	s_delay_alu instid0(SALU_CYCLE_1)
	s_or_b32 exec_lo, exec_lo, s35
                                        ; implicit-def: $vgpr1
.LBB45_117:
	s_and_not1_saveexec_b32 s20, s34
	s_cbranch_execz .LBB45_119
; %bb.118:
	s_waitcnt vmcnt(0)
	v_add_f32_e32 v4, v1, v1
.LBB45_119:
	s_or_b32 exec_lo, exec_lo, s20
.LBB45_120:
	s_delay_alu instid0(SALU_CYCLE_1)
	s_or_b32 exec_lo, exec_lo, s33
.LBB45_121:
	s_delay_alu instid0(SALU_CYCLE_1) | instskip(SKIP_3) | instid1(SALU_CYCLE_1)
	s_or_b32 exec_lo, exec_lo, s31
	v_add_nc_u32_e32 v7, 0x80, v7
	global_store_b32 v0, v4, s[4:5]
	s_or_b32 exec_lo, exec_lo, s30
	s_mov_b32 s30, exec_lo
	v_cmpx_gt_i32_e64 s28, v7
	s_cbranch_execnz .LBB45_16
.LBB45_122:
	s_or_b32 exec_lo, exec_lo, s30
	s_delay_alu instid0(SALU_CYCLE_1)
	s_mov_b32 s30, exec_lo
	v_cmpx_gt_i32_e64 s28, v7
	s_cbranch_execz .LBB45_146
.LBB45_123:
	s_and_not1_b32 vcc_lo, exec_lo, s24
	s_cbranch_vccnz .LBB45_149
; %bb.124:
	s_waitcnt vmcnt(0)
	v_dual_mov_b32 v0, 0 :: v_dual_mov_b32 v1, 0
	v_mov_b32_e32 v2, 0
	s_and_not1_b32 vcc_lo, exec_lo, s29
	s_mov_b32 s31, 0
	s_cbranch_vccnz .LBB45_150
; %bb.125:
	s_add_i32 s20, s27, 1
	v_dual_mov_b32 v2, 0 :: v_dual_mov_b32 v1, 0
	v_dual_mov_b32 v0, 0 :: v_dual_mov_b32 v3, v7
	s_and_b32 s33, s20, 30
	s_add_u32 s20, s0, 0xffffffec
	s_addc_u32 s21, s1, -1
	s_set_inst_prefetch_distance 0x1
	.p2align	6
.LBB45_126:                             ; =>This Inner Loop Header: Depth=1
	s_clause 0x2
	s_load_b128 s[36:39], s[20:21], 0x18
	s_load_b64 s[34:35], s[20:21], 0x28
	s_load_b128 s[40:43], s[20:21], 0xd8
	s_waitcnt lgkmcnt(0)
	v_mul_hi_u32 v4, s37, v3
	s_delay_alu instid0(VALU_DEP_1) | instskip(NEXT) | instid1(VALU_DEP_1)
	v_add_nc_u32_e32 v4, v3, v4
	v_lshrrev_b32_e32 v4, s38, v4
	s_delay_alu instid0(VALU_DEP_1)
	v_mul_hi_u32 v5, s34, v4
	v_mul_lo_u32 v6, v4, s36
	s_load_b64 s[36:37], s[20:21], 0xe8
	s_add_u32 s20, s20, 24
	s_addc_u32 s21, s21, 0
	s_add_i32 s33, s33, -2
	s_delay_alu instid0(SALU_CYCLE_1) | instskip(NEXT) | instid1(VALU_DEP_2)
	s_cmp_eq_u32 s33, 0
	v_add_nc_u32_e32 v5, v4, v5
	s_delay_alu instid0(VALU_DEP_2) | instskip(NEXT) | instid1(VALU_DEP_2)
	v_sub_nc_u32_e32 v6, v3, v6
	v_lshrrev_b32_e32 v3, s35, v5
	s_delay_alu instid0(VALU_DEP_2) | instskip(NEXT) | instid1(VALU_DEP_2)
	v_mul_lo_u32 v8, v6, s40
	v_mul_lo_u32 v5, v3, s39
	s_delay_alu instid0(VALU_DEP_1) | instskip(SKIP_2) | instid1(VALU_DEP_3)
	v_sub_nc_u32_e32 v4, v4, v5
	v_mul_lo_u32 v5, v6, s41
	v_mul_lo_u32 v6, v6, s42
	;; [unrolled: 1-line block ×3, first 2 shown]
	s_waitcnt lgkmcnt(0)
	v_mul_lo_u32 v10, v4, s36
	v_mul_lo_u32 v4, v4, s37
	s_delay_alu instid0(VALU_DEP_3) | instskip(NEXT) | instid1(VALU_DEP_3)
	v_add3_u32 v0, v8, v0, v9
	v_add3_u32 v1, v5, v1, v10
	s_delay_alu instid0(VALU_DEP_3)
	v_add3_u32 v2, v6, v2, v4
	s_cbranch_scc0 .LBB45_126
; %bb.127:
	s_set_inst_prefetch_distance 0x2
	s_bitcmp1_b32 s27, 0
	s_cselect_b32 s33, -1, 0
	s_delay_alu instid0(SALU_CYCLE_1)
	s_and_b32 vcc_lo, exec_lo, s33
	s_cbranch_vccnz .LBB45_150
; %bb.128:
	s_clause 0x3
	s_load_b64 s[34:35], s[20:21], 0x18
	s_load_b32 s33, s[20:21], 0x20
	s_load_b64 s[36:37], s[20:21], 0xd8
	s_load_b32 s20, s[20:21], 0xe0
	s_waitcnt lgkmcnt(0)
	v_mul_hi_u32 v4, s35, v3
	s_delay_alu instid0(VALU_DEP_1) | instskip(NEXT) | instid1(VALU_DEP_1)
	v_add_nc_u32_e32 v4, v3, v4
	v_lshrrev_b32_e32 v4, s33, v4
	s_delay_alu instid0(VALU_DEP_1) | instskip(NEXT) | instid1(VALU_DEP_1)
	v_mul_lo_u32 v4, v4, s34
	v_sub_nc_u32_e32 v8, v3, v4
	s_delay_alu instid0(VALU_DEP_1) | instskip(SKIP_1) | instid1(VALU_DEP_2)
	v_mad_u64_u32 v[3:4], null, v8, s36, v[0:1]
	v_mad_u64_u32 v[4:5], null, v8, s37, v[1:2]
	;; [unrolled: 1-line block ×3, first 2 shown]
	s_delay_alu instid0(VALU_DEP_2) | instskip(NEXT) | instid1(VALU_DEP_2)
	v_dual_mov_b32 v0, v3 :: v_dual_mov_b32 v1, v4
	v_mov_b32_e32 v2, v5
	s_branch .LBB45_150
.LBB45_129:
	s_mov_b32 s31, -1
                                        ; implicit-def: $vgpr0
                                        ; implicit-def: $vgpr1
                                        ; implicit-def: $vgpr2
.LBB45_130:
	s_delay_alu instid0(SALU_CYCLE_1)
	s_and_not1_b32 vcc_lo, exec_lo, s31
	s_cbranch_vccnz .LBB45_133
; %bb.131:
	s_waitcnt lgkmcnt(0)
	v_mul_hi_u32 v0, s13, v7
	s_and_not1_b32 vcc_lo, exec_lo, s26
	s_delay_alu instid0(VALU_DEP_1) | instskip(NEXT) | instid1(VALU_DEP_1)
	v_add_nc_u32_e32 v0, v7, v0
	v_lshrrev_b32_e32 v3, s14, v0
	s_delay_alu instid0(VALU_DEP_1) | instskip(NEXT) | instid1(VALU_DEP_1)
	v_mul_lo_u32 v0, v3, s12
	v_sub_nc_u32_e32 v2, v7, v0
	s_delay_alu instid0(VALU_DEP_1)
	v_mul_lo_u32 v0, v2, s8
	s_waitcnt vmcnt(0)
	v_mul_lo_u32 v1, v2, s9
	v_mul_lo_u32 v2, v2, s10
	s_cbranch_vccnz .LBB45_133
; %bb.132:
	v_mul_hi_u32 v4, s18, v3
	s_delay_alu instid0(VALU_DEP_1) | instskip(NEXT) | instid1(VALU_DEP_1)
	v_add_nc_u32_e32 v4, v3, v4
	v_lshrrev_b32_e32 v4, s19, v4
	s_delay_alu instid0(VALU_DEP_1) | instskip(NEXT) | instid1(VALU_DEP_1)
	v_mul_lo_u32 v4, v4, s15
	v_sub_nc_u32_e32 v8, v3, v4
	s_delay_alu instid0(VALU_DEP_1) | instskip(SKIP_1) | instid1(VALU_DEP_2)
	v_mad_u64_u32 v[3:4], null, v8, s11, v[0:1]
	v_mad_u64_u32 v[4:5], null, v8, s16, v[1:2]
	;; [unrolled: 1-line block ×3, first 2 shown]
	s_delay_alu instid0(VALU_DEP_2) | instskip(NEXT) | instid1(VALU_DEP_2)
	v_dual_mov_b32 v0, v3 :: v_dual_mov_b32 v1, v4
	v_mov_b32_e32 v2, v5
.LBB45_133:
	s_waitcnt lgkmcnt(0)
	global_load_b32 v2, v2, s[2:3]
	s_mov_b32 s31, exec_lo
	s_waitcnt vmcnt(0)
	v_trunc_f32_e32 v3, v2
	s_delay_alu instid0(VALU_DEP_1) | instskip(NEXT) | instid1(VALU_DEP_1)
	v_mul_f32_e64 v4, 0x2f800000, |v3|
	v_floor_f32_e32 v4, v4
	s_delay_alu instid0(VALU_DEP_1) | instskip(SKIP_2) | instid1(VALU_DEP_3)
	v_fma_f32 v5, 0xcf800000, v4, |v3|
	v_ashrrev_i32_e32 v3, 31, v3
	v_cvt_u32_f32_e32 v4, v4
	v_cvt_u32_f32_e32 v5, v5
	s_delay_alu instid0(VALU_DEP_2) | instskip(NEXT) | instid1(VALU_DEP_2)
	v_xor_b32_e32 v4, v4, v3
	v_xor_b32_e32 v5, v5, v3
	s_delay_alu instid0(VALU_DEP_1) | instskip(NEXT) | instid1(VALU_DEP_3)
	v_sub_co_u32 v5, vcc_lo, v5, v3
	v_sub_co_ci_u32_e32 v3, vcc_lo, v4, v3, vcc_lo
	v_cmp_class_f32_e64 vcc_lo, v2, 0x1f8
	s_delay_alu instid0(VALU_DEP_2) | instskip(NEXT) | instid1(VALU_DEP_4)
	v_dual_mov_b32 v4, 0 :: v_dual_cndmask_b32 v3, -1, v3
	v_cndmask_b32_e32 v2, -1, v5, vcc_lo
	s_delay_alu instid0(VALU_DEP_1)
	v_cmpx_lt_i64_e32 -1, v[2:3]
	s_cbranch_execz .LBB45_145
; %bb.134:
	v_mov_b32_e32 v4, 1.0
	s_mov_b32 s33, exec_lo
	v_cmpx_lt_i64_e32 0, v[2:3]
	s_cbranch_execz .LBB45_144
; %bb.135:
	global_load_b32 v1, v1, s[6:7]
                                        ; implicit-def: $vgpr4
	s_mov_b32 s20, exec_lo
	v_cmpx_ne_u64_e32 1, v[2:3]
	s_xor_b32 s34, exec_lo, s20
	s_cbranch_execz .LBB45_141
; %bb.136:
	v_mov_b32_e32 v4, 0x7fc00000
	s_mov_b32 s35, exec_lo
	v_cmpx_gt_u64_e32 0x81, v[2:3]
	s_cbranch_execz .LBB45_140
; %bb.137:
	s_waitcnt vmcnt(0)
	v_add_f32_e32 v5, v1, v1
	v_lshlrev_b64 v[1:2], 1, v[2:3]
	v_mov_b32_e32 v3, 1.0
	s_mov_b64 s[20:21], 2
	s_mov_b32 s36, 0
	v_mov_b32_e32 v4, v5
	.p2align	6
.LBB45_138:                             ; =>This Inner Loop Header: Depth=1
	s_clz_i32_u32 s37, s21
	s_delay_alu instid0(SALU_CYCLE_1) | instskip(NEXT) | instid1(SALU_CYCLE_1)
	s_min_u32 s37, s37, 32
	s_lshl_b64 s[38:39], s[20:21], s37
	s_sub_i32 s37, 32, s37
	s_min_u32 s38, s38, 1
	s_delay_alu instid0(SALU_CYCLE_1) | instskip(SKIP_3) | instid1(SALU_CYCLE_1)
	s_or_b32 s38, s39, s38
	s_add_u32 s20, s20, 2
	v_cvt_f32_u32_e32 v6, s38
	s_addc_u32 s21, s21, 0
	v_cmp_ge_u64_e32 vcc_lo, s[20:21], v[1:2]
	s_delay_alu instid0(VALU_DEP_2) | instskip(SKIP_1) | instid1(VALU_DEP_1)
	v_ldexp_f32 v6, v6, s37
	s_or_b32 s36, vcc_lo, s36
	v_dual_mul_f32 v6, v3, v6 :: v_dual_mov_b32 v3, v4
	s_delay_alu instid0(VALU_DEP_1)
	v_fma_f32 v4, v5, v4, -v6
	s_and_not1_b32 exec_lo, exec_lo, s36
	s_cbranch_execnz .LBB45_138
; %bb.139:
	s_or_b32 exec_lo, exec_lo, s36
.LBB45_140:
	s_delay_alu instid0(SALU_CYCLE_1)
	s_or_b32 exec_lo, exec_lo, s35
                                        ; implicit-def: $vgpr1
.LBB45_141:
	s_and_not1_saveexec_b32 s20, s34
	s_cbranch_execz .LBB45_143
; %bb.142:
	s_waitcnt vmcnt(0)
	v_add_f32_e32 v4, v1, v1
.LBB45_143:
	s_or_b32 exec_lo, exec_lo, s20
.LBB45_144:
	s_delay_alu instid0(SALU_CYCLE_1)
	s_or_b32 exec_lo, exec_lo, s33
.LBB45_145:
	s_delay_alu instid0(SALU_CYCLE_1) | instskip(SKIP_3) | instid1(SALU_CYCLE_1)
	s_or_b32 exec_lo, exec_lo, s31
	v_add_nc_u32_e32 v7, 0x80, v7
	global_store_b32 v0, v4, s[4:5]
	s_or_b32 exec_lo, exec_lo, s30
	s_mov_b32 s30, exec_lo
	v_cmpx_gt_i32_e64 s28, v7
	s_cbranch_execnz .LBB45_123
.LBB45_146:
	s_or_b32 exec_lo, exec_lo, s30
	v_cmp_gt_i32_e32 vcc_lo, s28, v7
	s_and_saveexec_b32 s28, vcc_lo
	s_cbranch_execnz .LBB45_166
.LBB45_147:
	s_or_b32 exec_lo, exec_lo, s28
                                        ; implicit-def: $vgpr12
                                        ; implicit-def: $vgpr7
	s_waitcnt lgkmcnt(0)
	s_and_not1_saveexec_b32 s2, s25
	s_cbranch_execnz .LBB45_9
.LBB45_148:
	s_nop 0
	s_sendmsg sendmsg(MSG_DEALLOC_VGPRS)
	s_endpgm
.LBB45_149:
	s_mov_b32 s31, -1
                                        ; implicit-def: $vgpr0
                                        ; implicit-def: $vgpr1
                                        ; implicit-def: $vgpr2
.LBB45_150:
	s_delay_alu instid0(SALU_CYCLE_1)
	s_and_not1_b32 vcc_lo, exec_lo, s31
	s_cbranch_vccnz .LBB45_153
; %bb.151:
	s_waitcnt lgkmcnt(0)
	v_mul_hi_u32 v0, s13, v7
	s_and_not1_b32 vcc_lo, exec_lo, s26
	s_delay_alu instid0(VALU_DEP_1) | instskip(NEXT) | instid1(VALU_DEP_1)
	v_add_nc_u32_e32 v0, v7, v0
	v_lshrrev_b32_e32 v3, s14, v0
	s_delay_alu instid0(VALU_DEP_1) | instskip(NEXT) | instid1(VALU_DEP_1)
	v_mul_lo_u32 v0, v3, s12
	v_sub_nc_u32_e32 v2, v7, v0
	s_delay_alu instid0(VALU_DEP_1)
	v_mul_lo_u32 v0, v2, s8
	s_waitcnt vmcnt(0)
	v_mul_lo_u32 v1, v2, s9
	v_mul_lo_u32 v2, v2, s10
	s_cbranch_vccnz .LBB45_153
; %bb.152:
	v_mul_hi_u32 v4, s18, v3
	s_delay_alu instid0(VALU_DEP_1) | instskip(NEXT) | instid1(VALU_DEP_1)
	v_add_nc_u32_e32 v4, v3, v4
	v_lshrrev_b32_e32 v4, s19, v4
	s_delay_alu instid0(VALU_DEP_1) | instskip(NEXT) | instid1(VALU_DEP_1)
	v_mul_lo_u32 v4, v4, s15
	v_sub_nc_u32_e32 v8, v3, v4
	s_delay_alu instid0(VALU_DEP_1) | instskip(SKIP_1) | instid1(VALU_DEP_2)
	v_mad_u64_u32 v[3:4], null, v8, s11, v[0:1]
	v_mad_u64_u32 v[4:5], null, v8, s16, v[1:2]
	;; [unrolled: 1-line block ×3, first 2 shown]
	s_delay_alu instid0(VALU_DEP_2) | instskip(NEXT) | instid1(VALU_DEP_2)
	v_dual_mov_b32 v0, v3 :: v_dual_mov_b32 v1, v4
	v_mov_b32_e32 v2, v5
.LBB45_153:
	s_waitcnt lgkmcnt(0)
	global_load_b32 v2, v2, s[2:3]
	s_mov_b32 s31, exec_lo
	s_waitcnt vmcnt(0)
	v_trunc_f32_e32 v3, v2
	s_delay_alu instid0(VALU_DEP_1) | instskip(NEXT) | instid1(VALU_DEP_1)
	v_mul_f32_e64 v4, 0x2f800000, |v3|
	v_floor_f32_e32 v4, v4
	s_delay_alu instid0(VALU_DEP_1) | instskip(SKIP_2) | instid1(VALU_DEP_3)
	v_fma_f32 v5, 0xcf800000, v4, |v3|
	v_ashrrev_i32_e32 v3, 31, v3
	v_cvt_u32_f32_e32 v4, v4
	v_cvt_u32_f32_e32 v5, v5
	s_delay_alu instid0(VALU_DEP_2) | instskip(NEXT) | instid1(VALU_DEP_2)
	v_xor_b32_e32 v4, v4, v3
	v_xor_b32_e32 v5, v5, v3
	s_delay_alu instid0(VALU_DEP_1) | instskip(NEXT) | instid1(VALU_DEP_3)
	v_sub_co_u32 v5, vcc_lo, v5, v3
	v_sub_co_ci_u32_e32 v3, vcc_lo, v4, v3, vcc_lo
	v_cmp_class_f32_e64 vcc_lo, v2, 0x1f8
	s_delay_alu instid0(VALU_DEP_2) | instskip(NEXT) | instid1(VALU_DEP_4)
	v_dual_mov_b32 v4, 0 :: v_dual_cndmask_b32 v3, -1, v3
	v_cndmask_b32_e32 v2, -1, v5, vcc_lo
	s_delay_alu instid0(VALU_DEP_1)
	v_cmpx_lt_i64_e32 -1, v[2:3]
	s_cbranch_execz .LBB45_165
; %bb.154:
	v_mov_b32_e32 v4, 1.0
	s_mov_b32 s33, exec_lo
	v_cmpx_lt_i64_e32 0, v[2:3]
	s_cbranch_execz .LBB45_164
; %bb.155:
	global_load_b32 v1, v1, s[6:7]
                                        ; implicit-def: $vgpr4
	s_mov_b32 s20, exec_lo
	v_cmpx_ne_u64_e32 1, v[2:3]
	s_xor_b32 s34, exec_lo, s20
	s_cbranch_execz .LBB45_161
; %bb.156:
	v_mov_b32_e32 v4, 0x7fc00000
	s_mov_b32 s35, exec_lo
	v_cmpx_gt_u64_e32 0x81, v[2:3]
	s_cbranch_execz .LBB45_160
; %bb.157:
	s_waitcnt vmcnt(0)
	v_add_f32_e32 v5, v1, v1
	v_lshlrev_b64 v[1:2], 1, v[2:3]
	v_mov_b32_e32 v3, 1.0
	s_mov_b64 s[20:21], 2
	s_mov_b32 s36, 0
	v_mov_b32_e32 v4, v5
	.p2align	6
.LBB45_158:                             ; =>This Inner Loop Header: Depth=1
	s_clz_i32_u32 s37, s21
	s_delay_alu instid0(SALU_CYCLE_1) | instskip(NEXT) | instid1(SALU_CYCLE_1)
	s_min_u32 s37, s37, 32
	s_lshl_b64 s[38:39], s[20:21], s37
	s_sub_i32 s37, 32, s37
	s_min_u32 s38, s38, 1
	s_delay_alu instid0(SALU_CYCLE_1) | instskip(SKIP_3) | instid1(SALU_CYCLE_1)
	s_or_b32 s38, s39, s38
	s_add_u32 s20, s20, 2
	v_cvt_f32_u32_e32 v6, s38
	s_addc_u32 s21, s21, 0
	v_cmp_ge_u64_e32 vcc_lo, s[20:21], v[1:2]
	s_delay_alu instid0(VALU_DEP_2) | instskip(SKIP_1) | instid1(VALU_DEP_1)
	v_ldexp_f32 v6, v6, s37
	s_or_b32 s36, vcc_lo, s36
	v_dual_mul_f32 v6, v3, v6 :: v_dual_mov_b32 v3, v4
	s_delay_alu instid0(VALU_DEP_1)
	v_fma_f32 v4, v5, v4, -v6
	s_and_not1_b32 exec_lo, exec_lo, s36
	s_cbranch_execnz .LBB45_158
; %bb.159:
	s_or_b32 exec_lo, exec_lo, s36
.LBB45_160:
	s_delay_alu instid0(SALU_CYCLE_1)
	s_or_b32 exec_lo, exec_lo, s35
                                        ; implicit-def: $vgpr1
.LBB45_161:
	s_and_not1_saveexec_b32 s20, s34
	s_cbranch_execz .LBB45_163
; %bb.162:
	s_waitcnt vmcnt(0)
	v_add_f32_e32 v4, v1, v1
.LBB45_163:
	s_or_b32 exec_lo, exec_lo, s20
.LBB45_164:
	s_delay_alu instid0(SALU_CYCLE_1)
	s_or_b32 exec_lo, exec_lo, s33
.LBB45_165:
	s_delay_alu instid0(SALU_CYCLE_1)
	s_or_b32 exec_lo, exec_lo, s31
	v_add_nc_u32_e32 v7, 0x80, v7
	global_store_b32 v0, v4, s[4:5]
	s_or_b32 exec_lo, exec_lo, s30
	v_cmp_gt_i32_e32 vcc_lo, s28, v7
	s_and_saveexec_b32 s28, vcc_lo
	s_cbranch_execz .LBB45_147
.LBB45_166:
	s_and_not1_b32 vcc_lo, exec_lo, s24
	s_cbranch_vccnz .LBB45_172
; %bb.167:
	s_waitcnt vmcnt(0)
	v_dual_mov_b32 v0, 0 :: v_dual_mov_b32 v1, 0
	v_mov_b32_e32 v2, 0
	s_and_not1_b32 vcc_lo, exec_lo, s29
	s_mov_b32 s29, 0
	s_cbranch_vccnz .LBB45_173
; %bb.168:
	s_add_i32 s20, s27, 1
	v_dual_mov_b32 v2, 0 :: v_dual_mov_b32 v1, 0
	v_dual_mov_b32 v0, 0 :: v_dual_mov_b32 v3, v7
	s_and_b32 s30, s20, 30
	s_add_u32 s20, s0, 0xffffffec
	s_addc_u32 s21, s1, -1
	s_set_inst_prefetch_distance 0x1
	.p2align	6
.LBB45_169:                             ; =>This Inner Loop Header: Depth=1
	s_clause 0x2
	s_load_b128 s[36:39], s[20:21], 0x18
	s_load_b64 s[34:35], s[20:21], 0x28
	s_load_b128 s[40:43], s[20:21], 0xd8
	s_waitcnt lgkmcnt(0)
	v_mul_hi_u32 v4, s37, v3
	s_delay_alu instid0(VALU_DEP_1) | instskip(NEXT) | instid1(VALU_DEP_1)
	v_add_nc_u32_e32 v4, v3, v4
	v_lshrrev_b32_e32 v4, s38, v4
	s_delay_alu instid0(VALU_DEP_1)
	v_mul_hi_u32 v5, s34, v4
	v_mul_lo_u32 v6, v4, s36
	s_load_b64 s[36:37], s[20:21], 0xe8
	s_add_u32 s20, s20, 24
	s_addc_u32 s21, s21, 0
	s_add_i32 s30, s30, -2
	s_delay_alu instid0(SALU_CYCLE_1) | instskip(NEXT) | instid1(VALU_DEP_2)
	s_cmp_eq_u32 s30, 0
	v_add_nc_u32_e32 v5, v4, v5
	s_delay_alu instid0(VALU_DEP_2) | instskip(NEXT) | instid1(VALU_DEP_2)
	v_sub_nc_u32_e32 v6, v3, v6
	v_lshrrev_b32_e32 v3, s35, v5
	s_delay_alu instid0(VALU_DEP_2) | instskip(NEXT) | instid1(VALU_DEP_2)
	v_mul_lo_u32 v8, v6, s40
	v_mul_lo_u32 v5, v3, s39
	s_delay_alu instid0(VALU_DEP_1) | instskip(SKIP_2) | instid1(VALU_DEP_3)
	v_sub_nc_u32_e32 v4, v4, v5
	v_mul_lo_u32 v5, v6, s41
	v_mul_lo_u32 v6, v6, s42
	;; [unrolled: 1-line block ×3, first 2 shown]
	s_waitcnt lgkmcnt(0)
	v_mul_lo_u32 v10, v4, s36
	v_mul_lo_u32 v4, v4, s37
	s_delay_alu instid0(VALU_DEP_3) | instskip(NEXT) | instid1(VALU_DEP_3)
	v_add3_u32 v0, v8, v0, v9
	v_add3_u32 v1, v5, v1, v10
	s_delay_alu instid0(VALU_DEP_3)
	v_add3_u32 v2, v6, v2, v4
	s_cbranch_scc0 .LBB45_169
; %bb.170:
	s_set_inst_prefetch_distance 0x2
	s_bitcmp1_b32 s27, 0
	s_cselect_b32 s27, -1, 0
	s_delay_alu instid0(SALU_CYCLE_1)
	s_and_b32 vcc_lo, exec_lo, s27
	s_cbranch_vccnz .LBB45_173
; %bb.171:
	s_clause 0x3
	s_load_b64 s[30:31], s[20:21], 0x18
	s_load_b32 s27, s[20:21], 0x20
	s_load_b64 s[34:35], s[20:21], 0xd8
	s_load_b32 s20, s[20:21], 0xe0
	s_waitcnt lgkmcnt(0)
	v_mul_hi_u32 v4, s31, v3
	s_delay_alu instid0(VALU_DEP_1) | instskip(NEXT) | instid1(VALU_DEP_1)
	v_add_nc_u32_e32 v4, v3, v4
	v_lshrrev_b32_e32 v4, s27, v4
	s_delay_alu instid0(VALU_DEP_1) | instskip(NEXT) | instid1(VALU_DEP_1)
	v_mul_lo_u32 v4, v4, s30
	v_sub_nc_u32_e32 v8, v3, v4
	s_delay_alu instid0(VALU_DEP_1) | instskip(SKIP_1) | instid1(VALU_DEP_2)
	v_mad_u64_u32 v[3:4], null, v8, s34, v[0:1]
	v_mad_u64_u32 v[4:5], null, v8, s35, v[1:2]
	;; [unrolled: 1-line block ×3, first 2 shown]
	s_delay_alu instid0(VALU_DEP_2) | instskip(NEXT) | instid1(VALU_DEP_2)
	v_dual_mov_b32 v0, v3 :: v_dual_mov_b32 v1, v4
	v_mov_b32_e32 v2, v5
	s_branch .LBB45_173
.LBB45_172:
	s_mov_b32 s29, -1
                                        ; implicit-def: $vgpr0
                                        ; implicit-def: $vgpr1
                                        ; implicit-def: $vgpr2
.LBB45_173:
	s_delay_alu instid0(SALU_CYCLE_1)
	s_and_not1_b32 vcc_lo, exec_lo, s29
	s_cbranch_vccnz .LBB45_176
; %bb.174:
	s_waitcnt lgkmcnt(0)
	v_mul_hi_u32 v0, s13, v7
	s_and_not1_b32 vcc_lo, exec_lo, s26
	s_delay_alu instid0(VALU_DEP_1) | instskip(NEXT) | instid1(VALU_DEP_1)
	v_add_nc_u32_e32 v0, v7, v0
	v_lshrrev_b32_e32 v3, s14, v0
	s_delay_alu instid0(VALU_DEP_1) | instskip(NEXT) | instid1(VALU_DEP_1)
	v_mul_lo_u32 v0, v3, s12
	v_sub_nc_u32_e32 v2, v7, v0
	s_delay_alu instid0(VALU_DEP_1)
	v_mul_lo_u32 v0, v2, s8
	s_waitcnt vmcnt(0)
	v_mul_lo_u32 v1, v2, s9
	v_mul_lo_u32 v2, v2, s10
	s_cbranch_vccnz .LBB45_176
; %bb.175:
	v_mul_hi_u32 v4, s18, v3
	s_delay_alu instid0(VALU_DEP_1) | instskip(NEXT) | instid1(VALU_DEP_1)
	v_add_nc_u32_e32 v4, v3, v4
	v_lshrrev_b32_e32 v4, s19, v4
	s_delay_alu instid0(VALU_DEP_1) | instskip(NEXT) | instid1(VALU_DEP_1)
	v_mul_lo_u32 v4, v4, s15
	v_sub_nc_u32_e32 v7, v3, v4
	s_delay_alu instid0(VALU_DEP_1) | instskip(SKIP_1) | instid1(VALU_DEP_2)
	v_mad_u64_u32 v[3:4], null, v7, s11, v[0:1]
	v_mad_u64_u32 v[4:5], null, v7, s16, v[1:2]
	;; [unrolled: 1-line block ×3, first 2 shown]
	s_delay_alu instid0(VALU_DEP_2) | instskip(NEXT) | instid1(VALU_DEP_2)
	v_dual_mov_b32 v0, v3 :: v_dual_mov_b32 v1, v4
	v_mov_b32_e32 v2, v5
.LBB45_176:
	s_waitcnt lgkmcnt(0)
	global_load_b32 v2, v2, s[2:3]
	s_mov_b32 s8, exec_lo
	s_waitcnt vmcnt(0)
	v_trunc_f32_e32 v3, v2
	s_delay_alu instid0(VALU_DEP_1) | instskip(NEXT) | instid1(VALU_DEP_1)
	v_mul_f32_e64 v4, 0x2f800000, |v3|
	v_floor_f32_e32 v4, v4
	s_delay_alu instid0(VALU_DEP_1) | instskip(SKIP_2) | instid1(VALU_DEP_3)
	v_fma_f32 v5, 0xcf800000, v4, |v3|
	v_ashrrev_i32_e32 v3, 31, v3
	v_cvt_u32_f32_e32 v4, v4
	v_cvt_u32_f32_e32 v5, v5
	s_delay_alu instid0(VALU_DEP_2) | instskip(NEXT) | instid1(VALU_DEP_2)
	v_xor_b32_e32 v4, v4, v3
	v_xor_b32_e32 v5, v5, v3
	s_delay_alu instid0(VALU_DEP_1) | instskip(NEXT) | instid1(VALU_DEP_3)
	v_sub_co_u32 v5, vcc_lo, v5, v3
	v_sub_co_ci_u32_e32 v3, vcc_lo, v4, v3, vcc_lo
	v_cmp_class_f32_e64 vcc_lo, v2, 0x1f8
	s_delay_alu instid0(VALU_DEP_2) | instskip(NEXT) | instid1(VALU_DEP_4)
	v_dual_mov_b32 v4, 0 :: v_dual_cndmask_b32 v3, -1, v3
	v_cndmask_b32_e32 v2, -1, v5, vcc_lo
	s_delay_alu instid0(VALU_DEP_1)
	v_cmpx_lt_i64_e32 -1, v[2:3]
	s_cbranch_execz .LBB45_188
; %bb.177:
	v_mov_b32_e32 v4, 1.0
	s_mov_b32 s9, exec_lo
	v_cmpx_lt_i64_e32 0, v[2:3]
	s_cbranch_execz .LBB45_187
; %bb.178:
	global_load_b32 v1, v1, s[6:7]
                                        ; implicit-def: $vgpr4
	s_mov_b32 s2, exec_lo
	v_cmpx_ne_u64_e32 1, v[2:3]
	s_xor_b32 s6, exec_lo, s2
	s_cbranch_execz .LBB45_184
; %bb.179:
	v_mov_b32_e32 v4, 0x7fc00000
	s_mov_b32 s7, exec_lo
	v_cmpx_gt_u64_e32 0x81, v[2:3]
	s_cbranch_execz .LBB45_183
; %bb.180:
	s_waitcnt vmcnt(0)
	v_add_f32_e32 v5, v1, v1
	v_lshlrev_b64 v[1:2], 1, v[2:3]
	v_mov_b32_e32 v3, 1.0
	s_mov_b64 s[2:3], 2
	s_mov_b32 s10, 0
	v_mov_b32_e32 v4, v5
	.p2align	6
.LBB45_181:                             ; =>This Inner Loop Header: Depth=1
	s_clz_i32_u32 s11, s3
	s_delay_alu instid0(SALU_CYCLE_1) | instskip(NEXT) | instid1(SALU_CYCLE_1)
	s_min_u32 s11, s11, 32
	s_lshl_b64 s[12:13], s[2:3], s11
	s_sub_i32 s11, 32, s11
	s_min_u32 s12, s12, 1
	s_delay_alu instid0(SALU_CYCLE_1) | instskip(SKIP_3) | instid1(SALU_CYCLE_1)
	s_or_b32 s12, s13, s12
	s_add_u32 s2, s2, 2
	v_cvt_f32_u32_e32 v6, s12
	s_addc_u32 s3, s3, 0
	v_cmp_ge_u64_e32 vcc_lo, s[2:3], v[1:2]
	s_delay_alu instid0(VALU_DEP_2) | instskip(SKIP_1) | instid1(VALU_DEP_1)
	v_ldexp_f32 v6, v6, s11
	s_or_b32 s10, vcc_lo, s10
	v_dual_mul_f32 v6, v3, v6 :: v_dual_mov_b32 v3, v4
	s_delay_alu instid0(VALU_DEP_1)
	v_fma_f32 v4, v5, v4, -v6
	s_and_not1_b32 exec_lo, exec_lo, s10
	s_cbranch_execnz .LBB45_181
; %bb.182:
	s_or_b32 exec_lo, exec_lo, s10
.LBB45_183:
	s_delay_alu instid0(SALU_CYCLE_1)
	s_or_b32 exec_lo, exec_lo, s7
                                        ; implicit-def: $vgpr1
.LBB45_184:
	s_and_not1_saveexec_b32 s2, s6
	s_cbranch_execz .LBB45_186
; %bb.185:
	s_waitcnt vmcnt(0)
	v_add_f32_e32 v4, v1, v1
.LBB45_186:
	s_or_b32 exec_lo, exec_lo, s2
.LBB45_187:
	s_delay_alu instid0(SALU_CYCLE_1)
	s_or_b32 exec_lo, exec_lo, s9
.LBB45_188:
	s_delay_alu instid0(SALU_CYCLE_1)
	s_or_b32 exec_lo, exec_lo, s8
	global_store_b32 v0, v4, s[4:5]
	s_or_b32 exec_lo, exec_lo, s28
                                        ; implicit-def: $vgpr12
                                        ; implicit-def: $vgpr7
	s_and_not1_saveexec_b32 s2, s25
	s_cbranch_execz .LBB45_148
	s_branch .LBB45_9
	.section	.rodata,"a",@progbits
	.p2align	6, 0x0
	.amdhsa_kernel _ZN2at6native32elementwise_kernel_manual_unrollILi128ELi4EZNS0_22gpu_kernel_impl_nocastINS0_13BinaryFunctorIfffZZZNS0_12_GLOBAL__N_132hermite_polynomial_h_kernel_cudaERNS_18TensorIteratorBaseEENKUlvE_clEvENKUlvE0_clEvEUlffE_EEEEvS6_RKT_EUlibE_EEviT1_
		.amdhsa_group_segment_fixed_size 0
		.amdhsa_private_segment_fixed_size 0
		.amdhsa_kernarg_size 432
		.amdhsa_user_sgpr_count 15
		.amdhsa_user_sgpr_dispatch_ptr 0
		.amdhsa_user_sgpr_queue_ptr 0
		.amdhsa_user_sgpr_kernarg_segment_ptr 1
		.amdhsa_user_sgpr_dispatch_id 0
		.amdhsa_user_sgpr_private_segment_size 0
		.amdhsa_wavefront_size32 1
		.amdhsa_uses_dynamic_stack 0
		.amdhsa_enable_private_segment 0
		.amdhsa_system_sgpr_workgroup_id_x 1
		.amdhsa_system_sgpr_workgroup_id_y 0
		.amdhsa_system_sgpr_workgroup_id_z 0
		.amdhsa_system_sgpr_workgroup_info 0
		.amdhsa_system_vgpr_workitem_id 0
		.amdhsa_next_free_vgpr 20
		.amdhsa_next_free_sgpr 44
		.amdhsa_reserve_vcc 1
		.amdhsa_float_round_mode_32 0
		.amdhsa_float_round_mode_16_64 0
		.amdhsa_float_denorm_mode_32 3
		.amdhsa_float_denorm_mode_16_64 3
		.amdhsa_dx10_clamp 1
		.amdhsa_ieee_mode 1
		.amdhsa_fp16_overflow 0
		.amdhsa_workgroup_processor_mode 1
		.amdhsa_memory_ordered 1
		.amdhsa_forward_progress 0
		.amdhsa_shared_vgpr_count 0
		.amdhsa_exception_fp_ieee_invalid_op 0
		.amdhsa_exception_fp_denorm_src 0
		.amdhsa_exception_fp_ieee_div_zero 0
		.amdhsa_exception_fp_ieee_overflow 0
		.amdhsa_exception_fp_ieee_underflow 0
		.amdhsa_exception_fp_ieee_inexact 0
		.amdhsa_exception_int_div_zero 0
	.end_amdhsa_kernel
	.section	.text._ZN2at6native32elementwise_kernel_manual_unrollILi128ELi4EZNS0_22gpu_kernel_impl_nocastINS0_13BinaryFunctorIfffZZZNS0_12_GLOBAL__N_132hermite_polynomial_h_kernel_cudaERNS_18TensorIteratorBaseEENKUlvE_clEvENKUlvE0_clEvEUlffE_EEEEvS6_RKT_EUlibE_EEviT1_,"axG",@progbits,_ZN2at6native32elementwise_kernel_manual_unrollILi128ELi4EZNS0_22gpu_kernel_impl_nocastINS0_13BinaryFunctorIfffZZZNS0_12_GLOBAL__N_132hermite_polynomial_h_kernel_cudaERNS_18TensorIteratorBaseEENKUlvE_clEvENKUlvE0_clEvEUlffE_EEEEvS6_RKT_EUlibE_EEviT1_,comdat
.Lfunc_end45:
	.size	_ZN2at6native32elementwise_kernel_manual_unrollILi128ELi4EZNS0_22gpu_kernel_impl_nocastINS0_13BinaryFunctorIfffZZZNS0_12_GLOBAL__N_132hermite_polynomial_h_kernel_cudaERNS_18TensorIteratorBaseEENKUlvE_clEvENKUlvE0_clEvEUlffE_EEEEvS6_RKT_EUlibE_EEviT1_, .Lfunc_end45-_ZN2at6native32elementwise_kernel_manual_unrollILi128ELi4EZNS0_22gpu_kernel_impl_nocastINS0_13BinaryFunctorIfffZZZNS0_12_GLOBAL__N_132hermite_polynomial_h_kernel_cudaERNS_18TensorIteratorBaseEENKUlvE_clEvENKUlvE0_clEvEUlffE_EEEEvS6_RKT_EUlibE_EEviT1_
                                        ; -- End function
	.section	.AMDGPU.csdata,"",@progbits
; Kernel info:
; codeLenInByte = 8636
; NumSgprs: 46
; NumVgprs: 20
; ScratchSize: 0
; MemoryBound: 0
; FloatMode: 240
; IeeeMode: 1
; LDSByteSize: 0 bytes/workgroup (compile time only)
; SGPRBlocks: 5
; VGPRBlocks: 2
; NumSGPRsForWavesPerEU: 46
; NumVGPRsForWavesPerEU: 20
; Occupancy: 16
; WaveLimiterHint : 1
; COMPUTE_PGM_RSRC2:SCRATCH_EN: 0
; COMPUTE_PGM_RSRC2:USER_SGPR: 15
; COMPUTE_PGM_RSRC2:TRAP_HANDLER: 0
; COMPUTE_PGM_RSRC2:TGID_X_EN: 1
; COMPUTE_PGM_RSRC2:TGID_Y_EN: 0
; COMPUTE_PGM_RSRC2:TGID_Z_EN: 0
; COMPUTE_PGM_RSRC2:TIDIG_COMP_CNT: 0
	.text
	.p2align	2                               ; -- Begin function _ZN3c104guts5applyIRN2at6native13BinaryFunctorIfffZZZNS3_12_GLOBAL__N_132hermite_polynomial_h_kernel_cudaERNS2_18TensorIteratorBaseEENKUlvE_clEvENKUlvE0_clEvEUlffE_EERSt5tupleIJffEEEEDaOT_OT0_
	.type	_ZN3c104guts5applyIRN2at6native13BinaryFunctorIfffZZZNS3_12_GLOBAL__N_132hermite_polynomial_h_kernel_cudaERNS2_18TensorIteratorBaseEENKUlvE_clEvENKUlvE0_clEvEUlffE_EERSt5tupleIJffEEEEDaOT_OT0_,@function
_ZN3c104guts5applyIRN2at6native13BinaryFunctorIfffZZZNS3_12_GLOBAL__N_132hermite_polynomial_h_kernel_cudaERNS2_18TensorIteratorBaseEENKUlvE_clEvENKUlvE0_clEvEUlffE_EERSt5tupleIJffEEEEDaOT_OT0_: ; @_ZN3c104guts5applyIRN2at6native13BinaryFunctorIfffZZZNS3_12_GLOBAL__N_132hermite_polynomial_h_kernel_cudaERNS2_18TensorIteratorBaseEENKUlvE_clEvENKUlvE0_clEvEUlffE_EERSt5tupleIJffEEEEDaOT_OT0_
; %bb.0:
	s_waitcnt vmcnt(0) expcnt(0) lgkmcnt(0)
	v_trunc_f32_e32 v2, v0
	s_mov_b32 s2, exec_lo
	s_delay_alu instid0(VALU_DEP_1) | instskip(NEXT) | instid1(VALU_DEP_1)
	v_mul_f32_e64 v3, 0x2f800000, |v2|
	v_floor_f32_e32 v3, v3
	s_delay_alu instid0(VALU_DEP_1) | instskip(SKIP_2) | instid1(VALU_DEP_3)
	v_fma_f32 v4, 0xcf800000, v3, |v2|
	v_ashrrev_i32_e32 v2, 31, v2
	v_cvt_u32_f32_e32 v3, v3
	v_cvt_u32_f32_e32 v4, v4
	s_delay_alu instid0(VALU_DEP_2) | instskip(NEXT) | instid1(VALU_DEP_2)
	v_xor_b32_e32 v3, v3, v2
	v_xor_b32_e32 v4, v4, v2
	s_delay_alu instid0(VALU_DEP_1) | instskip(NEXT) | instid1(VALU_DEP_3)
	v_sub_co_u32 v4, vcc_lo, v4, v2
	v_sub_co_ci_u32_e32 v2, vcc_lo, v3, v2, vcc_lo
	v_cmp_class_f32_e64 vcc_lo, v0, 0x1f8
	s_delay_alu instid0(VALU_DEP_2) | instskip(NEXT) | instid1(VALU_DEP_4)
	v_dual_mov_b32 v0, 0 :: v_dual_cndmask_b32 v3, -1, v2
	v_cndmask_b32_e32 v2, -1, v4, vcc_lo
	s_delay_alu instid0(VALU_DEP_1)
	v_cmpx_lt_i64_e32 -1, v[2:3]
	s_cbranch_execz .LBB46_12
; %bb.1:
	v_mov_b32_e32 v0, 1.0
	s_mov_b32 s3, exec_lo
	v_cmpx_lt_i64_e32 0, v[2:3]
	s_cbranch_execz .LBB46_11
; %bb.2:
                                        ; implicit-def: $vgpr0
	s_mov_b32 s0, exec_lo
	v_cmpx_ne_u64_e32 1, v[2:3]
	s_xor_b32 s4, exec_lo, s0
	s_cbranch_execz .LBB46_8
; %bb.3:
	v_mov_b32_e32 v0, 0x7fc00000
	s_mov_b32 s5, exec_lo
	v_cmpx_gt_u64_e32 0x81, v[2:3]
	s_cbranch_execz .LBB46_7
; %bb.4:
	v_add_f32_e32 v4, v1, v1
	v_lshlrev_b64 v[1:2], 1, v[2:3]
	v_mov_b32_e32 v3, 1.0
	s_mov_b64 s[0:1], 2
	s_mov_b32 s6, 0
	v_mov_b32_e32 v0, v4
	.p2align	6
.LBB46_5:                               ; =>This Inner Loop Header: Depth=1
	s_clz_i32_u32 s7, s1
	s_delay_alu instid0(SALU_CYCLE_1) | instskip(NEXT) | instid1(SALU_CYCLE_1)
	s_min_u32 s7, s7, 32
	s_lshl_b64 s[8:9], s[0:1], s7
	s_sub_i32 s7, 32, s7
	s_min_u32 s8, s8, 1
	s_delay_alu instid0(SALU_CYCLE_1) | instskip(SKIP_3) | instid1(SALU_CYCLE_1)
	s_or_b32 s8, s9, s8
	s_add_u32 s0, s0, 2
	v_cvt_f32_u32_e32 v5, s8
	s_addc_u32 s1, s1, 0
	v_cmp_ge_u64_e32 vcc_lo, s[0:1], v[1:2]
	s_delay_alu instid0(VALU_DEP_2) | instskip(SKIP_1) | instid1(VALU_DEP_1)
	v_ldexp_f32 v5, v5, s7
	s_or_b32 s6, vcc_lo, s6
	v_mul_f32_e32 v5, v3, v5
	v_mov_b32_e32 v3, v0
	s_delay_alu instid0(VALU_DEP_2)
	v_fma_f32 v0, v4, v0, -v5
	s_and_not1_b32 exec_lo, exec_lo, s6
	s_cbranch_execnz .LBB46_5
; %bb.6:
	s_or_b32 exec_lo, exec_lo, s6
.LBB46_7:
	s_delay_alu instid0(SALU_CYCLE_1)
	s_or_b32 exec_lo, exec_lo, s5
                                        ; implicit-def: $vgpr1
.LBB46_8:
	s_and_not1_saveexec_b32 s0, s4
; %bb.9:
	v_add_f32_e32 v0, v1, v1
; %bb.10:
	s_or_b32 exec_lo, exec_lo, s0
.LBB46_11:
	s_delay_alu instid0(SALU_CYCLE_1)
	s_or_b32 exec_lo, exec_lo, s3
.LBB46_12:
	s_delay_alu instid0(SALU_CYCLE_1)
	s_or_b32 exec_lo, exec_lo, s2
	s_setpc_b64 s[30:31]
.Lfunc_end46:
	.size	_ZN3c104guts5applyIRN2at6native13BinaryFunctorIfffZZZNS3_12_GLOBAL__N_132hermite_polynomial_h_kernel_cudaERNS2_18TensorIteratorBaseEENKUlvE_clEvENKUlvE0_clEvEUlffE_EERSt5tupleIJffEEEEDaOT_OT0_, .Lfunc_end46-_ZN3c104guts5applyIRN2at6native13BinaryFunctorIfffZZZNS3_12_GLOBAL__N_132hermite_polynomial_h_kernel_cudaERNS2_18TensorIteratorBaseEENKUlvE_clEvENKUlvE0_clEvEUlffE_EERSt5tupleIJffEEEEDaOT_OT0_
                                        ; -- End function
	.section	.AMDGPU.csdata,"",@progbits
; Function info:
; codeLenInByte = 348
; NumSgprs: 34
; NumVgprs: 6
; ScratchSize: 0
; MemoryBound: 0
	.text
	.p2align	2                               ; -- Begin function _ZN2at6native25elementwise_kernel_helperILb1ENS0_13BinaryFunctorIfffZZZNS0_12_GLOBAL__N_132hermite_polynomial_h_kernel_cudaERNS_18TensorIteratorBaseEENKUlvE_clEvENKUlvE0_clEvEUlffE_EENS0_6memory8policies11unroll_baseILi512ESt5arrayIPcLm3EE23TrivialOffsetCalculatorILi2EjESG_ILi1EjENSA_12LoadWithCastILi2EEENSA_13StoreWithCastILi1EEELi32ELi1EEEEEvT0_T1_
	.type	_ZN2at6native25elementwise_kernel_helperILb1ENS0_13BinaryFunctorIfffZZZNS0_12_GLOBAL__N_132hermite_polynomial_h_kernel_cudaERNS_18TensorIteratorBaseEENKUlvE_clEvENKUlvE0_clEvEUlffE_EENS0_6memory8policies11unroll_baseILi512ESt5arrayIPcLm3EE23TrivialOffsetCalculatorILi2EjESG_ILi1EjENSA_12LoadWithCastILi2EEENSA_13StoreWithCastILi1EEELi32ELi1EEEEEvT0_T1_,@function
_ZN2at6native25elementwise_kernel_helperILb1ENS0_13BinaryFunctorIfffZZZNS0_12_GLOBAL__N_132hermite_polynomial_h_kernel_cudaERNS_18TensorIteratorBaseEENKUlvE_clEvENKUlvE0_clEvEUlffE_EENS0_6memory8policies11unroll_baseILi512ESt5arrayIPcLm3EE23TrivialOffsetCalculatorILi2EjESG_ILi1EjENSA_12LoadWithCastILi2EEENSA_13StoreWithCastILi1EEELi32ELi1EEEEEvT0_T1_: ; @_ZN2at6native25elementwise_kernel_helperILb1ENS0_13BinaryFunctorIfffZZZNS0_12_GLOBAL__N_132hermite_polynomial_h_kernel_cudaERNS_18TensorIteratorBaseEENKUlvE_clEvENKUlvE0_clEvEUlffE_EENS0_6memory8policies11unroll_baseILi512ESt5arrayIPcLm3EE23TrivialOffsetCalculatorILi2EjESG_ILi1EjENSA_12LoadWithCastILi2EEENSA_13StoreWithCastILi1EEELi32ELi1EEEEEvT0_T1_
; %bb.0:
	s_waitcnt vmcnt(0) expcnt(0) lgkmcnt(0)
	s_mov_b32 s0, s33
	s_mov_b32 s33, s32
	s_or_saveexec_b32 s1, -1
	s_clause 0x1
	scratch_store_b32 off, v40, s33 offset:256
	; meta instruction
	scratch_store_b32 off, v41, s33 offset:260
	s_mov_b32 exec_lo, s1
	v_writelane_b32 v41, s0, 13
	s_addk_i32 s32, 0x110
	v_writelane_b32 v40, s34, 0
	v_writelane_b32 v40, s35, 1
	;; [unrolled: 1-line block ×45, first 2 shown]
	s_clause 0x1
	s_load_b32 s4, s[8:9], 0x10
	s_load_b32 s5, s[8:9], 0x0
	s_mov_b32 s0, 0
	v_and_b32_e32 v37, 0x3ff, v31
	s_mov_b32 s3, s0
	s_mov_b32 s1, s0
	;; [unrolled: 1-line block ×3, first 2 shown]
	s_delay_alu instid0(SALU_CYCLE_1)
	v_dual_mov_b32 v17, s3 :: v_dual_mov_b32 v16, s2
	v_dual_mov_b32 v15, s1 :: v_dual_mov_b32 v14, s0
	;; [unrolled: 1-line block ×3, first 2 shown]
	v_and_b32_e32 v7, 0xff, v7
	v_mov_b32_e32 v13, v37
	s_clause 0xf
	scratch_store_b128 off, v[14:17], s33
	scratch_store_b128 off, v[14:17], s33 offset:16
	scratch_store_b128 off, v[14:17], s33 offset:32
	;; [unrolled: 1-line block ×15, first 2 shown]
                                        ; implicit-def: $sgpr3
	s_waitcnt lgkmcnt(0)
	s_lshr_b32 s4, s4, 16
	s_delay_alu instid0(SALU_CYCLE_1) | instskip(SKIP_4) | instid1(SALU_CYCLE_1)
	s_cmp_lg_u32 s4, 0
                                        ; implicit-def: $sgpr4
	s_cselect_b32 s1, -1, 0
	s_not_b32 s2, s12
	s_cmp_lg_u32 s1, 0
	s_addc_u32 s1, s5, s2
                                        ; implicit-def: $sgpr2
                                        ; implicit-def: $sgpr5
	s_lshl_b32 s11, s1, 14
	s_mov_b32 s1, s0
	s_branch .LBB47_17
.LBB47_1:                               ;   in Loop: Header=BB47_17 Depth=1
	s_or_b32 exec_lo, exec_lo, vcc_lo
	s_delay_alu instid0(SALU_CYCLE_1)
	s_and_not1_b32 vcc_lo, s49, exec_lo
	s_and_b32 s49, s54, exec_lo
	s_and_not1_b32 s48, s48, exec_lo
	s_and_b32 s52, s53, exec_lo
	s_or_b32 s49, vcc_lo, s49
	s_or_b32 s48, s48, s52
	s_or_not1_b32 s51, s51, exec_lo
.LBB47_2:                               ;   in Loop: Header=BB47_17 Depth=1
	s_or_b32 exec_lo, exec_lo, s50
	s_delay_alu instid0(SALU_CYCLE_1)
	s_and_not1_b32 vcc_lo, s46, exec_lo
	s_and_b32 s46, s49, exec_lo
	s_and_not1_b32 s45, s45, exec_lo
	s_and_b32 s48, s48, exec_lo
	s_or_b32 s46, vcc_lo, s46
	s_or_b32 s45, s45, s48
	s_or_not1_b32 s48, s51, exec_lo
.LBB47_3:                               ;   in Loop: Header=BB47_17 Depth=1
	s_or_b32 exec_lo, exec_lo, s47
	s_delay_alu instid0(SALU_CYCLE_1)
	s_and_not1_b32 vcc_lo, s43, exec_lo
	s_and_b32 s43, s46, exec_lo
	s_and_not1_b32 s42, s42, exec_lo
	s_and_b32 s45, s45, exec_lo
	s_or_b32 s43, vcc_lo, s43
	s_or_b32 s42, s42, s45
	s_or_not1_b32 s45, s48, exec_lo
.LBB47_4:                               ;   in Loop: Header=BB47_17 Depth=1
	s_or_b32 exec_lo, exec_lo, s44
	s_delay_alu instid0(SALU_CYCLE_1)
	s_and_not1_b32 vcc_lo, s40, exec_lo
	s_and_b32 s40, s43, exec_lo
	s_and_not1_b32 s39, s39, exec_lo
	s_and_b32 s42, s42, exec_lo
	s_or_b32 s40, vcc_lo, s40
	s_or_b32 s39, s39, s42
	s_or_not1_b32 s42, s45, exec_lo
.LBB47_5:                               ;   in Loop: Header=BB47_17 Depth=1
	s_or_b32 exec_lo, exec_lo, s41
	s_delay_alu instid0(SALU_CYCLE_1)
	s_and_not1_b32 vcc_lo, s37, exec_lo
	s_and_b32 s37, s40, exec_lo
	s_and_not1_b32 s36, s36, exec_lo
	s_and_b32 s39, s39, exec_lo
	s_or_b32 s37, vcc_lo, s37
	s_or_b32 s36, s36, s39
	s_or_not1_b32 s39, s42, exec_lo
.LBB47_6:                               ;   in Loop: Header=BB47_17 Depth=1
	s_or_b32 exec_lo, exec_lo, s38
	s_delay_alu instid0(SALU_CYCLE_1)
	s_and_not1_b32 vcc_lo, s34, exec_lo
	s_and_b32 s34, s37, exec_lo
	s_and_not1_b32 s31, s31, exec_lo
	s_and_b32 s36, s36, exec_lo
	s_or_b32 s34, vcc_lo, s34
	s_or_b32 s31, s31, s36
	s_or_not1_b32 s36, s39, exec_lo
.LBB47_7:                               ;   in Loop: Header=BB47_17 Depth=1
	s_or_b32 exec_lo, exec_lo, s35
	s_delay_alu instid0(SALU_CYCLE_1)
	s_and_not1_b32 vcc_lo, vcc_hi, exec_lo
	s_and_b32 vcc_hi, s34, exec_lo
	s_and_not1_b32 s29, s29, exec_lo
	s_and_b32 s31, s31, exec_lo
	s_or_b32 vcc_hi, vcc_lo, vcc_hi
	s_or_b32 s29, s29, s31
	s_or_not1_b32 s31, s36, exec_lo
.LBB47_8:                               ;   in Loop: Header=BB47_17 Depth=1
	s_or_b32 exec_lo, exec_lo, s30
	s_delay_alu instid0(SALU_CYCLE_1)
	s_and_not1_b32 s27, s27, exec_lo
	s_and_b32 vcc_lo, vcc_hi, exec_lo
	s_and_not1_b32 s26, s26, exec_lo
	s_and_b32 s29, s29, exec_lo
	s_or_b32 s27, s27, vcc_lo
	s_or_b32 s26, s26, s29
	s_or_not1_b32 s29, s31, exec_lo
.LBB47_9:                               ;   in Loop: Header=BB47_17 Depth=1
	s_or_b32 exec_lo, exec_lo, s28
	s_delay_alu instid0(SALU_CYCLE_1)
	s_and_not1_b32 s24, s24, exec_lo
	s_and_b32 s27, s27, exec_lo
	s_and_not1_b32 s23, s23, exec_lo
	s_and_b32 s26, s26, exec_lo
	s_or_b32 s24, s24, s27
	s_or_b32 s23, s23, s26
	s_or_not1_b32 s26, s29, exec_lo
.LBB47_10:                              ;   in Loop: Header=BB47_17 Depth=1
	s_or_b32 exec_lo, exec_lo, s25
	s_delay_alu instid0(SALU_CYCLE_1)
	s_and_not1_b32 s21, s21, exec_lo
	s_and_b32 s24, s24, exec_lo
	s_and_not1_b32 s20, s20, exec_lo
	s_and_b32 s23, s23, exec_lo
	s_or_b32 s21, s21, s24
	s_or_b32 s20, s20, s23
	s_or_not1_b32 s23, s26, exec_lo
.LBB47_11:                              ;   in Loop: Header=BB47_17 Depth=1
	s_or_b32 exec_lo, exec_lo, s22
	s_delay_alu instid0(SALU_CYCLE_1)
	s_and_not1_b32 s18, s18, exec_lo
	s_and_b32 s21, s21, exec_lo
	s_and_not1_b32 s17, s17, exec_lo
	s_and_b32 s20, s20, exec_lo
	s_or_b32 s18, s18, s21
	s_or_b32 s17, s17, s20
	s_or_not1_b32 s20, s23, exec_lo
.LBB47_12:                              ;   in Loop: Header=BB47_17 Depth=1
	s_or_b32 exec_lo, exec_lo, s19
	s_delay_alu instid0(SALU_CYCLE_1)
	s_and_not1_b32 s15, s15, exec_lo
	s_and_b32 s18, s18, exec_lo
	s_and_not1_b32 s14, s14, exec_lo
	s_and_b32 s17, s17, exec_lo
	s_or_b32 s15, s15, s18
	s_or_b32 s14, s14, s17
	s_or_not1_b32 s17, s20, exec_lo
.LBB47_13:                              ;   in Loop: Header=BB47_17 Depth=1
	s_or_b32 exec_lo, exec_lo, s16
	s_delay_alu instid0(SALU_CYCLE_1)
	s_and_not1_b32 s12, s12, exec_lo
	s_and_b32 s15, s15, exec_lo
	s_and_not1_b32 s10, s10, exec_lo
	s_and_b32 s14, s14, exec_lo
	s_or_b32 s12, s12, s15
	s_or_b32 s10, s10, s14
	s_or_not1_b32 s14, s17, exec_lo
.LBB47_14:                              ;   in Loop: Header=BB47_17 Depth=1
	s_or_b32 exec_lo, exec_lo, s13
	s_delay_alu instid0(SALU_CYCLE_1)
	s_and_not1_b32 s8, s8, exec_lo
	s_and_b32 s12, s12, exec_lo
	s_and_not1_b32 s7, s7, exec_lo
	s_and_b32 s10, s10, exec_lo
	s_or_b32 s8, s8, s12
	s_or_b32 s7, s7, s10
	s_or_not1_b32 s10, s14, exec_lo
.LBB47_15:                              ;   in Loop: Header=BB47_17 Depth=1
	s_or_b32 exec_lo, exec_lo, s9
	s_delay_alu instid0(SALU_CYCLE_1)
	s_and_not1_b32 s5, s5, exec_lo
	s_and_b32 s8, s8, exec_lo
	s_and_not1_b32 s4, s4, exec_lo
	s_and_b32 s7, s7, exec_lo
	s_or_b32 s5, s5, s8
	s_or_b32 s4, s4, s7
	s_or_not1_b32 s8, s10, exec_lo
.LBB47_16:                              ;   in Loop: Header=BB47_17 Depth=1
	s_or_b32 exec_lo, exec_lo, s6
	s_delay_alu instid0(SALU_CYCLE_1) | instskip(NEXT) | instid1(SALU_CYCLE_1)
	s_and_b32 s6, exec_lo, s8
	s_or_b32 s0, s6, s0
	s_and_not1_b32 s3, s3, exec_lo
	s_and_b32 s6, s5, exec_lo
	s_and_not1_b32 s2, s2, exec_lo
	s_and_b32 s7, s4, exec_lo
	s_or_b32 s3, s3, s6
	s_or_b32 s2, s2, s7
	s_and_not1_b32 exec_lo, exec_lo, s0
	s_cbranch_execz .LBB47_3650
.LBB47_17:                              ; =>This Inner Loop Header: Depth=1
	s_mov_b32 s7, -1
	s_mov_b32 s6, exec_lo
                                        ; implicit-def: $sgpr9
                                        ; implicit-def: $sgpr10
	v_cmpx_lt_i32_e64 v13, v6
	s_cbranch_execz .LBB47_127
; %bb.18:                               ;   in Loop: Header=BB47_17 Depth=1
	s_waitcnt vmcnt(0) lgkmcnt(0)
	v_add_nc_u32_e32 v15, s11, v13
	s_mov_b32 s10, 0
	s_mov_b32 s9, exec_lo
                                        ; implicit-def: $sgpr7
                                        ; implicit-def: $sgpr8
                                        ; implicit-def: $vgpr16
	s_delay_alu instid0(VALU_DEP_1) | instskip(NEXT) | instid1(VALU_DEP_1)
	v_mul_lo_u32 v0, v15, v9
	v_add_co_u32 v0, vcc_lo, v2, v0
	v_add_co_ci_u32_e32 v1, vcc_lo, 0, v3, vcc_lo
	v_cmpx_lt_i16_e32 10, v7
	s_xor_b32 s9, exec_lo, s9
	s_cbranch_execnz .LBB47_21
; %bb.19:                               ;   in Loop: Header=BB47_17 Depth=1
	s_and_not1_saveexec_b32 s9, s9
	s_cbranch_execnz .LBB47_80
.LBB47_20:                              ;   in Loop: Header=BB47_17 Depth=1
	s_or_b32 exec_lo, exec_lo, s9
	s_mov_b32 s12, 0
	s_and_saveexec_b32 s9, s10
	s_cbranch_execnz .LBB47_121
	s_branch .LBB47_126
.LBB47_21:                              ;   in Loop: Header=BB47_17 Depth=1
	s_mov_b32 s7, exec_lo
                                        ; implicit-def: $sgpr12
                                        ; implicit-def: $sgpr8
                                        ; implicit-def: $vgpr16
	v_cmpx_lt_i16_e32 25, v7
	s_xor_b32 s7, exec_lo, s7
	s_cbranch_execz .LBB47_53
; %bb.22:                               ;   in Loop: Header=BB47_17 Depth=1
	s_mov_b32 s13, exec_lo
                                        ; implicit-def: $sgpr12
                                        ; implicit-def: $sgpr8
                                        ; implicit-def: $vgpr16
	v_cmpx_lt_i16_e32 28, v7
	s_xor_b32 s13, exec_lo, s13
	s_cbranch_execz .LBB47_38
; %bb.23:                               ;   in Loop: Header=BB47_17 Depth=1
	s_mov_b32 s14, 0
	s_mov_b32 s8, exec_lo
                                        ; implicit-def: $sgpr10
                                        ; implicit-def: $sgpr12
                                        ; implicit-def: $vgpr16
	v_cmpx_lt_i16_e32 43, v7
	s_xor_b32 s8, exec_lo, s8
	s_cbranch_execz .LBB47_33
; %bb.24:                               ;   in Loop: Header=BB47_17 Depth=1
	s_mov_b32 s12, exec_lo
                                        ; implicit-def: $sgpr10
                                        ; implicit-def: $sgpr15
                                        ; implicit-def: $vgpr16
	v_cmpx_lt_i16_e32 45, v7
	s_xor_b32 s12, exec_lo, s12
	s_cbranch_execz .LBB47_28
; %bb.25:                               ;   in Loop: Header=BB47_17 Depth=1
	s_mov_b32 s10, 0
	s_mov_b32 s15, exec_lo
                                        ; implicit-def: $vgpr16
	v_cmpx_eq_u16_e32 46, v7
	s_cbranch_execz .LBB47_27
; %bb.26:                               ;   in Loop: Header=BB47_17 Depth=1
	flat_load_b32 v0, v[0:1]
	s_mov_b32 s14, exec_lo
	s_waitcnt vmcnt(0) lgkmcnt(0)
	v_lshlrev_b32_e32 v16, 16, v0
.LBB47_27:                              ;   in Loop: Header=BB47_17 Depth=1
	s_or_b32 exec_lo, exec_lo, s15
	s_mov_b32 s15, -1
	s_and_b32 s14, s14, exec_lo
                                        ; implicit-def: $vgpr0_vgpr1
.LBB47_28:                              ;   in Loop: Header=BB47_17 Depth=1
	s_and_not1_saveexec_b32 s12, s12
	s_cbranch_execz .LBB47_32
; %bb.29:                               ;   in Loop: Header=BB47_17 Depth=1
	s_mov_b32 s17, s14
	s_mov_b32 s16, exec_lo
                                        ; implicit-def: $vgpr16
	v_cmpx_eq_u16_e32 44, v7
	s_cbranch_execz .LBB47_31
; %bb.30:                               ;   in Loop: Header=BB47_17 Depth=1
	flat_load_u8 v0, v[0:1]
	s_or_b32 s17, s14, exec_lo
	s_waitcnt vmcnt(0) lgkmcnt(0)
	v_lshlrev_b32_e32 v1, 23, v0
	v_cmp_ne_u32_e32 vcc_lo, 0xff, v0
	s_delay_alu instid0(VALU_DEP_2) | instskip(SKIP_1) | instid1(VALU_DEP_2)
	v_cndmask_b32_e32 v1, 0x7f800001, v1, vcc_lo
	v_cmp_ne_u32_e32 vcc_lo, 0, v0
	v_cndmask_b32_e32 v16, 0x400000, v1, vcc_lo
.LBB47_31:                              ;   in Loop: Header=BB47_17 Depth=1
	s_or_b32 exec_lo, exec_lo, s16
	s_delay_alu instid0(SALU_CYCLE_1)
	s_and_not1_b32 s14, s14, exec_lo
	s_and_b32 s16, s17, exec_lo
	s_and_not1_b32 s10, s10, exec_lo
	s_or_b32 s15, s15, exec_lo
	s_or_b32 s14, s14, s16
.LBB47_32:                              ;   in Loop: Header=BB47_17 Depth=1
	s_or_b32 exec_lo, exec_lo, s12
	s_delay_alu instid0(SALU_CYCLE_1)
	s_and_b32 s12, s10, exec_lo
	s_and_b32 s10, s15, exec_lo
	;; [unrolled: 1-line block ×3, first 2 shown]
                                        ; implicit-def: $vgpr0_vgpr1
.LBB47_33:                              ;   in Loop: Header=BB47_17 Depth=1
	s_and_not1_saveexec_b32 s8, s8
	s_cbranch_execz .LBB47_37
; %bb.34:                               ;   in Loop: Header=BB47_17 Depth=1
	s_mov_b32 s16, s14
	s_mov_b32 s15, exec_lo
                                        ; implicit-def: $vgpr16
	v_cmpx_eq_u16_e32 29, v7
	s_cbranch_execz .LBB47_36
; %bb.35:                               ;   in Loop: Header=BB47_17 Depth=1
	flat_load_b64 v[0:1], v[0:1]
	s_or_b32 s16, s14, exec_lo
	s_waitcnt vmcnt(0) lgkmcnt(0)
	v_clz_i32_u32_e32 v14, v1
	s_delay_alu instid0(VALU_DEP_1) | instskip(NEXT) | instid1(VALU_DEP_1)
	v_min_u32_e32 v14, 32, v14
	v_lshlrev_b64 v[0:1], v14, v[0:1]
	s_delay_alu instid0(VALU_DEP_1) | instskip(NEXT) | instid1(VALU_DEP_1)
	v_min_u32_e32 v0, 1, v0
	v_or_b32_e32 v0, v1, v0
	v_sub_nc_u32_e32 v1, 32, v14
	s_delay_alu instid0(VALU_DEP_2) | instskip(NEXT) | instid1(VALU_DEP_1)
	v_cvt_f32_u32_e32 v0, v0
	v_ldexp_f32 v16, v0, v1
.LBB47_36:                              ;   in Loop: Header=BB47_17 Depth=1
	s_or_b32 exec_lo, exec_lo, s15
	s_delay_alu instid0(SALU_CYCLE_1)
	s_and_not1_b32 s14, s14, exec_lo
	s_and_b32 s15, s16, exec_lo
	s_and_not1_b32 s12, s12, exec_lo
	s_or_b32 s10, s10, exec_lo
	s_or_b32 s14, s14, s15
.LBB47_37:                              ;   in Loop: Header=BB47_17 Depth=1
	s_or_b32 exec_lo, exec_lo, s8
	s_delay_alu instid0(SALU_CYCLE_1)
	s_and_b32 s8, s12, exec_lo
	s_and_b32 s12, s10, exec_lo
	s_and_b32 s10, s14, exec_lo
                                        ; implicit-def: $vgpr0_vgpr1
.LBB47_38:                              ;   in Loop: Header=BB47_17 Depth=1
	s_and_not1_saveexec_b32 s13, s13
	s_cbranch_execz .LBB47_52
; %bb.39:                               ;   in Loop: Header=BB47_17 Depth=1
	s_mov_b32 s14, exec_lo
                                        ; implicit-def: $vgpr16
	v_cmpx_lt_i16_e32 26, v7
	s_xor_b32 s14, exec_lo, s14
	s_cbranch_execz .LBB47_45
; %bb.40:                               ;   in Loop: Header=BB47_17 Depth=1
	s_mov_b32 s15, exec_lo
                                        ; implicit-def: $vgpr16
	v_cmpx_lt_i16_e32 27, v7
	s_xor_b32 s15, exec_lo, s15
	s_cbranch_execz .LBB47_42
; %bb.41:                               ;   in Loop: Header=BB47_17 Depth=1
	flat_load_b32 v0, v[0:1]
	s_waitcnt vmcnt(0) lgkmcnt(0)
	v_cvt_f32_u32_e32 v16, v0
                                        ; implicit-def: $vgpr0_vgpr1
.LBB47_42:                              ;   in Loop: Header=BB47_17 Depth=1
	s_and_not1_saveexec_b32 s15, s15
	s_cbranch_execz .LBB47_44
; %bb.43:                               ;   in Loop: Header=BB47_17 Depth=1
	flat_load_u16 v0, v[0:1]
	s_waitcnt vmcnt(0) lgkmcnt(0)
	v_cvt_f32_u32_e32 v16, v0
.LBB47_44:                              ;   in Loop: Header=BB47_17 Depth=1
	s_or_b32 exec_lo, exec_lo, s15
                                        ; implicit-def: $vgpr0_vgpr1
.LBB47_45:                              ;   in Loop: Header=BB47_17 Depth=1
	s_and_not1_saveexec_b32 s14, s14
	s_cbranch_execz .LBB47_51
; %bb.46:                               ;   in Loop: Header=BB47_17 Depth=1
	flat_load_u8 v0, v[0:1]
	s_mov_b32 s15, 0
	s_mov_b32 s17, exec_lo
                                        ; implicit-def: $sgpr16
	s_waitcnt vmcnt(0) lgkmcnt(0)
	v_cmpx_lt_i16_e32 0x7f, v0
	s_xor_b32 s17, exec_lo, s17
	s_cbranch_execnz .LBB47_765
; %bb.47:                               ;   in Loop: Header=BB47_17 Depth=1
	s_or_saveexec_b32 s17, s17
	v_mov_b32_e32 v16, s16
	s_xor_b32 exec_lo, exec_lo, s17
	s_cbranch_execnz .LBB47_768
.LBB47_48:                              ;   in Loop: Header=BB47_17 Depth=1
	s_or_b32 exec_lo, exec_lo, s17
	s_and_saveexec_b32 s16, s15
	s_cbranch_execz .LBB47_50
.LBB47_49:                              ;   in Loop: Header=BB47_17 Depth=1
	v_and_b32_e32 v1, 0xffff, v0
	v_lshlrev_b32_e32 v0, 24, v0
	s_delay_alu instid0(VALU_DEP_2) | instskip(NEXT) | instid1(VALU_DEP_2)
	v_and_b32_e32 v14, 7, v1
	v_and_b32_e32 v0, 0x80000000, v0
	s_delay_alu instid0(VALU_DEP_2) | instskip(NEXT) | instid1(VALU_DEP_1)
	v_clz_i32_u32_e32 v16, v14
	v_min_u32_e32 v16, 32, v16
	s_delay_alu instid0(VALU_DEP_1) | instskip(SKIP_1) | instid1(VALU_DEP_2)
	v_subrev_nc_u32_e32 v17, 28, v16
	v_sub_nc_u32_e32 v16, 29, v16
	v_lshlrev_b32_e32 v17, v17, v1
	v_bfe_u32 v1, v1, 3, 4
	s_delay_alu instid0(VALU_DEP_2) | instskip(NEXT) | instid1(VALU_DEP_2)
	v_and_b32_e32 v17, 7, v17
	v_cmp_eq_u32_e32 vcc_lo, 0, v1
	s_delay_alu instid0(VALU_DEP_2) | instskip(NEXT) | instid1(VALU_DEP_1)
	v_dual_cndmask_b32 v1, v1, v16 :: v_dual_cndmask_b32 v14, v14, v17
	v_lshl_add_u32 v1, v1, 23, 0x3b800000
	s_delay_alu instid0(VALU_DEP_2) | instskip(NEXT) | instid1(VALU_DEP_1)
	v_lshlrev_b32_e32 v14, 20, v14
	v_or3_b32 v16, v0, v1, v14
.LBB47_50:                              ;   in Loop: Header=BB47_17 Depth=1
	s_or_b32 exec_lo, exec_lo, s16
.LBB47_51:                              ;   in Loop: Header=BB47_17 Depth=1
	s_delay_alu instid0(SALU_CYCLE_1) | instskip(NEXT) | instid1(SALU_CYCLE_1)
	s_or_b32 exec_lo, exec_lo, s14
	s_and_not1_b32 s8, s8, exec_lo
	s_and_not1_b32 s12, s12, exec_lo
	s_or_b32 s10, s10, exec_lo
.LBB47_52:                              ;   in Loop: Header=BB47_17 Depth=1
	s_or_b32 exec_lo, exec_lo, s13
	s_delay_alu instid0(SALU_CYCLE_1)
	s_and_b32 s8, s8, exec_lo
	s_and_b32 s12, s12, exec_lo
	;; [unrolled: 1-line block ×3, first 2 shown]
                                        ; implicit-def: $vgpr0_vgpr1
.LBB47_53:                              ;   in Loop: Header=BB47_17 Depth=1
	s_and_not1_saveexec_b32 s7, s7
	s_cbranch_execz .LBB47_79
; %bb.54:                               ;   in Loop: Header=BB47_17 Depth=1
	s_mov_b32 s14, s10
	s_mov_b32 s13, exec_lo
                                        ; implicit-def: $vgpr16
	v_cmpx_lt_i16_e32 22, v7
	s_xor_b32 s13, exec_lo, s13
	s_cbranch_execz .LBB47_68
; %bb.55:                               ;   in Loop: Header=BB47_17 Depth=1
	s_mov_b32 s14, exec_lo
                                        ; implicit-def: $vgpr16
	v_cmpx_lt_i16_e32 23, v7
	s_xor_b32 s14, exec_lo, s14
	s_cbranch_execz .LBB47_65
; %bb.56:                               ;   in Loop: Header=BB47_17 Depth=1
	;; [unrolled: 6-line block ×3, first 2 shown]
	flat_load_u8 v0, v[0:1]
	s_mov_b32 s16, 0
	s_mov_b32 s18, exec_lo
                                        ; implicit-def: $sgpr17
	s_waitcnt vmcnt(0) lgkmcnt(0)
	v_cmpx_lt_i16_e32 0x7f, v0
	s_xor_b32 s18, exec_lo, s18
	s_cbranch_execnz .LBB47_980
; %bb.58:                               ;   in Loop: Header=BB47_17 Depth=1
	s_or_saveexec_b32 s18, s18
	v_mov_b32_e32 v16, s17
	s_xor_b32 exec_lo, exec_lo, s18
	s_cbranch_execnz .LBB47_983
.LBB47_59:                              ;   in Loop: Header=BB47_17 Depth=1
	s_or_b32 exec_lo, exec_lo, s18
	s_and_saveexec_b32 s17, s16
	s_cbranch_execz .LBB47_61
.LBB47_60:                              ;   in Loop: Header=BB47_17 Depth=1
	v_and_b32_e32 v1, 0xffff, v0
	v_lshlrev_b32_e32 v0, 24, v0
	s_delay_alu instid0(VALU_DEP_2) | instskip(NEXT) | instid1(VALU_DEP_2)
	v_and_b32_e32 v14, 3, v1
	v_and_b32_e32 v0, 0x80000000, v0
	s_delay_alu instid0(VALU_DEP_2) | instskip(NEXT) | instid1(VALU_DEP_1)
	v_clz_i32_u32_e32 v16, v14
	v_min_u32_e32 v16, 32, v16
	s_delay_alu instid0(VALU_DEP_1) | instskip(SKIP_1) | instid1(VALU_DEP_2)
	v_subrev_nc_u32_e32 v17, 29, v16
	v_sub_nc_u32_e32 v16, 30, v16
	v_lshlrev_b32_e32 v17, v17, v1
	v_bfe_u32 v1, v1, 2, 5
	s_delay_alu instid0(VALU_DEP_2) | instskip(NEXT) | instid1(VALU_DEP_2)
	v_and_b32_e32 v17, 3, v17
	v_cmp_eq_u32_e32 vcc_lo, 0, v1
	s_delay_alu instid0(VALU_DEP_2) | instskip(NEXT) | instid1(VALU_DEP_1)
	v_dual_cndmask_b32 v1, v1, v16 :: v_dual_cndmask_b32 v14, v14, v17
	v_lshl_add_u32 v1, v1, 23, 0x37800000
	s_delay_alu instid0(VALU_DEP_2) | instskip(NEXT) | instid1(VALU_DEP_1)
	v_lshlrev_b32_e32 v14, 21, v14
	v_or3_b32 v16, v0, v1, v14
.LBB47_61:                              ;   in Loop: Header=BB47_17 Depth=1
	s_or_b32 exec_lo, exec_lo, s17
                                        ; implicit-def: $vgpr0_vgpr1
.LBB47_62:                              ;   in Loop: Header=BB47_17 Depth=1
	s_and_not1_saveexec_b32 s15, s15
	s_cbranch_execz .LBB47_64
; %bb.63:                               ;   in Loop: Header=BB47_17 Depth=1
	flat_load_u8 v0, v[0:1]
	s_waitcnt vmcnt(0) lgkmcnt(0)
	v_lshlrev_b32_e32 v0, 24, v0
	s_delay_alu instid0(VALU_DEP_1) | instskip(NEXT) | instid1(VALU_DEP_1)
	v_and_b32_e32 v1, 0x7f000000, v0
	v_clz_i32_u32_e32 v14, v1
	v_add_nc_u32_e32 v17, 0x1000000, v1
	v_cmp_ne_u32_e32 vcc_lo, 0, v1
	s_delay_alu instid0(VALU_DEP_3) | instskip(NEXT) | instid1(VALU_DEP_1)
	v_min_u32_e32 v14, 32, v14
	v_sub_nc_u32_e64 v14, v14, 4 clamp
	s_delay_alu instid0(VALU_DEP_1) | instskip(SKIP_1) | instid1(VALU_DEP_2)
	v_lshlrev_b32_e32 v16, v14, v1
	v_lshlrev_b32_e32 v14, 23, v14
	v_lshrrev_b32_e32 v16, 4, v16
	s_delay_alu instid0(VALU_DEP_1) | instskip(SKIP_1) | instid1(VALU_DEP_2)
	v_sub_nc_u32_e32 v14, v16, v14
	v_ashrrev_i32_e32 v16, 8, v17
	v_add_nc_u32_e32 v14, 0x3c000000, v14
	s_delay_alu instid0(VALU_DEP_1) | instskip(NEXT) | instid1(VALU_DEP_1)
	v_and_or_b32 v14, 0x7f800000, v16, v14
	v_cndmask_b32_e32 v1, 0, v14, vcc_lo
	s_delay_alu instid0(VALU_DEP_1)
	v_and_or_b32 v16, 0x80000000, v0, v1
.LBB47_64:                              ;   in Loop: Header=BB47_17 Depth=1
	s_or_b32 exec_lo, exec_lo, s15
                                        ; implicit-def: $vgpr0_vgpr1
.LBB47_65:                              ;   in Loop: Header=BB47_17 Depth=1
	s_and_not1_saveexec_b32 s14, s14
	s_cbranch_execz .LBB47_67
; %bb.66:                               ;   in Loop: Header=BB47_17 Depth=1
	flat_load_u8 v0, v[0:1]
	s_waitcnt vmcnt(0) lgkmcnt(0)
	v_lshlrev_b32_e32 v1, 25, v0
	v_lshlrev_b16 v0, 8, v0
	s_delay_alu instid0(VALU_DEP_2) | instskip(NEXT) | instid1(VALU_DEP_2)
	v_lshrrev_b32_e32 v14, 4, v1
	v_and_or_b32 v16, 0x7f00, v0, 0.5
	v_bfe_i32 v0, v0, 0, 16
	s_delay_alu instid0(VALU_DEP_3) | instskip(NEXT) | instid1(VALU_DEP_3)
	v_or_b32_e32 v14, 0x70000000, v14
	v_add_f32_e32 v16, -0.5, v16
	s_delay_alu instid0(VALU_DEP_2) | instskip(SKIP_1) | instid1(VALU_DEP_2)
	v_mul_f32_e32 v14, 0x7800000, v14
	v_cmp_gt_u32_e32 vcc_lo, 0x8000000, v1
	v_cndmask_b32_e32 v1, v14, v16, vcc_lo
	s_delay_alu instid0(VALU_DEP_1)
	v_and_or_b32 v16, 0x80000000, v0, v1
.LBB47_67:                              ;   in Loop: Header=BB47_17 Depth=1
	s_or_b32 exec_lo, exec_lo, s14
	s_delay_alu instid0(SALU_CYCLE_1)
	s_or_b32 s14, s10, exec_lo
                                        ; implicit-def: $vgpr0_vgpr1
.LBB47_68:                              ;   in Loop: Header=BB47_17 Depth=1
	s_or_saveexec_b32 s13, s13
                                        ; implicit-def: $sgpr15
                                        ; implicit-def: $sgpr17
	s_delay_alu instid0(SALU_CYCLE_1)
	s_xor_b32 exec_lo, exec_lo, s13
	s_cbranch_execz .LBB47_78
; %bb.69:                               ;   in Loop: Header=BB47_17 Depth=1
	s_mov_b32 s16, s14
	s_mov_b32 s18, exec_lo
                                        ; implicit-def: $sgpr17
                                        ; implicit-def: $sgpr15
                                        ; implicit-def: $vgpr16
	v_cmpx_lt_i16_e32 14, v7
	s_xor_b32 s18, exec_lo, s18
	s_cbranch_execz .LBB47_73
; %bb.70:                               ;   in Loop: Header=BB47_17 Depth=1
	s_mov_b32 s16, s14
	s_mov_b32 s15, exec_lo
                                        ; implicit-def: $vgpr16
	v_cmpx_eq_u16_e32 15, v7
	s_cbranch_execz .LBB47_72
; %bb.71:                               ;   in Loop: Header=BB47_17 Depth=1
	flat_load_u16 v0, v[0:1]
	s_or_b32 s16, s14, exec_lo
	s_waitcnt vmcnt(0) lgkmcnt(0)
	v_lshlrev_b32_e32 v16, 16, v0
.LBB47_72:                              ;   in Loop: Header=BB47_17 Depth=1
	s_or_b32 exec_lo, exec_lo, s15
	s_delay_alu instid0(SALU_CYCLE_1)
	s_and_not1_b32 s19, s14, exec_lo
	s_and_b32 s16, s16, exec_lo
	s_mov_b32 s15, -1
	s_mov_b32 s17, 0
	s_or_b32 s16, s19, s16
                                        ; implicit-def: $vgpr0_vgpr1
.LBB47_73:                              ;   in Loop: Header=BB47_17 Depth=1
	s_and_not1_saveexec_b32 s18, s18
	s_cbranch_execz .LBB47_77
; %bb.74:                               ;   in Loop: Header=BB47_17 Depth=1
	s_mov_b32 s19, s16
	s_mov_b32 s20, exec_lo
                                        ; implicit-def: $vgpr16
	v_cmpx_eq_u16_e32 11, v7
	s_cbranch_execz .LBB47_76
; %bb.75:                               ;   in Loop: Header=BB47_17 Depth=1
	flat_load_u8 v0, v[0:1]
	s_or_b32 s19, s16, exec_lo
	s_waitcnt vmcnt(0) lgkmcnt(0)
	v_cmp_ne_u16_e32 vcc_lo, 0, v0
	v_cndmask_b32_e64 v16, 0, 1.0, vcc_lo
.LBB47_76:                              ;   in Loop: Header=BB47_17 Depth=1
	s_or_b32 exec_lo, exec_lo, s20
	s_delay_alu instid0(SALU_CYCLE_1)
	s_and_not1_b32 s16, s16, exec_lo
	s_and_b32 s19, s19, exec_lo
	s_and_not1_b32 s17, s17, exec_lo
	s_or_b32 s15, s15, exec_lo
	s_or_b32 s16, s16, s19
.LBB47_77:                              ;   in Loop: Header=BB47_17 Depth=1
	s_or_b32 exec_lo, exec_lo, s18
	s_delay_alu instid0(SALU_CYCLE_1)
	s_and_not1_b32 s14, s14, exec_lo
	s_and_b32 s16, s16, exec_lo
	s_and_b32 s17, s17, exec_lo
	;; [unrolled: 1-line block ×3, first 2 shown]
	s_or_b32 s14, s14, s16
.LBB47_78:                              ;   in Loop: Header=BB47_17 Depth=1
	s_or_b32 exec_lo, exec_lo, s13
	s_delay_alu instid0(SALU_CYCLE_1)
	s_and_not1_b32 s8, s8, exec_lo
	s_and_b32 s13, s17, exec_lo
	s_and_not1_b32 s12, s12, exec_lo
	s_or_b32 s8, s8, s13
	s_and_b32 s13, s15, exec_lo
	s_and_not1_b32 s10, s10, exec_lo
	s_and_b32 s14, s14, exec_lo
	s_or_b32 s12, s12, s13
	s_or_b32 s10, s10, s14
.LBB47_79:                              ;   in Loop: Header=BB47_17 Depth=1
	s_or_b32 exec_lo, exec_lo, s7
	s_delay_alu instid0(SALU_CYCLE_1)
	s_and_b32 s8, s8, exec_lo
	s_and_b32 s7, s12, exec_lo
	;; [unrolled: 1-line block ×3, first 2 shown]
                                        ; implicit-def: $vgpr0_vgpr1
	s_and_not1_saveexec_b32 s9, s9
	s_cbranch_execz .LBB47_20
.LBB47_80:                              ;   in Loop: Header=BB47_17 Depth=1
	s_mov_b32 s12, exec_lo
                                        ; implicit-def: $vgpr16
	v_cmpx_lt_i16_e32 4, v7
	s_xor_b32 s12, exec_lo, s12
	s_cbranch_execz .LBB47_102
; %bb.81:                               ;   in Loop: Header=BB47_17 Depth=1
	s_mov_b32 s13, exec_lo
                                        ; implicit-def: $vgpr16
	v_cmpx_lt_i16_e32 7, v7
	s_xor_b32 s13, exec_lo, s13
	s_cbranch_execz .LBB47_91
; %bb.82:                               ;   in Loop: Header=BB47_17 Depth=1
	;; [unrolled: 6-line block ×4, first 2 shown]
	flat_load_b64 v[0:1], v[0:1]
	s_waitcnt vmcnt(0) lgkmcnt(0)
	v_cvt_f32_f64_e32 v16, v[0:1]
                                        ; implicit-def: $vgpr0_vgpr1
.LBB47_85:                              ;   in Loop: Header=BB47_17 Depth=1
	s_and_not1_saveexec_b32 s15, s15
	s_cbranch_execz .LBB47_87
; %bb.86:                               ;   in Loop: Header=BB47_17 Depth=1
	flat_load_b32 v16, v[0:1]
.LBB47_87:                              ;   in Loop: Header=BB47_17 Depth=1
	s_or_b32 exec_lo, exec_lo, s15
                                        ; implicit-def: $vgpr0_vgpr1
.LBB47_88:                              ;   in Loop: Header=BB47_17 Depth=1
	s_and_not1_saveexec_b32 s14, s14
	s_cbranch_execz .LBB47_90
; %bb.89:                               ;   in Loop: Header=BB47_17 Depth=1
	flat_load_b32 v0, v[0:1]
	s_waitcnt vmcnt(0) lgkmcnt(0)
	v_cvt_f32_f16_e32 v16, v0
.LBB47_90:                              ;   in Loop: Header=BB47_17 Depth=1
	s_or_b32 exec_lo, exec_lo, s14
                                        ; implicit-def: $vgpr0_vgpr1
.LBB47_91:                              ;   in Loop: Header=BB47_17 Depth=1
	s_and_not1_saveexec_b32 s13, s13
	s_cbranch_execz .LBB47_101
; %bb.92:                               ;   in Loop: Header=BB47_17 Depth=1
	s_mov_b32 s14, exec_lo
                                        ; implicit-def: $vgpr16
	v_cmpx_lt_i16_e32 5, v7
	s_xor_b32 s14, exec_lo, s14
	s_cbranch_execz .LBB47_98
; %bb.93:                               ;   in Loop: Header=BB47_17 Depth=1
	s_mov_b32 s15, exec_lo
                                        ; implicit-def: $vgpr16
	v_cmpx_lt_i16_e32 6, v7
	s_xor_b32 s15, exec_lo, s15
	s_cbranch_execz .LBB47_95
; %bb.94:                               ;   in Loop: Header=BB47_17 Depth=1
	flat_load_b64 v[0:1], v[0:1]
	s_waitcnt vmcnt(0) lgkmcnt(0)
	v_cvt_f32_f64_e32 v16, v[0:1]
                                        ; implicit-def: $vgpr0_vgpr1
.LBB47_95:                              ;   in Loop: Header=BB47_17 Depth=1
	s_and_not1_saveexec_b32 s15, s15
	s_cbranch_execz .LBB47_97
; %bb.96:                               ;   in Loop: Header=BB47_17 Depth=1
	s_waitcnt vmcnt(0) lgkmcnt(0)
	flat_load_b32 v16, v[0:1]
.LBB47_97:                              ;   in Loop: Header=BB47_17 Depth=1
	s_or_b32 exec_lo, exec_lo, s15
                                        ; implicit-def: $vgpr0_vgpr1
.LBB47_98:                              ;   in Loop: Header=BB47_17 Depth=1
	s_and_not1_saveexec_b32 s14, s14
	s_cbranch_execz .LBB47_100
; %bb.99:                               ;   in Loop: Header=BB47_17 Depth=1
	flat_load_u16 v0, v[0:1]
	s_waitcnt vmcnt(0) lgkmcnt(0)
	v_cvt_f32_f16_e32 v16, v0
.LBB47_100:                             ;   in Loop: Header=BB47_17 Depth=1
	s_or_b32 exec_lo, exec_lo, s14
.LBB47_101:                             ;   in Loop: Header=BB47_17 Depth=1
	s_delay_alu instid0(SALU_CYCLE_1)
	s_or_b32 exec_lo, exec_lo, s13
                                        ; implicit-def: $vgpr0_vgpr1
.LBB47_102:                             ;   in Loop: Header=BB47_17 Depth=1
	s_and_not1_saveexec_b32 s12, s12
	s_cbranch_execz .LBB47_120
; %bb.103:                              ;   in Loop: Header=BB47_17 Depth=1
	s_mov_b32 s13, exec_lo
                                        ; implicit-def: $vgpr16
	v_cmpx_lt_i16_e32 1, v7
	s_xor_b32 s13, exec_lo, s13
	s_cbranch_execz .LBB47_113
; %bb.104:                              ;   in Loop: Header=BB47_17 Depth=1
	s_mov_b32 s14, exec_lo
                                        ; implicit-def: $vgpr16
	v_cmpx_lt_i16_e32 2, v7
	s_xor_b32 s14, exec_lo, s14
	;; [unrolled: 6-line block ×3, first 2 shown]
	s_cbranch_execz .LBB47_107
; %bb.106:                              ;   in Loop: Header=BB47_17 Depth=1
	flat_load_b64 v[0:1], v[0:1]
	s_waitcnt vmcnt(0) lgkmcnt(0)
	v_xor_b32_e32 v14, v0, v1
	v_cls_i32_e32 v16, v1
	s_delay_alu instid0(VALU_DEP_2) | instskip(NEXT) | instid1(VALU_DEP_2)
	v_ashrrev_i32_e32 v14, 31, v14
	v_add_nc_u32_e32 v16, -1, v16
	s_delay_alu instid0(VALU_DEP_2) | instskip(NEXT) | instid1(VALU_DEP_1)
	v_add_nc_u32_e32 v14, 32, v14
	v_min_u32_e32 v14, v16, v14
	s_delay_alu instid0(VALU_DEP_1) | instskip(NEXT) | instid1(VALU_DEP_1)
	v_lshlrev_b64 v[0:1], v14, v[0:1]
	v_min_u32_e32 v0, 1, v0
	s_delay_alu instid0(VALU_DEP_1) | instskip(SKIP_1) | instid1(VALU_DEP_2)
	v_or_b32_e32 v0, v1, v0
	v_sub_nc_u32_e32 v1, 32, v14
	v_cvt_f32_i32_e32 v0, v0
	s_delay_alu instid0(VALU_DEP_1)
	v_ldexp_f32 v16, v0, v1
                                        ; implicit-def: $vgpr0_vgpr1
.LBB47_107:                             ;   in Loop: Header=BB47_17 Depth=1
	s_and_not1_saveexec_b32 s15, s15
	s_cbranch_execz .LBB47_109
; %bb.108:                              ;   in Loop: Header=BB47_17 Depth=1
	flat_load_b32 v0, v[0:1]
	s_waitcnt vmcnt(0) lgkmcnt(0)
	v_cvt_f32_i32_e32 v16, v0
.LBB47_109:                             ;   in Loop: Header=BB47_17 Depth=1
	s_or_b32 exec_lo, exec_lo, s15
                                        ; implicit-def: $vgpr0_vgpr1
.LBB47_110:                             ;   in Loop: Header=BB47_17 Depth=1
	s_and_not1_saveexec_b32 s14, s14
	s_cbranch_execz .LBB47_112
; %bb.111:                              ;   in Loop: Header=BB47_17 Depth=1
	flat_load_i16 v0, v[0:1]
	s_waitcnt vmcnt(0) lgkmcnt(0)
	v_cvt_f32_i32_e32 v16, v0
.LBB47_112:                             ;   in Loop: Header=BB47_17 Depth=1
	s_or_b32 exec_lo, exec_lo, s14
                                        ; implicit-def: $vgpr0_vgpr1
.LBB47_113:                             ;   in Loop: Header=BB47_17 Depth=1
	s_and_not1_saveexec_b32 s13, s13
	s_cbranch_execz .LBB47_119
; %bb.114:                              ;   in Loop: Header=BB47_17 Depth=1
	s_mov_b32 s14, exec_lo
                                        ; implicit-def: $vgpr16
	v_cmpx_lt_i16_e32 0, v7
	s_xor_b32 s14, exec_lo, s14
	s_cbranch_execz .LBB47_116
; %bb.115:                              ;   in Loop: Header=BB47_17 Depth=1
	flat_load_i8 v0, v[0:1]
	s_waitcnt vmcnt(0) lgkmcnt(0)
	v_cvt_f32_i32_e32 v16, v0
                                        ; implicit-def: $vgpr0_vgpr1
.LBB47_116:                             ;   in Loop: Header=BB47_17 Depth=1
	s_and_not1_saveexec_b32 s14, s14
	s_cbranch_execz .LBB47_118
; %bb.117:                              ;   in Loop: Header=BB47_17 Depth=1
	flat_load_u8 v0, v[0:1]
	s_waitcnt vmcnt(0) lgkmcnt(0)
	v_cvt_f32_ubyte0_e32 v16, v0
.LBB47_118:                             ;   in Loop: Header=BB47_17 Depth=1
	s_or_b32 exec_lo, exec_lo, s14
.LBB47_119:                             ;   in Loop: Header=BB47_17 Depth=1
	s_delay_alu instid0(SALU_CYCLE_1)
	s_or_b32 exec_lo, exec_lo, s13
.LBB47_120:                             ;   in Loop: Header=BB47_17 Depth=1
	s_delay_alu instid0(SALU_CYCLE_1) | instskip(NEXT) | instid1(SALU_CYCLE_1)
	s_or_b32 exec_lo, exec_lo, s12
	s_and_not1_b32 s8, s8, exec_lo
	s_and_not1_b32 s7, s7, exec_lo
	s_or_b32 s10, s10, exec_lo
	s_or_b32 exec_lo, exec_lo, s9
	s_mov_b32 s12, 0
	s_and_saveexec_b32 s9, s10
	s_cbranch_execz .LBB47_126
.LBB47_121:                             ;   in Loop: Header=BB47_17 Depth=1
	v_add_nc_u32_e64 v14, s1, s33
	s_mov_b32 s14, 0
	s_mov_b32 s10, exec_lo
                                        ; implicit-def: $sgpr12
                                        ; implicit-def: $sgpr13
	s_delay_alu instid0(VALU_DEP_1) | instskip(SKIP_4) | instid1(VALU_DEP_2)
	v_add_nc_u32_e32 v0, 4, v14
	s_waitcnt vmcnt(0) lgkmcnt(0)
	scratch_store_b32 v0, v16, off
	v_mul_lo_u32 v0, v15, v10
	v_and_b32_e32 v16, 0xff, v8
                                        ; implicit-def: $vgpr15
	v_add_co_u32 v0, vcc_lo, v4, v0
	v_add_co_ci_u32_e32 v1, vcc_lo, 0, v5, vcc_lo
	s_delay_alu instid0(VALU_DEP_3)
	v_cmpx_lt_i16_e32 10, v16
	s_xor_b32 s10, exec_lo, s10
	s_cbranch_execnz .LBB47_132
; %bb.122:                              ;   in Loop: Header=BB47_17 Depth=1
	s_and_not1_saveexec_b32 s10, s10
	s_cbranch_execnz .LBB47_191
.LBB47_123:                             ;   in Loop: Header=BB47_17 Depth=1
	s_or_b32 exec_lo, exec_lo, s10
	s_mov_b32 s10, 0
	s_and_saveexec_b32 s15, s14
	s_cbranch_execz .LBB47_125
.LBB47_124:                             ;   in Loop: Header=BB47_17 Depth=1
	v_add_nc_u32_e32 v13, 0x200, v13
	s_mov_b32 s10, exec_lo
	s_and_not1_b32 s13, s13, exec_lo
	s_and_not1_b32 s12, s12, exec_lo
	s_waitcnt vmcnt(0) lgkmcnt(0)
	scratch_store_b32 v14, v15, off
.LBB47_125:                             ;   in Loop: Header=BB47_17 Depth=1
	s_or_b32 exec_lo, exec_lo, s15
	s_delay_alu instid0(SALU_CYCLE_1)
	s_and_not1_b32 s8, s8, exec_lo
	s_and_b32 s13, s13, exec_lo
	s_and_not1_b32 s7, s7, exec_lo
	s_and_b32 s12, s12, exec_lo
	s_or_b32 s8, s8, s13
	s_or_b32 s7, s7, s12
	s_and_b32 s12, s10, exec_lo
.LBB47_126:                             ;   in Loop: Header=BB47_17 Depth=1
	s_or_b32 exec_lo, exec_lo, s9
	s_delay_alu instid0(SALU_CYCLE_1)
	s_and_b32 s10, s8, exec_lo
	s_and_b32 s9, s7, exec_lo
	s_or_not1_b32 s7, s12, exec_lo
.LBB47_127:                             ;   in Loop: Header=BB47_17 Depth=1
	s_or_b32 exec_lo, exec_lo, s6
	s_delay_alu instid0(SALU_CYCLE_1)
	s_and_not1_b32 s5, s5, exec_lo
	s_and_b32 s6, s10, exec_lo
	s_and_not1_b32 s4, s4, exec_lo
	s_and_b32 s9, s9, exec_lo
	s_mov_b32 s8, -1
	s_or_b32 s5, s5, s6
	s_or_b32 s4, s4, s9
	s_and_saveexec_b32 s6, s7
	s_cbranch_execz .LBB47_16
; %bb.128:                              ;   in Loop: Header=BB47_17 Depth=1
	s_mov_b32 s10, -1
	s_mov_b32 s12, -1
	s_mov_b32 s9, exec_lo
                                        ; implicit-def: $sgpr7
                                        ; implicit-def: $sgpr8
	v_cmpx_lt_i32_e64 v13, v6
	s_cbranch_execz .LBB47_338
; %bb.129:                              ;   in Loop: Header=BB47_17 Depth=1
	s_waitcnt vmcnt(0) lgkmcnt(0)
	v_add_nc_u32_e32 v15, s11, v13
	s_mov_b32 s13, 0
	s_mov_b32 s12, exec_lo
                                        ; implicit-def: $sgpr7
                                        ; implicit-def: $sgpr8
                                        ; implicit-def: $vgpr16
	s_delay_alu instid0(VALU_DEP_1) | instskip(NEXT) | instid1(VALU_DEP_1)
	v_mul_lo_u32 v0, v15, v9
	v_add_co_u32 v0, vcc_lo, v2, v0
	v_add_co_ci_u32_e32 v1, vcc_lo, 0, v3, vcc_lo
	v_cmpx_lt_i16_e32 10, v7
	s_xor_b32 s12, exec_lo, s12
	s_cbranch_execnz .LBB47_232
; %bb.130:                              ;   in Loop: Header=BB47_17 Depth=1
	s_and_not1_saveexec_b32 s12, s12
	s_cbranch_execnz .LBB47_291
.LBB47_131:                             ;   in Loop: Header=BB47_17 Depth=1
	s_or_b32 exec_lo, exec_lo, s12
	s_mov_b32 s14, 0
	s_and_saveexec_b32 s12, s13
	s_cbranch_execnz .LBB47_332
	s_branch .LBB47_337
.LBB47_132:                             ;   in Loop: Header=BB47_17 Depth=1
	s_mov_b32 s12, exec_lo
                                        ; implicit-def: $sgpr15
                                        ; implicit-def: $sgpr13
                                        ; implicit-def: $vgpr15
	v_cmpx_lt_i16_e32 25, v16
	s_xor_b32 s12, exec_lo, s12
	s_cbranch_execz .LBB47_164
; %bb.133:                              ;   in Loop: Header=BB47_17 Depth=1
	s_mov_b32 s13, exec_lo
                                        ; implicit-def: $sgpr15
                                        ; implicit-def: $sgpr16
                                        ; implicit-def: $vgpr15
	v_cmpx_lt_i16_e32 28, v16
	s_xor_b32 s13, exec_lo, s13
	s_cbranch_execz .LBB47_149
; %bb.134:                              ;   in Loop: Header=BB47_17 Depth=1
	s_mov_b32 s17, 0
	s_mov_b32 s14, exec_lo
                                        ; implicit-def: $sgpr15
                                        ; implicit-def: $sgpr16
                                        ; implicit-def: $vgpr15
	v_cmpx_lt_i16_e32 43, v16
	s_xor_b32 s14, exec_lo, s14
	s_cbranch_execz .LBB47_144
; %bb.135:                              ;   in Loop: Header=BB47_17 Depth=1
	s_mov_b32 s18, exec_lo
                                        ; implicit-def: $sgpr16
                                        ; implicit-def: $sgpr15
                                        ; implicit-def: $vgpr15
	v_cmpx_lt_i16_e32 45, v16
	s_xor_b32 s18, exec_lo, s18
	s_cbranch_execz .LBB47_139
; %bb.136:                              ;   in Loop: Header=BB47_17 Depth=1
	s_mov_b32 s15, 0
	s_mov_b32 s16, exec_lo
                                        ; implicit-def: $vgpr15
	v_cmpx_eq_u16_e32 46, v16
	s_cbranch_execz .LBB47_138
; %bb.137:                              ;   in Loop: Header=BB47_17 Depth=1
	flat_load_b32 v0, v[0:1]
	s_mov_b32 s17, exec_lo
	s_waitcnt vmcnt(0) lgkmcnt(0)
	v_lshlrev_b32_e32 v15, 16, v0
.LBB47_138:                             ;   in Loop: Header=BB47_17 Depth=1
	s_or_b32 exec_lo, exec_lo, s16
	s_mov_b32 s16, -1
	s_and_b32 s17, s17, exec_lo
                                        ; implicit-def: $vgpr16
                                        ; implicit-def: $vgpr0_vgpr1
.LBB47_139:                             ;   in Loop: Header=BB47_17 Depth=1
	s_and_not1_saveexec_b32 s18, s18
	s_cbranch_execz .LBB47_143
; %bb.140:                              ;   in Loop: Header=BB47_17 Depth=1
	s_mov_b32 s20, s17
	s_mov_b32 s19, exec_lo
                                        ; implicit-def: $vgpr15
	v_cmpx_eq_u16_e32 44, v16
	s_cbranch_execz .LBB47_142
; %bb.141:                              ;   in Loop: Header=BB47_17 Depth=1
	flat_load_u8 v0, v[0:1]
	s_or_b32 s20, s17, exec_lo
	s_waitcnt vmcnt(0) lgkmcnt(0)
	v_lshlrev_b32_e32 v1, 23, v0
	v_cmp_ne_u32_e32 vcc_lo, 0xff, v0
	s_delay_alu instid0(VALU_DEP_2) | instskip(SKIP_1) | instid1(VALU_DEP_2)
	v_cndmask_b32_e32 v1, 0x7f800001, v1, vcc_lo
	v_cmp_ne_u32_e32 vcc_lo, 0, v0
	v_cndmask_b32_e32 v15, 0x400000, v1, vcc_lo
.LBB47_142:                             ;   in Loop: Header=BB47_17 Depth=1
	s_or_b32 exec_lo, exec_lo, s19
	s_delay_alu instid0(SALU_CYCLE_1)
	s_and_not1_b32 s17, s17, exec_lo
	s_and_b32 s19, s20, exec_lo
	s_or_b32 s16, s16, exec_lo
	s_and_not1_b32 s15, s15, exec_lo
	s_or_b32 s17, s17, s19
.LBB47_143:                             ;   in Loop: Header=BB47_17 Depth=1
	s_or_b32 exec_lo, exec_lo, s18
	s_delay_alu instid0(SALU_CYCLE_1)
	s_and_b32 s16, s16, exec_lo
	s_and_b32 s15, s15, exec_lo
	s_and_b32 s17, s17, exec_lo
                                        ; implicit-def: $vgpr16
                                        ; implicit-def: $vgpr0_vgpr1
.LBB47_144:                             ;   in Loop: Header=BB47_17 Depth=1
	s_and_not1_saveexec_b32 s14, s14
	s_cbranch_execz .LBB47_148
; %bb.145:                              ;   in Loop: Header=BB47_17 Depth=1
	s_mov_b32 s19, s17
	s_mov_b32 s18, exec_lo
                                        ; implicit-def: $vgpr15
	v_cmpx_eq_u16_e32 29, v16
	s_cbranch_execz .LBB47_147
; %bb.146:                              ;   in Loop: Header=BB47_17 Depth=1
	flat_load_b64 v[0:1], v[0:1]
	s_or_b32 s19, s17, exec_lo
	s_waitcnt vmcnt(0) lgkmcnt(0)
	v_clz_i32_u32_e32 v15, v1
	s_delay_alu instid0(VALU_DEP_1) | instskip(NEXT) | instid1(VALU_DEP_1)
	v_min_u32_e32 v15, 32, v15
	v_lshlrev_b64 v[0:1], v15, v[0:1]
	s_delay_alu instid0(VALU_DEP_1) | instskip(NEXT) | instid1(VALU_DEP_1)
	v_min_u32_e32 v0, 1, v0
	v_or_b32_e32 v0, v1, v0
	v_sub_nc_u32_e32 v1, 32, v15
	s_delay_alu instid0(VALU_DEP_2) | instskip(NEXT) | instid1(VALU_DEP_1)
	v_cvt_f32_u32_e32 v0, v0
	v_ldexp_f32 v15, v0, v1
.LBB47_147:                             ;   in Loop: Header=BB47_17 Depth=1
	s_or_b32 exec_lo, exec_lo, s18
	s_delay_alu instid0(SALU_CYCLE_1)
	s_and_not1_b32 s17, s17, exec_lo
	s_and_b32 s18, s19, exec_lo
	s_or_b32 s16, s16, exec_lo
	s_and_not1_b32 s15, s15, exec_lo
	s_or_b32 s17, s17, s18
.LBB47_148:                             ;   in Loop: Header=BB47_17 Depth=1
	s_or_b32 exec_lo, exec_lo, s14
	s_delay_alu instid0(SALU_CYCLE_1)
	s_and_b32 s16, s16, exec_lo
	s_and_b32 s15, s15, exec_lo
	;; [unrolled: 1-line block ×3, first 2 shown]
                                        ; implicit-def: $vgpr16
                                        ; implicit-def: $vgpr0_vgpr1
.LBB47_149:                             ;   in Loop: Header=BB47_17 Depth=1
	s_and_not1_saveexec_b32 s13, s13
	s_cbranch_execz .LBB47_163
; %bb.150:                              ;   in Loop: Header=BB47_17 Depth=1
	s_mov_b32 s17, exec_lo
                                        ; implicit-def: $vgpr15
	v_cmpx_lt_i16_e32 26, v16
	s_xor_b32 s17, exec_lo, s17
	s_cbranch_execz .LBB47_156
; %bb.151:                              ;   in Loop: Header=BB47_17 Depth=1
	s_mov_b32 s18, exec_lo
                                        ; implicit-def: $vgpr15
	v_cmpx_lt_i16_e32 27, v16
	s_xor_b32 s18, exec_lo, s18
	s_cbranch_execz .LBB47_153
; %bb.152:                              ;   in Loop: Header=BB47_17 Depth=1
	flat_load_b32 v0, v[0:1]
	s_waitcnt vmcnt(0) lgkmcnt(0)
	v_cvt_f32_u32_e32 v15, v0
                                        ; implicit-def: $vgpr0_vgpr1
.LBB47_153:                             ;   in Loop: Header=BB47_17 Depth=1
	s_and_not1_saveexec_b32 s18, s18
	s_cbranch_execz .LBB47_155
; %bb.154:                              ;   in Loop: Header=BB47_17 Depth=1
	flat_load_u16 v0, v[0:1]
	s_waitcnt vmcnt(0) lgkmcnt(0)
	v_cvt_f32_u32_e32 v15, v0
.LBB47_155:                             ;   in Loop: Header=BB47_17 Depth=1
	s_or_b32 exec_lo, exec_lo, s18
                                        ; implicit-def: $vgpr0_vgpr1
.LBB47_156:                             ;   in Loop: Header=BB47_17 Depth=1
	s_and_not1_saveexec_b32 s17, s17
	s_cbranch_execz .LBB47_162
; %bb.157:                              ;   in Loop: Header=BB47_17 Depth=1
	flat_load_u8 v0, v[0:1]
	s_mov_b32 s18, 0
	s_mov_b32 s20, exec_lo
                                        ; implicit-def: $sgpr19
	s_waitcnt vmcnt(0) lgkmcnt(0)
	v_cmpx_lt_i16_e32 0x7f, v0
	s_xor_b32 s20, exec_lo, s20
	s_cbranch_execnz .LBB47_984
; %bb.158:                              ;   in Loop: Header=BB47_17 Depth=1
	s_or_saveexec_b32 s20, s20
	v_mov_b32_e32 v15, s19
	s_xor_b32 exec_lo, exec_lo, s20
	s_cbranch_execnz .LBB47_987
.LBB47_159:                             ;   in Loop: Header=BB47_17 Depth=1
	s_or_b32 exec_lo, exec_lo, s20
	s_and_saveexec_b32 s19, s18
	s_cbranch_execz .LBB47_161
.LBB47_160:                             ;   in Loop: Header=BB47_17 Depth=1
	v_and_b32_e32 v1, 0xffff, v0
	s_delay_alu instid0(VALU_DEP_1) | instskip(NEXT) | instid1(VALU_DEP_1)
	v_and_b32_e32 v15, 7, v1
	v_clz_i32_u32_e32 v16, v15
	s_delay_alu instid0(VALU_DEP_1) | instskip(NEXT) | instid1(VALU_DEP_1)
	v_min_u32_e32 v16, 32, v16
	v_subrev_nc_u32_e32 v17, 28, v16
	v_sub_nc_u32_e32 v16, 29, v16
	s_delay_alu instid0(VALU_DEP_2) | instskip(SKIP_1) | instid1(VALU_DEP_2)
	v_lshlrev_b32_e32 v17, v17, v1
	v_bfe_u32 v1, v1, 3, 4
	v_and_b32_e32 v17, 7, v17
	s_delay_alu instid0(VALU_DEP_2) | instskip(NEXT) | instid1(VALU_DEP_2)
	v_cmp_eq_u32_e32 vcc_lo, 0, v1
	v_dual_cndmask_b32 v15, v15, v17 :: v_dual_lshlrev_b32 v0, 24, v0
	v_cndmask_b32_e32 v1, v1, v16, vcc_lo
	s_delay_alu instid0(VALU_DEP_2) | instskip(NEXT) | instid1(VALU_DEP_3)
	v_and_b32_e32 v0, 0x80000000, v0
	v_lshlrev_b32_e32 v15, 20, v15
	s_delay_alu instid0(VALU_DEP_3) | instskip(NEXT) | instid1(VALU_DEP_1)
	v_lshl_add_u32 v1, v1, 23, 0x3b800000
	v_or3_b32 v15, v0, v1, v15
.LBB47_161:                             ;   in Loop: Header=BB47_17 Depth=1
	s_or_b32 exec_lo, exec_lo, s19
.LBB47_162:                             ;   in Loop: Header=BB47_17 Depth=1
	s_delay_alu instid0(SALU_CYCLE_1) | instskip(NEXT) | instid1(SALU_CYCLE_1)
	s_or_b32 exec_lo, exec_lo, s17
	s_and_not1_b32 s16, s16, exec_lo
	s_and_not1_b32 s15, s15, exec_lo
	s_or_b32 s14, s14, exec_lo
.LBB47_163:                             ;   in Loop: Header=BB47_17 Depth=1
	s_or_b32 exec_lo, exec_lo, s13
	s_delay_alu instid0(SALU_CYCLE_1)
	s_and_b32 s13, s16, exec_lo
	s_and_b32 s15, s15, exec_lo
	;; [unrolled: 1-line block ×3, first 2 shown]
                                        ; implicit-def: $vgpr16
                                        ; implicit-def: $vgpr0_vgpr1
.LBB47_164:                             ;   in Loop: Header=BB47_17 Depth=1
	s_and_not1_saveexec_b32 s12, s12
	s_cbranch_execz .LBB47_190
; %bb.165:                              ;   in Loop: Header=BB47_17 Depth=1
	s_mov_b32 s17, s14
	s_mov_b32 s16, exec_lo
                                        ; implicit-def: $vgpr15
	v_cmpx_lt_i16_e32 22, v16
	s_xor_b32 s16, exec_lo, s16
	s_cbranch_execz .LBB47_179
; %bb.166:                              ;   in Loop: Header=BB47_17 Depth=1
	s_mov_b32 s17, exec_lo
                                        ; implicit-def: $vgpr15
	v_cmpx_lt_i16_e32 23, v16
	s_xor_b32 s17, exec_lo, s17
	s_cbranch_execz .LBB47_176
; %bb.167:                              ;   in Loop: Header=BB47_17 Depth=1
	;; [unrolled: 6-line block ×3, first 2 shown]
	flat_load_u8 v0, v[0:1]
	s_mov_b32 s19, 0
	s_mov_b32 s21, exec_lo
                                        ; implicit-def: $sgpr20
	s_waitcnt vmcnt(0) lgkmcnt(0)
	v_cmpx_lt_i16_e32 0x7f, v0
	s_xor_b32 s21, exec_lo, s21
	s_cbranch_execnz .LBB47_1203
; %bb.169:                              ;   in Loop: Header=BB47_17 Depth=1
	s_or_saveexec_b32 s21, s21
	v_mov_b32_e32 v15, s20
	s_xor_b32 exec_lo, exec_lo, s21
	s_cbranch_execnz .LBB47_1206
.LBB47_170:                             ;   in Loop: Header=BB47_17 Depth=1
	s_or_b32 exec_lo, exec_lo, s21
	s_and_saveexec_b32 s20, s19
	s_cbranch_execz .LBB47_172
.LBB47_171:                             ;   in Loop: Header=BB47_17 Depth=1
	v_and_b32_e32 v1, 0xffff, v0
	s_delay_alu instid0(VALU_DEP_1) | instskip(NEXT) | instid1(VALU_DEP_1)
	v_and_b32_e32 v15, 3, v1
	v_clz_i32_u32_e32 v16, v15
	s_delay_alu instid0(VALU_DEP_1) | instskip(NEXT) | instid1(VALU_DEP_1)
	v_min_u32_e32 v16, 32, v16
	v_subrev_nc_u32_e32 v17, 29, v16
	v_sub_nc_u32_e32 v16, 30, v16
	s_delay_alu instid0(VALU_DEP_2) | instskip(SKIP_1) | instid1(VALU_DEP_2)
	v_lshlrev_b32_e32 v17, v17, v1
	v_bfe_u32 v1, v1, 2, 5
	v_and_b32_e32 v17, 3, v17
	s_delay_alu instid0(VALU_DEP_2) | instskip(NEXT) | instid1(VALU_DEP_2)
	v_cmp_eq_u32_e32 vcc_lo, 0, v1
	v_dual_cndmask_b32 v15, v15, v17 :: v_dual_lshlrev_b32 v0, 24, v0
	v_cndmask_b32_e32 v1, v1, v16, vcc_lo
	s_delay_alu instid0(VALU_DEP_2) | instskip(NEXT) | instid1(VALU_DEP_3)
	v_and_b32_e32 v0, 0x80000000, v0
	v_lshlrev_b32_e32 v15, 21, v15
	s_delay_alu instid0(VALU_DEP_3) | instskip(NEXT) | instid1(VALU_DEP_1)
	v_lshl_add_u32 v1, v1, 23, 0x37800000
	v_or3_b32 v15, v0, v1, v15
.LBB47_172:                             ;   in Loop: Header=BB47_17 Depth=1
	s_or_b32 exec_lo, exec_lo, s20
                                        ; implicit-def: $vgpr0_vgpr1
.LBB47_173:                             ;   in Loop: Header=BB47_17 Depth=1
	s_and_not1_saveexec_b32 s18, s18
	s_cbranch_execz .LBB47_175
; %bb.174:                              ;   in Loop: Header=BB47_17 Depth=1
	flat_load_u8 v0, v[0:1]
	s_waitcnt vmcnt(0) lgkmcnt(0)
	v_lshlrev_b32_e32 v0, 24, v0
	s_delay_alu instid0(VALU_DEP_1) | instskip(NEXT) | instid1(VALU_DEP_1)
	v_and_b32_e32 v1, 0x7f000000, v0
	v_clz_i32_u32_e32 v15, v1
	v_add_nc_u32_e32 v17, 0x1000000, v1
	v_cmp_ne_u32_e32 vcc_lo, 0, v1
	s_delay_alu instid0(VALU_DEP_3) | instskip(NEXT) | instid1(VALU_DEP_1)
	v_min_u32_e32 v15, 32, v15
	v_sub_nc_u32_e64 v15, v15, 4 clamp
	s_delay_alu instid0(VALU_DEP_1) | instskip(SKIP_1) | instid1(VALU_DEP_2)
	v_lshlrev_b32_e32 v16, v15, v1
	v_lshlrev_b32_e32 v15, 23, v15
	v_lshrrev_b32_e32 v16, 4, v16
	s_delay_alu instid0(VALU_DEP_1) | instskip(SKIP_1) | instid1(VALU_DEP_2)
	v_sub_nc_u32_e32 v15, v16, v15
	v_ashrrev_i32_e32 v16, 8, v17
	v_add_nc_u32_e32 v15, 0x3c000000, v15
	s_delay_alu instid0(VALU_DEP_1) | instskip(NEXT) | instid1(VALU_DEP_1)
	v_and_or_b32 v15, 0x7f800000, v16, v15
	v_cndmask_b32_e32 v1, 0, v15, vcc_lo
	s_delay_alu instid0(VALU_DEP_1)
	v_and_or_b32 v15, 0x80000000, v0, v1
.LBB47_175:                             ;   in Loop: Header=BB47_17 Depth=1
	s_or_b32 exec_lo, exec_lo, s18
                                        ; implicit-def: $vgpr0_vgpr1
.LBB47_176:                             ;   in Loop: Header=BB47_17 Depth=1
	s_and_not1_saveexec_b32 s17, s17
	s_cbranch_execz .LBB47_178
; %bb.177:                              ;   in Loop: Header=BB47_17 Depth=1
	flat_load_u8 v0, v[0:1]
	s_waitcnt vmcnt(0) lgkmcnt(0)
	v_lshlrev_b32_e32 v1, 25, v0
	v_lshlrev_b16 v0, 8, v0
	s_delay_alu instid0(VALU_DEP_2) | instskip(NEXT) | instid1(VALU_DEP_2)
	v_lshrrev_b32_e32 v15, 4, v1
	v_and_or_b32 v16, 0x7f00, v0, 0.5
	v_cmp_gt_u32_e32 vcc_lo, 0x8000000, v1
	v_bfe_i32 v0, v0, 0, 16
	s_delay_alu instid0(VALU_DEP_4) | instskip(NEXT) | instid1(VALU_DEP_1)
	v_or_b32_e32 v15, 0x70000000, v15
	v_dual_add_f32 v16, -0.5, v16 :: v_dual_mul_f32 v15, 0x7800000, v15
	s_delay_alu instid0(VALU_DEP_1) | instskip(NEXT) | instid1(VALU_DEP_1)
	v_cndmask_b32_e32 v1, v15, v16, vcc_lo
	v_and_or_b32 v15, 0x80000000, v0, v1
.LBB47_178:                             ;   in Loop: Header=BB47_17 Depth=1
	s_or_b32 exec_lo, exec_lo, s17
	s_delay_alu instid0(SALU_CYCLE_1)
	s_or_b32 s17, s14, exec_lo
                                        ; implicit-def: $vgpr16
                                        ; implicit-def: $vgpr0_vgpr1
.LBB47_179:                             ;   in Loop: Header=BB47_17 Depth=1
	s_or_saveexec_b32 s16, s16
                                        ; implicit-def: $sgpr18
                                        ; implicit-def: $sgpr20
	s_delay_alu instid0(SALU_CYCLE_1)
	s_xor_b32 exec_lo, exec_lo, s16
	s_cbranch_execz .LBB47_189
; %bb.180:                              ;   in Loop: Header=BB47_17 Depth=1
	s_mov_b32 s19, s17
	s_mov_b32 s21, exec_lo
                                        ; implicit-def: $sgpr20
                                        ; implicit-def: $sgpr18
                                        ; implicit-def: $vgpr15
	v_cmpx_lt_i16_e32 14, v16
	s_xor_b32 s21, exec_lo, s21
	s_cbranch_execz .LBB47_184
; %bb.181:                              ;   in Loop: Header=BB47_17 Depth=1
	s_mov_b32 s19, s17
	s_mov_b32 s18, exec_lo
                                        ; implicit-def: $vgpr15
	v_cmpx_eq_u16_e32 15, v16
	s_cbranch_execz .LBB47_183
; %bb.182:                              ;   in Loop: Header=BB47_17 Depth=1
	flat_load_u16 v0, v[0:1]
	s_or_b32 s19, s17, exec_lo
	s_waitcnt vmcnt(0) lgkmcnt(0)
	v_lshlrev_b32_e32 v15, 16, v0
.LBB47_183:                             ;   in Loop: Header=BB47_17 Depth=1
	s_or_b32 exec_lo, exec_lo, s18
	s_delay_alu instid0(SALU_CYCLE_1)
	s_and_not1_b32 s22, s17, exec_lo
	s_and_b32 s19, s19, exec_lo
	s_mov_b32 s18, 0
	s_mov_b32 s20, -1
	s_or_b32 s19, s22, s19
                                        ; implicit-def: $vgpr16
                                        ; implicit-def: $vgpr0_vgpr1
.LBB47_184:                             ;   in Loop: Header=BB47_17 Depth=1
	s_and_not1_saveexec_b32 s21, s21
	s_cbranch_execz .LBB47_188
; %bb.185:                              ;   in Loop: Header=BB47_17 Depth=1
	s_mov_b32 s22, s19
	s_mov_b32 s23, exec_lo
                                        ; implicit-def: $vgpr15
	v_cmpx_eq_u16_e32 11, v16
	s_cbranch_execz .LBB47_187
; %bb.186:                              ;   in Loop: Header=BB47_17 Depth=1
	flat_load_u8 v0, v[0:1]
	s_or_b32 s22, s19, exec_lo
	s_waitcnt vmcnt(0) lgkmcnt(0)
	v_cmp_ne_u16_e32 vcc_lo, 0, v0
	v_cndmask_b32_e64 v15, 0, 1.0, vcc_lo
.LBB47_187:                             ;   in Loop: Header=BB47_17 Depth=1
	s_or_b32 exec_lo, exec_lo, s23
	s_delay_alu instid0(SALU_CYCLE_1)
	s_and_not1_b32 s19, s19, exec_lo
	s_and_b32 s22, s22, exec_lo
	s_or_b32 s20, s20, exec_lo
	s_and_not1_b32 s18, s18, exec_lo
	s_or_b32 s19, s19, s22
.LBB47_188:                             ;   in Loop: Header=BB47_17 Depth=1
	s_or_b32 exec_lo, exec_lo, s21
	s_delay_alu instid0(SALU_CYCLE_1)
	s_and_not1_b32 s17, s17, exec_lo
	s_and_b32 s19, s19, exec_lo
	s_and_b32 s20, s20, exec_lo
	;; [unrolled: 1-line block ×3, first 2 shown]
	s_or_b32 s17, s17, s19
.LBB47_189:                             ;   in Loop: Header=BB47_17 Depth=1
	s_or_b32 exec_lo, exec_lo, s16
	s_delay_alu instid0(SALU_CYCLE_1)
	s_and_not1_b32 s13, s13, exec_lo
	s_and_b32 s16, s20, exec_lo
	s_and_not1_b32 s15, s15, exec_lo
	s_or_b32 s13, s13, s16
	s_and_b32 s16, s18, exec_lo
	s_and_not1_b32 s14, s14, exec_lo
	s_and_b32 s17, s17, exec_lo
	s_or_b32 s15, s15, s16
	s_or_b32 s14, s14, s17
.LBB47_190:                             ;   in Loop: Header=BB47_17 Depth=1
	s_or_b32 exec_lo, exec_lo, s12
	s_delay_alu instid0(SALU_CYCLE_1)
	s_and_b32 s13, s13, exec_lo
	s_and_b32 s12, s15, exec_lo
	;; [unrolled: 1-line block ×3, first 2 shown]
                                        ; implicit-def: $vgpr16
                                        ; implicit-def: $vgpr0_vgpr1
	s_and_not1_saveexec_b32 s10, s10
	s_cbranch_execz .LBB47_123
.LBB47_191:                             ;   in Loop: Header=BB47_17 Depth=1
	s_mov_b32 s15, exec_lo
                                        ; implicit-def: $vgpr15
	v_cmpx_lt_i16_e32 4, v16
	s_xor_b32 s15, exec_lo, s15
	s_cbranch_execz .LBB47_213
; %bb.192:                              ;   in Loop: Header=BB47_17 Depth=1
	s_mov_b32 s16, exec_lo
                                        ; implicit-def: $vgpr15
	v_cmpx_lt_i16_e32 7, v16
	s_xor_b32 s16, exec_lo, s16
	s_cbranch_execz .LBB47_202
; %bb.193:                              ;   in Loop: Header=BB47_17 Depth=1
	;; [unrolled: 6-line block ×4, first 2 shown]
	flat_load_b64 v[0:1], v[0:1]
	s_waitcnt vmcnt(0) lgkmcnt(0)
	v_cvt_f32_f64_e32 v15, v[0:1]
                                        ; implicit-def: $vgpr0_vgpr1
.LBB47_196:                             ;   in Loop: Header=BB47_17 Depth=1
	s_and_not1_saveexec_b32 s18, s18
	s_cbranch_execz .LBB47_198
; %bb.197:                              ;   in Loop: Header=BB47_17 Depth=1
	flat_load_b32 v15, v[0:1]
.LBB47_198:                             ;   in Loop: Header=BB47_17 Depth=1
	s_or_b32 exec_lo, exec_lo, s18
                                        ; implicit-def: $vgpr0_vgpr1
.LBB47_199:                             ;   in Loop: Header=BB47_17 Depth=1
	s_and_not1_saveexec_b32 s17, s17
	s_cbranch_execz .LBB47_201
; %bb.200:                              ;   in Loop: Header=BB47_17 Depth=1
	flat_load_b32 v0, v[0:1]
	s_waitcnt vmcnt(0) lgkmcnt(0)
	v_cvt_f32_f16_e32 v15, v0
.LBB47_201:                             ;   in Loop: Header=BB47_17 Depth=1
	s_or_b32 exec_lo, exec_lo, s17
                                        ; implicit-def: $vgpr0_vgpr1
                                        ; implicit-def: $vgpr16
.LBB47_202:                             ;   in Loop: Header=BB47_17 Depth=1
	s_and_not1_saveexec_b32 s16, s16
	s_cbranch_execz .LBB47_212
; %bb.203:                              ;   in Loop: Header=BB47_17 Depth=1
	s_mov_b32 s17, exec_lo
                                        ; implicit-def: $vgpr15
	v_cmpx_lt_i16_e32 5, v16
	s_xor_b32 s17, exec_lo, s17
	s_cbranch_execz .LBB47_209
; %bb.204:                              ;   in Loop: Header=BB47_17 Depth=1
	s_mov_b32 s18, exec_lo
                                        ; implicit-def: $vgpr15
	v_cmpx_lt_i16_e32 6, v16
	s_xor_b32 s18, exec_lo, s18
	s_cbranch_execz .LBB47_206
; %bb.205:                              ;   in Loop: Header=BB47_17 Depth=1
	flat_load_b64 v[0:1], v[0:1]
	s_waitcnt vmcnt(0) lgkmcnt(0)
	v_cvt_f32_f64_e32 v15, v[0:1]
                                        ; implicit-def: $vgpr0_vgpr1
.LBB47_206:                             ;   in Loop: Header=BB47_17 Depth=1
	s_and_not1_saveexec_b32 s18, s18
	s_cbranch_execz .LBB47_208
; %bb.207:                              ;   in Loop: Header=BB47_17 Depth=1
	s_waitcnt vmcnt(0) lgkmcnt(0)
	flat_load_b32 v15, v[0:1]
.LBB47_208:                             ;   in Loop: Header=BB47_17 Depth=1
	s_or_b32 exec_lo, exec_lo, s18
                                        ; implicit-def: $vgpr0_vgpr1
.LBB47_209:                             ;   in Loop: Header=BB47_17 Depth=1
	s_and_not1_saveexec_b32 s17, s17
	s_cbranch_execz .LBB47_211
; %bb.210:                              ;   in Loop: Header=BB47_17 Depth=1
	flat_load_u16 v0, v[0:1]
	s_waitcnt vmcnt(0) lgkmcnt(0)
	v_cvt_f32_f16_e32 v15, v0
.LBB47_211:                             ;   in Loop: Header=BB47_17 Depth=1
	s_or_b32 exec_lo, exec_lo, s17
.LBB47_212:                             ;   in Loop: Header=BB47_17 Depth=1
	s_delay_alu instid0(SALU_CYCLE_1)
	s_or_b32 exec_lo, exec_lo, s16
                                        ; implicit-def: $vgpr16
                                        ; implicit-def: $vgpr0_vgpr1
.LBB47_213:                             ;   in Loop: Header=BB47_17 Depth=1
	s_and_not1_saveexec_b32 s15, s15
	s_cbranch_execz .LBB47_231
; %bb.214:                              ;   in Loop: Header=BB47_17 Depth=1
	s_mov_b32 s16, exec_lo
                                        ; implicit-def: $vgpr15
	v_cmpx_lt_i16_e32 1, v16
	s_xor_b32 s16, exec_lo, s16
	s_cbranch_execz .LBB47_224
; %bb.215:                              ;   in Loop: Header=BB47_17 Depth=1
	s_mov_b32 s17, exec_lo
                                        ; implicit-def: $vgpr15
	v_cmpx_lt_i16_e32 2, v16
	s_xor_b32 s17, exec_lo, s17
	;; [unrolled: 6-line block ×3, first 2 shown]
	s_cbranch_execz .LBB47_218
; %bb.217:                              ;   in Loop: Header=BB47_17 Depth=1
	flat_load_b64 v[0:1], v[0:1]
	s_waitcnt vmcnt(0) lgkmcnt(0)
	v_xor_b32_e32 v15, v0, v1
	v_cls_i32_e32 v16, v1
	s_delay_alu instid0(VALU_DEP_2) | instskip(NEXT) | instid1(VALU_DEP_2)
	v_ashrrev_i32_e32 v15, 31, v15
	v_add_nc_u32_e32 v16, -1, v16
	s_delay_alu instid0(VALU_DEP_2) | instskip(NEXT) | instid1(VALU_DEP_1)
	v_add_nc_u32_e32 v15, 32, v15
	v_min_u32_e32 v15, v16, v15
	s_delay_alu instid0(VALU_DEP_1) | instskip(NEXT) | instid1(VALU_DEP_1)
	v_lshlrev_b64 v[0:1], v15, v[0:1]
	v_min_u32_e32 v0, 1, v0
	s_delay_alu instid0(VALU_DEP_1) | instskip(SKIP_1) | instid1(VALU_DEP_2)
	v_or_b32_e32 v0, v1, v0
	v_sub_nc_u32_e32 v1, 32, v15
	v_cvt_f32_i32_e32 v0, v0
	s_delay_alu instid0(VALU_DEP_1)
	v_ldexp_f32 v15, v0, v1
                                        ; implicit-def: $vgpr0_vgpr1
.LBB47_218:                             ;   in Loop: Header=BB47_17 Depth=1
	s_and_not1_saveexec_b32 s18, s18
	s_cbranch_execz .LBB47_220
; %bb.219:                              ;   in Loop: Header=BB47_17 Depth=1
	flat_load_b32 v0, v[0:1]
	s_waitcnt vmcnt(0) lgkmcnt(0)
	v_cvt_f32_i32_e32 v15, v0
.LBB47_220:                             ;   in Loop: Header=BB47_17 Depth=1
	s_or_b32 exec_lo, exec_lo, s18
                                        ; implicit-def: $vgpr0_vgpr1
.LBB47_221:                             ;   in Loop: Header=BB47_17 Depth=1
	s_and_not1_saveexec_b32 s17, s17
	s_cbranch_execz .LBB47_223
; %bb.222:                              ;   in Loop: Header=BB47_17 Depth=1
	flat_load_i16 v0, v[0:1]
	s_waitcnt vmcnt(0) lgkmcnt(0)
	v_cvt_f32_i32_e32 v15, v0
.LBB47_223:                             ;   in Loop: Header=BB47_17 Depth=1
	s_or_b32 exec_lo, exec_lo, s17
                                        ; implicit-def: $vgpr0_vgpr1
                                        ; implicit-def: $vgpr16
.LBB47_224:                             ;   in Loop: Header=BB47_17 Depth=1
	s_and_not1_saveexec_b32 s16, s16
	s_cbranch_execz .LBB47_230
; %bb.225:                              ;   in Loop: Header=BB47_17 Depth=1
	s_mov_b32 s17, exec_lo
                                        ; implicit-def: $vgpr15
	v_cmpx_lt_i16_e32 0, v16
	s_xor_b32 s17, exec_lo, s17
	s_cbranch_execz .LBB47_227
; %bb.226:                              ;   in Loop: Header=BB47_17 Depth=1
	flat_load_i8 v0, v[0:1]
	s_waitcnt vmcnt(0) lgkmcnt(0)
	v_cvt_f32_i32_e32 v15, v0
                                        ; implicit-def: $vgpr0_vgpr1
.LBB47_227:                             ;   in Loop: Header=BB47_17 Depth=1
	s_and_not1_saveexec_b32 s17, s17
	s_cbranch_execz .LBB47_229
; %bb.228:                              ;   in Loop: Header=BB47_17 Depth=1
	flat_load_u8 v0, v[0:1]
	s_waitcnt vmcnt(0) lgkmcnt(0)
	v_cvt_f32_ubyte0_e32 v15, v0
.LBB47_229:                             ;   in Loop: Header=BB47_17 Depth=1
	s_or_b32 exec_lo, exec_lo, s17
.LBB47_230:                             ;   in Loop: Header=BB47_17 Depth=1
	s_delay_alu instid0(SALU_CYCLE_1)
	s_or_b32 exec_lo, exec_lo, s16
.LBB47_231:                             ;   in Loop: Header=BB47_17 Depth=1
	s_delay_alu instid0(SALU_CYCLE_1) | instskip(NEXT) | instid1(SALU_CYCLE_1)
	s_or_b32 exec_lo, exec_lo, s15
	s_and_not1_b32 s13, s13, exec_lo
	s_and_not1_b32 s12, s12, exec_lo
	s_or_b32 s14, s14, exec_lo
	s_or_b32 exec_lo, exec_lo, s10
	s_mov_b32 s10, 0
	s_and_saveexec_b32 s15, s14
	s_cbranch_execnz .LBB47_124
	s_branch .LBB47_125
.LBB47_232:                             ;   in Loop: Header=BB47_17 Depth=1
	s_mov_b32 s7, exec_lo
                                        ; implicit-def: $sgpr14
                                        ; implicit-def: $sgpr8
                                        ; implicit-def: $vgpr16
	v_cmpx_lt_i16_e32 25, v7
	s_xor_b32 s7, exec_lo, s7
	s_cbranch_execz .LBB47_264
; %bb.233:                              ;   in Loop: Header=BB47_17 Depth=1
	s_mov_b32 s8, exec_lo
                                        ; implicit-def: $sgpr14
                                        ; implicit-def: $sgpr15
                                        ; implicit-def: $vgpr16
	v_cmpx_lt_i16_e32 28, v7
	s_xor_b32 s8, exec_lo, s8
	s_cbranch_execz .LBB47_249
; %bb.234:                              ;   in Loop: Header=BB47_17 Depth=1
	s_mov_b32 s16, 0
	s_mov_b32 s13, exec_lo
                                        ; implicit-def: $sgpr14
                                        ; implicit-def: $sgpr15
                                        ; implicit-def: $vgpr16
	v_cmpx_lt_i16_e32 43, v7
	s_xor_b32 s13, exec_lo, s13
	s_cbranch_execz .LBB47_244
; %bb.235:                              ;   in Loop: Header=BB47_17 Depth=1
	s_mov_b32 s15, exec_lo
                                        ; implicit-def: $sgpr14
                                        ; implicit-def: $sgpr17
                                        ; implicit-def: $vgpr16
	v_cmpx_lt_i16_e32 45, v7
	s_xor_b32 s15, exec_lo, s15
	s_cbranch_execz .LBB47_239
; %bb.236:                              ;   in Loop: Header=BB47_17 Depth=1
	s_mov_b32 s14, 0
	s_mov_b32 s17, exec_lo
                                        ; implicit-def: $vgpr16
	v_cmpx_eq_u16_e32 46, v7
	s_cbranch_execz .LBB47_238
; %bb.237:                              ;   in Loop: Header=BB47_17 Depth=1
	flat_load_b32 v0, v[0:1]
	s_mov_b32 s16, exec_lo
	s_waitcnt vmcnt(0) lgkmcnt(0)
	v_lshlrev_b32_e32 v16, 16, v0
.LBB47_238:                             ;   in Loop: Header=BB47_17 Depth=1
	s_or_b32 exec_lo, exec_lo, s17
	s_mov_b32 s17, -1
	s_and_b32 s16, s16, exec_lo
                                        ; implicit-def: $vgpr0_vgpr1
.LBB47_239:                             ;   in Loop: Header=BB47_17 Depth=1
	s_and_not1_saveexec_b32 s15, s15
	s_cbranch_execz .LBB47_243
; %bb.240:                              ;   in Loop: Header=BB47_17 Depth=1
	s_mov_b32 s19, s16
	s_mov_b32 s18, exec_lo
                                        ; implicit-def: $vgpr16
	v_cmpx_eq_u16_e32 44, v7
	s_cbranch_execz .LBB47_242
; %bb.241:                              ;   in Loop: Header=BB47_17 Depth=1
	flat_load_u8 v0, v[0:1]
	s_or_b32 s19, s16, exec_lo
	s_waitcnt vmcnt(0) lgkmcnt(0)
	v_lshlrev_b32_e32 v1, 23, v0
	v_cmp_ne_u32_e32 vcc_lo, 0xff, v0
	s_delay_alu instid0(VALU_DEP_2) | instskip(SKIP_1) | instid1(VALU_DEP_2)
	v_cndmask_b32_e32 v1, 0x7f800001, v1, vcc_lo
	v_cmp_ne_u32_e32 vcc_lo, 0, v0
	v_cndmask_b32_e32 v16, 0x400000, v1, vcc_lo
.LBB47_242:                             ;   in Loop: Header=BB47_17 Depth=1
	s_or_b32 exec_lo, exec_lo, s18
	s_delay_alu instid0(SALU_CYCLE_1)
	s_and_not1_b32 s16, s16, exec_lo
	s_and_b32 s18, s19, exec_lo
	s_and_not1_b32 s14, s14, exec_lo
	s_or_b32 s17, s17, exec_lo
	s_or_b32 s16, s16, s18
.LBB47_243:                             ;   in Loop: Header=BB47_17 Depth=1
	s_or_b32 exec_lo, exec_lo, s15
	s_delay_alu instid0(SALU_CYCLE_1)
	s_and_b32 s15, s14, exec_lo
	s_and_b32 s14, s17, exec_lo
	;; [unrolled: 1-line block ×3, first 2 shown]
                                        ; implicit-def: $vgpr0_vgpr1
.LBB47_244:                             ;   in Loop: Header=BB47_17 Depth=1
	s_and_not1_saveexec_b32 s13, s13
	s_cbranch_execz .LBB47_248
; %bb.245:                              ;   in Loop: Header=BB47_17 Depth=1
	s_mov_b32 s18, s16
	s_mov_b32 s17, exec_lo
                                        ; implicit-def: $vgpr16
	v_cmpx_eq_u16_e32 29, v7
	s_cbranch_execz .LBB47_247
; %bb.246:                              ;   in Loop: Header=BB47_17 Depth=1
	flat_load_b64 v[0:1], v[0:1]
	s_or_b32 s18, s16, exec_lo
	s_waitcnt vmcnt(0) lgkmcnt(0)
	v_clz_i32_u32_e32 v14, v1
	s_delay_alu instid0(VALU_DEP_1) | instskip(NEXT) | instid1(VALU_DEP_1)
	v_min_u32_e32 v14, 32, v14
	v_lshlrev_b64 v[0:1], v14, v[0:1]
	s_delay_alu instid0(VALU_DEP_1) | instskip(NEXT) | instid1(VALU_DEP_1)
	v_min_u32_e32 v0, 1, v0
	v_or_b32_e32 v0, v1, v0
	v_sub_nc_u32_e32 v1, 32, v14
	s_delay_alu instid0(VALU_DEP_2) | instskip(NEXT) | instid1(VALU_DEP_1)
	v_cvt_f32_u32_e32 v0, v0
	v_ldexp_f32 v16, v0, v1
.LBB47_247:                             ;   in Loop: Header=BB47_17 Depth=1
	s_or_b32 exec_lo, exec_lo, s17
	s_delay_alu instid0(SALU_CYCLE_1)
	s_and_not1_b32 s16, s16, exec_lo
	s_and_b32 s17, s18, exec_lo
	s_and_not1_b32 s15, s15, exec_lo
	s_or_b32 s14, s14, exec_lo
	s_or_b32 s16, s16, s17
.LBB47_248:                             ;   in Loop: Header=BB47_17 Depth=1
	s_or_b32 exec_lo, exec_lo, s13
	s_delay_alu instid0(SALU_CYCLE_1)
	s_and_b32 s15, s15, exec_lo
	s_and_b32 s14, s14, exec_lo
	;; [unrolled: 1-line block ×3, first 2 shown]
                                        ; implicit-def: $vgpr0_vgpr1
.LBB47_249:                             ;   in Loop: Header=BB47_17 Depth=1
	s_and_not1_saveexec_b32 s8, s8
	s_cbranch_execz .LBB47_263
; %bb.250:                              ;   in Loop: Header=BB47_17 Depth=1
	s_mov_b32 s16, exec_lo
                                        ; implicit-def: $vgpr16
	v_cmpx_lt_i16_e32 26, v7
	s_xor_b32 s16, exec_lo, s16
	s_cbranch_execz .LBB47_256
; %bb.251:                              ;   in Loop: Header=BB47_17 Depth=1
	s_mov_b32 s17, exec_lo
                                        ; implicit-def: $vgpr16
	v_cmpx_lt_i16_e32 27, v7
	s_xor_b32 s17, exec_lo, s17
	s_cbranch_execz .LBB47_253
; %bb.252:                              ;   in Loop: Header=BB47_17 Depth=1
	flat_load_b32 v0, v[0:1]
	s_waitcnt vmcnt(0) lgkmcnt(0)
	v_cvt_f32_u32_e32 v16, v0
                                        ; implicit-def: $vgpr0_vgpr1
.LBB47_253:                             ;   in Loop: Header=BB47_17 Depth=1
	s_and_not1_saveexec_b32 s17, s17
	s_cbranch_execz .LBB47_255
; %bb.254:                              ;   in Loop: Header=BB47_17 Depth=1
	flat_load_u16 v0, v[0:1]
	s_waitcnt vmcnt(0) lgkmcnt(0)
	v_cvt_f32_u32_e32 v16, v0
.LBB47_255:                             ;   in Loop: Header=BB47_17 Depth=1
	s_or_b32 exec_lo, exec_lo, s17
                                        ; implicit-def: $vgpr0_vgpr1
.LBB47_256:                             ;   in Loop: Header=BB47_17 Depth=1
	s_and_not1_saveexec_b32 s16, s16
	s_cbranch_execz .LBB47_262
; %bb.257:                              ;   in Loop: Header=BB47_17 Depth=1
	flat_load_u8 v0, v[0:1]
	s_mov_b32 s17, 0
	s_mov_b32 s19, exec_lo
                                        ; implicit-def: $sgpr18
	s_waitcnt vmcnt(0) lgkmcnt(0)
	v_cmpx_lt_i16_e32 0x7f, v0
	s_xor_b32 s19, exec_lo, s19
	s_cbranch_execnz .LBB47_988
; %bb.258:                              ;   in Loop: Header=BB47_17 Depth=1
	s_or_saveexec_b32 s19, s19
	v_mov_b32_e32 v16, s18
	s_xor_b32 exec_lo, exec_lo, s19
	s_cbranch_execnz .LBB47_991
.LBB47_259:                             ;   in Loop: Header=BB47_17 Depth=1
	s_or_b32 exec_lo, exec_lo, s19
	s_and_saveexec_b32 s18, s17
	s_cbranch_execz .LBB47_261
.LBB47_260:                             ;   in Loop: Header=BB47_17 Depth=1
	v_and_b32_e32 v1, 0xffff, v0
	v_lshlrev_b32_e32 v0, 24, v0
	s_delay_alu instid0(VALU_DEP_2) | instskip(NEXT) | instid1(VALU_DEP_2)
	v_and_b32_e32 v14, 7, v1
	v_and_b32_e32 v0, 0x80000000, v0
	s_delay_alu instid0(VALU_DEP_2) | instskip(NEXT) | instid1(VALU_DEP_1)
	v_clz_i32_u32_e32 v16, v14
	v_min_u32_e32 v16, 32, v16
	s_delay_alu instid0(VALU_DEP_1) | instskip(SKIP_1) | instid1(VALU_DEP_2)
	v_subrev_nc_u32_e32 v17, 28, v16
	v_sub_nc_u32_e32 v16, 29, v16
	v_lshlrev_b32_e32 v17, v17, v1
	v_bfe_u32 v1, v1, 3, 4
	s_delay_alu instid0(VALU_DEP_2) | instskip(NEXT) | instid1(VALU_DEP_2)
	v_and_b32_e32 v17, 7, v17
	v_cmp_eq_u32_e32 vcc_lo, 0, v1
	s_delay_alu instid0(VALU_DEP_2) | instskip(NEXT) | instid1(VALU_DEP_1)
	v_dual_cndmask_b32 v1, v1, v16 :: v_dual_cndmask_b32 v14, v14, v17
	v_lshl_add_u32 v1, v1, 23, 0x3b800000
	s_delay_alu instid0(VALU_DEP_2) | instskip(NEXT) | instid1(VALU_DEP_1)
	v_lshlrev_b32_e32 v14, 20, v14
	v_or3_b32 v16, v0, v1, v14
.LBB47_261:                             ;   in Loop: Header=BB47_17 Depth=1
	s_or_b32 exec_lo, exec_lo, s18
.LBB47_262:                             ;   in Loop: Header=BB47_17 Depth=1
	s_delay_alu instid0(SALU_CYCLE_1) | instskip(NEXT) | instid1(SALU_CYCLE_1)
	s_or_b32 exec_lo, exec_lo, s16
	s_and_not1_b32 s15, s15, exec_lo
	s_and_not1_b32 s14, s14, exec_lo
	s_or_b32 s13, s13, exec_lo
.LBB47_263:                             ;   in Loop: Header=BB47_17 Depth=1
	s_or_b32 exec_lo, exec_lo, s8
	s_delay_alu instid0(SALU_CYCLE_1)
	s_and_b32 s8, s15, exec_lo
	s_and_b32 s14, s14, exec_lo
	;; [unrolled: 1-line block ×3, first 2 shown]
                                        ; implicit-def: $vgpr0_vgpr1
.LBB47_264:                             ;   in Loop: Header=BB47_17 Depth=1
	s_and_not1_saveexec_b32 s7, s7
	s_cbranch_execz .LBB47_290
; %bb.265:                              ;   in Loop: Header=BB47_17 Depth=1
	s_mov_b32 s16, s13
	s_mov_b32 s15, exec_lo
                                        ; implicit-def: $vgpr16
	v_cmpx_lt_i16_e32 22, v7
	s_xor_b32 s15, exec_lo, s15
	s_cbranch_execz .LBB47_279
; %bb.266:                              ;   in Loop: Header=BB47_17 Depth=1
	s_mov_b32 s16, exec_lo
                                        ; implicit-def: $vgpr16
	v_cmpx_lt_i16_e32 23, v7
	s_xor_b32 s16, exec_lo, s16
	s_cbranch_execz .LBB47_276
; %bb.267:                              ;   in Loop: Header=BB47_17 Depth=1
	;; [unrolled: 6-line block ×3, first 2 shown]
	flat_load_u8 v0, v[0:1]
	s_mov_b32 s18, 0
	s_mov_b32 s20, exec_lo
                                        ; implicit-def: $sgpr19
	s_waitcnt vmcnt(0) lgkmcnt(0)
	v_cmpx_lt_i16_e32 0x7f, v0
	s_xor_b32 s20, exec_lo, s20
	s_cbranch_execnz .LBB47_1207
; %bb.269:                              ;   in Loop: Header=BB47_17 Depth=1
	s_or_saveexec_b32 s20, s20
	v_mov_b32_e32 v16, s19
	s_xor_b32 exec_lo, exec_lo, s20
	s_cbranch_execnz .LBB47_1210
.LBB47_270:                             ;   in Loop: Header=BB47_17 Depth=1
	s_or_b32 exec_lo, exec_lo, s20
	s_and_saveexec_b32 s19, s18
	s_cbranch_execz .LBB47_272
.LBB47_271:                             ;   in Loop: Header=BB47_17 Depth=1
	v_and_b32_e32 v1, 0xffff, v0
	v_lshlrev_b32_e32 v0, 24, v0
	s_delay_alu instid0(VALU_DEP_2) | instskip(NEXT) | instid1(VALU_DEP_2)
	v_and_b32_e32 v14, 3, v1
	v_and_b32_e32 v0, 0x80000000, v0
	s_delay_alu instid0(VALU_DEP_2) | instskip(NEXT) | instid1(VALU_DEP_1)
	v_clz_i32_u32_e32 v16, v14
	v_min_u32_e32 v16, 32, v16
	s_delay_alu instid0(VALU_DEP_1) | instskip(SKIP_1) | instid1(VALU_DEP_2)
	v_subrev_nc_u32_e32 v17, 29, v16
	v_sub_nc_u32_e32 v16, 30, v16
	v_lshlrev_b32_e32 v17, v17, v1
	v_bfe_u32 v1, v1, 2, 5
	s_delay_alu instid0(VALU_DEP_2) | instskip(NEXT) | instid1(VALU_DEP_2)
	v_and_b32_e32 v17, 3, v17
	v_cmp_eq_u32_e32 vcc_lo, 0, v1
	s_delay_alu instid0(VALU_DEP_2) | instskip(NEXT) | instid1(VALU_DEP_1)
	v_dual_cndmask_b32 v1, v1, v16 :: v_dual_cndmask_b32 v14, v14, v17
	v_lshl_add_u32 v1, v1, 23, 0x37800000
	s_delay_alu instid0(VALU_DEP_2) | instskip(NEXT) | instid1(VALU_DEP_1)
	v_lshlrev_b32_e32 v14, 21, v14
	v_or3_b32 v16, v0, v1, v14
.LBB47_272:                             ;   in Loop: Header=BB47_17 Depth=1
	s_or_b32 exec_lo, exec_lo, s19
                                        ; implicit-def: $vgpr0_vgpr1
.LBB47_273:                             ;   in Loop: Header=BB47_17 Depth=1
	s_and_not1_saveexec_b32 s17, s17
	s_cbranch_execz .LBB47_275
; %bb.274:                              ;   in Loop: Header=BB47_17 Depth=1
	flat_load_u8 v0, v[0:1]
	s_waitcnt vmcnt(0) lgkmcnt(0)
	v_lshlrev_b32_e32 v0, 24, v0
	s_delay_alu instid0(VALU_DEP_1) | instskip(NEXT) | instid1(VALU_DEP_1)
	v_and_b32_e32 v1, 0x7f000000, v0
	v_clz_i32_u32_e32 v14, v1
	v_add_nc_u32_e32 v17, 0x1000000, v1
	v_cmp_ne_u32_e32 vcc_lo, 0, v1
	s_delay_alu instid0(VALU_DEP_3) | instskip(NEXT) | instid1(VALU_DEP_1)
	v_min_u32_e32 v14, 32, v14
	v_sub_nc_u32_e64 v14, v14, 4 clamp
	s_delay_alu instid0(VALU_DEP_1) | instskip(SKIP_1) | instid1(VALU_DEP_2)
	v_lshlrev_b32_e32 v16, v14, v1
	v_lshlrev_b32_e32 v14, 23, v14
	v_lshrrev_b32_e32 v16, 4, v16
	s_delay_alu instid0(VALU_DEP_1) | instskip(SKIP_1) | instid1(VALU_DEP_2)
	v_sub_nc_u32_e32 v14, v16, v14
	v_ashrrev_i32_e32 v16, 8, v17
	v_add_nc_u32_e32 v14, 0x3c000000, v14
	s_delay_alu instid0(VALU_DEP_1) | instskip(NEXT) | instid1(VALU_DEP_1)
	v_and_or_b32 v14, 0x7f800000, v16, v14
	v_cndmask_b32_e32 v1, 0, v14, vcc_lo
	s_delay_alu instid0(VALU_DEP_1)
	v_and_or_b32 v16, 0x80000000, v0, v1
.LBB47_275:                             ;   in Loop: Header=BB47_17 Depth=1
	s_or_b32 exec_lo, exec_lo, s17
                                        ; implicit-def: $vgpr0_vgpr1
.LBB47_276:                             ;   in Loop: Header=BB47_17 Depth=1
	s_and_not1_saveexec_b32 s16, s16
	s_cbranch_execz .LBB47_278
; %bb.277:                              ;   in Loop: Header=BB47_17 Depth=1
	flat_load_u8 v0, v[0:1]
	s_waitcnt vmcnt(0) lgkmcnt(0)
	v_lshlrev_b32_e32 v1, 25, v0
	v_lshlrev_b16 v0, 8, v0
	s_delay_alu instid0(VALU_DEP_2) | instskip(NEXT) | instid1(VALU_DEP_2)
	v_lshrrev_b32_e32 v14, 4, v1
	v_and_or_b32 v16, 0x7f00, v0, 0.5
	v_bfe_i32 v0, v0, 0, 16
	s_delay_alu instid0(VALU_DEP_3) | instskip(NEXT) | instid1(VALU_DEP_3)
	v_or_b32_e32 v14, 0x70000000, v14
	v_add_f32_e32 v16, -0.5, v16
	s_delay_alu instid0(VALU_DEP_2) | instskip(SKIP_1) | instid1(VALU_DEP_2)
	v_mul_f32_e32 v14, 0x7800000, v14
	v_cmp_gt_u32_e32 vcc_lo, 0x8000000, v1
	v_cndmask_b32_e32 v1, v14, v16, vcc_lo
	s_delay_alu instid0(VALU_DEP_1)
	v_and_or_b32 v16, 0x80000000, v0, v1
.LBB47_278:                             ;   in Loop: Header=BB47_17 Depth=1
	s_or_b32 exec_lo, exec_lo, s16
	s_delay_alu instid0(SALU_CYCLE_1)
	s_or_b32 s16, s13, exec_lo
                                        ; implicit-def: $vgpr0_vgpr1
.LBB47_279:                             ;   in Loop: Header=BB47_17 Depth=1
	s_or_saveexec_b32 s15, s15
                                        ; implicit-def: $sgpr17
                                        ; implicit-def: $sgpr19
	s_delay_alu instid0(SALU_CYCLE_1)
	s_xor_b32 exec_lo, exec_lo, s15
	s_cbranch_execz .LBB47_289
; %bb.280:                              ;   in Loop: Header=BB47_17 Depth=1
	s_mov_b32 s18, s16
	s_mov_b32 s20, exec_lo
                                        ; implicit-def: $sgpr19
                                        ; implicit-def: $sgpr17
                                        ; implicit-def: $vgpr16
	v_cmpx_lt_i16_e32 14, v7
	s_xor_b32 s20, exec_lo, s20
	s_cbranch_execz .LBB47_284
; %bb.281:                              ;   in Loop: Header=BB47_17 Depth=1
	s_mov_b32 s18, s16
	s_mov_b32 s17, exec_lo
                                        ; implicit-def: $vgpr16
	v_cmpx_eq_u16_e32 15, v7
	s_cbranch_execz .LBB47_283
; %bb.282:                              ;   in Loop: Header=BB47_17 Depth=1
	flat_load_u16 v0, v[0:1]
	s_or_b32 s18, s16, exec_lo
	s_waitcnt vmcnt(0) lgkmcnt(0)
	v_lshlrev_b32_e32 v16, 16, v0
.LBB47_283:                             ;   in Loop: Header=BB47_17 Depth=1
	s_or_b32 exec_lo, exec_lo, s17
	s_delay_alu instid0(SALU_CYCLE_1)
	s_and_not1_b32 s21, s16, exec_lo
	s_and_b32 s18, s18, exec_lo
	s_mov_b32 s17, -1
	s_mov_b32 s19, 0
	s_or_b32 s18, s21, s18
                                        ; implicit-def: $vgpr0_vgpr1
.LBB47_284:                             ;   in Loop: Header=BB47_17 Depth=1
	s_and_not1_saveexec_b32 s20, s20
	s_cbranch_execz .LBB47_288
; %bb.285:                              ;   in Loop: Header=BB47_17 Depth=1
	s_mov_b32 s21, s18
	s_mov_b32 s22, exec_lo
                                        ; implicit-def: $vgpr16
	v_cmpx_eq_u16_e32 11, v7
	s_cbranch_execz .LBB47_287
; %bb.286:                              ;   in Loop: Header=BB47_17 Depth=1
	flat_load_u8 v0, v[0:1]
	s_or_b32 s21, s18, exec_lo
	s_waitcnt vmcnt(0) lgkmcnt(0)
	v_cmp_ne_u16_e32 vcc_lo, 0, v0
	v_cndmask_b32_e64 v16, 0, 1.0, vcc_lo
.LBB47_287:                             ;   in Loop: Header=BB47_17 Depth=1
	s_or_b32 exec_lo, exec_lo, s22
	s_delay_alu instid0(SALU_CYCLE_1)
	s_and_not1_b32 s18, s18, exec_lo
	s_and_b32 s21, s21, exec_lo
	s_and_not1_b32 s19, s19, exec_lo
	s_or_b32 s17, s17, exec_lo
	s_or_b32 s18, s18, s21
.LBB47_288:                             ;   in Loop: Header=BB47_17 Depth=1
	s_or_b32 exec_lo, exec_lo, s20
	s_delay_alu instid0(SALU_CYCLE_1)
	s_and_not1_b32 s16, s16, exec_lo
	s_and_b32 s18, s18, exec_lo
	s_and_b32 s19, s19, exec_lo
	;; [unrolled: 1-line block ×3, first 2 shown]
	s_or_b32 s16, s16, s18
.LBB47_289:                             ;   in Loop: Header=BB47_17 Depth=1
	s_or_b32 exec_lo, exec_lo, s15
	s_delay_alu instid0(SALU_CYCLE_1)
	s_and_not1_b32 s8, s8, exec_lo
	s_and_b32 s15, s19, exec_lo
	s_and_not1_b32 s14, s14, exec_lo
	s_or_b32 s8, s8, s15
	s_and_b32 s15, s17, exec_lo
	s_and_not1_b32 s13, s13, exec_lo
	s_and_b32 s16, s16, exec_lo
	s_or_b32 s14, s14, s15
	s_or_b32 s13, s13, s16
.LBB47_290:                             ;   in Loop: Header=BB47_17 Depth=1
	s_or_b32 exec_lo, exec_lo, s7
	s_delay_alu instid0(SALU_CYCLE_1)
	s_and_b32 s8, s8, exec_lo
	s_and_b32 s7, s14, exec_lo
	;; [unrolled: 1-line block ×3, first 2 shown]
                                        ; implicit-def: $vgpr0_vgpr1
	s_and_not1_saveexec_b32 s12, s12
	s_cbranch_execz .LBB47_131
.LBB47_291:                             ;   in Loop: Header=BB47_17 Depth=1
	s_mov_b32 s14, exec_lo
                                        ; implicit-def: $vgpr16
	v_cmpx_lt_i16_e32 4, v7
	s_xor_b32 s14, exec_lo, s14
	s_cbranch_execz .LBB47_313
; %bb.292:                              ;   in Loop: Header=BB47_17 Depth=1
	s_mov_b32 s15, exec_lo
                                        ; implicit-def: $vgpr16
	v_cmpx_lt_i16_e32 7, v7
	s_xor_b32 s15, exec_lo, s15
	s_cbranch_execz .LBB47_302
; %bb.293:                              ;   in Loop: Header=BB47_17 Depth=1
	;; [unrolled: 6-line block ×4, first 2 shown]
	flat_load_b64 v[0:1], v[0:1]
	s_waitcnt vmcnt(0) lgkmcnt(0)
	v_cvt_f32_f64_e32 v16, v[0:1]
                                        ; implicit-def: $vgpr0_vgpr1
.LBB47_296:                             ;   in Loop: Header=BB47_17 Depth=1
	s_and_not1_saveexec_b32 s17, s17
	s_cbranch_execz .LBB47_298
; %bb.297:                              ;   in Loop: Header=BB47_17 Depth=1
	flat_load_b32 v16, v[0:1]
.LBB47_298:                             ;   in Loop: Header=BB47_17 Depth=1
	s_or_b32 exec_lo, exec_lo, s17
                                        ; implicit-def: $vgpr0_vgpr1
.LBB47_299:                             ;   in Loop: Header=BB47_17 Depth=1
	s_and_not1_saveexec_b32 s16, s16
	s_cbranch_execz .LBB47_301
; %bb.300:                              ;   in Loop: Header=BB47_17 Depth=1
	flat_load_b32 v0, v[0:1]
	s_waitcnt vmcnt(0) lgkmcnt(0)
	v_cvt_f32_f16_e32 v16, v0
.LBB47_301:                             ;   in Loop: Header=BB47_17 Depth=1
	s_or_b32 exec_lo, exec_lo, s16
                                        ; implicit-def: $vgpr0_vgpr1
.LBB47_302:                             ;   in Loop: Header=BB47_17 Depth=1
	s_and_not1_saveexec_b32 s15, s15
	s_cbranch_execz .LBB47_312
; %bb.303:                              ;   in Loop: Header=BB47_17 Depth=1
	s_mov_b32 s16, exec_lo
                                        ; implicit-def: $vgpr16
	v_cmpx_lt_i16_e32 5, v7
	s_xor_b32 s16, exec_lo, s16
	s_cbranch_execz .LBB47_309
; %bb.304:                              ;   in Loop: Header=BB47_17 Depth=1
	s_mov_b32 s17, exec_lo
                                        ; implicit-def: $vgpr16
	v_cmpx_lt_i16_e32 6, v7
	s_xor_b32 s17, exec_lo, s17
	s_cbranch_execz .LBB47_306
; %bb.305:                              ;   in Loop: Header=BB47_17 Depth=1
	flat_load_b64 v[0:1], v[0:1]
	s_waitcnt vmcnt(0) lgkmcnt(0)
	v_cvt_f32_f64_e32 v16, v[0:1]
                                        ; implicit-def: $vgpr0_vgpr1
.LBB47_306:                             ;   in Loop: Header=BB47_17 Depth=1
	s_and_not1_saveexec_b32 s17, s17
	s_cbranch_execz .LBB47_308
; %bb.307:                              ;   in Loop: Header=BB47_17 Depth=1
	s_waitcnt vmcnt(0) lgkmcnt(0)
	flat_load_b32 v16, v[0:1]
.LBB47_308:                             ;   in Loop: Header=BB47_17 Depth=1
	s_or_b32 exec_lo, exec_lo, s17
                                        ; implicit-def: $vgpr0_vgpr1
.LBB47_309:                             ;   in Loop: Header=BB47_17 Depth=1
	s_and_not1_saveexec_b32 s16, s16
	s_cbranch_execz .LBB47_311
; %bb.310:                              ;   in Loop: Header=BB47_17 Depth=1
	flat_load_u16 v0, v[0:1]
	s_waitcnt vmcnt(0) lgkmcnt(0)
	v_cvt_f32_f16_e32 v16, v0
.LBB47_311:                             ;   in Loop: Header=BB47_17 Depth=1
	s_or_b32 exec_lo, exec_lo, s16
.LBB47_312:                             ;   in Loop: Header=BB47_17 Depth=1
	s_delay_alu instid0(SALU_CYCLE_1)
	s_or_b32 exec_lo, exec_lo, s15
                                        ; implicit-def: $vgpr0_vgpr1
.LBB47_313:                             ;   in Loop: Header=BB47_17 Depth=1
	s_and_not1_saveexec_b32 s14, s14
	s_cbranch_execz .LBB47_331
; %bb.314:                              ;   in Loop: Header=BB47_17 Depth=1
	s_mov_b32 s15, exec_lo
                                        ; implicit-def: $vgpr16
	v_cmpx_lt_i16_e32 1, v7
	s_xor_b32 s15, exec_lo, s15
	s_cbranch_execz .LBB47_324
; %bb.315:                              ;   in Loop: Header=BB47_17 Depth=1
	s_mov_b32 s16, exec_lo
                                        ; implicit-def: $vgpr16
	v_cmpx_lt_i16_e32 2, v7
	s_xor_b32 s16, exec_lo, s16
	;; [unrolled: 6-line block ×3, first 2 shown]
	s_cbranch_execz .LBB47_318
; %bb.317:                              ;   in Loop: Header=BB47_17 Depth=1
	flat_load_b64 v[0:1], v[0:1]
	s_waitcnt vmcnt(0) lgkmcnt(0)
	v_xor_b32_e32 v14, v0, v1
	v_cls_i32_e32 v16, v1
	s_delay_alu instid0(VALU_DEP_2) | instskip(NEXT) | instid1(VALU_DEP_2)
	v_ashrrev_i32_e32 v14, 31, v14
	v_add_nc_u32_e32 v16, -1, v16
	s_delay_alu instid0(VALU_DEP_2) | instskip(NEXT) | instid1(VALU_DEP_1)
	v_add_nc_u32_e32 v14, 32, v14
	v_min_u32_e32 v14, v16, v14
	s_delay_alu instid0(VALU_DEP_1) | instskip(NEXT) | instid1(VALU_DEP_1)
	v_lshlrev_b64 v[0:1], v14, v[0:1]
	v_min_u32_e32 v0, 1, v0
	s_delay_alu instid0(VALU_DEP_1) | instskip(SKIP_1) | instid1(VALU_DEP_2)
	v_or_b32_e32 v0, v1, v0
	v_sub_nc_u32_e32 v1, 32, v14
	v_cvt_f32_i32_e32 v0, v0
	s_delay_alu instid0(VALU_DEP_1)
	v_ldexp_f32 v16, v0, v1
                                        ; implicit-def: $vgpr0_vgpr1
.LBB47_318:                             ;   in Loop: Header=BB47_17 Depth=1
	s_and_not1_saveexec_b32 s17, s17
	s_cbranch_execz .LBB47_320
; %bb.319:                              ;   in Loop: Header=BB47_17 Depth=1
	flat_load_b32 v0, v[0:1]
	s_waitcnt vmcnt(0) lgkmcnt(0)
	v_cvt_f32_i32_e32 v16, v0
.LBB47_320:                             ;   in Loop: Header=BB47_17 Depth=1
	s_or_b32 exec_lo, exec_lo, s17
                                        ; implicit-def: $vgpr0_vgpr1
.LBB47_321:                             ;   in Loop: Header=BB47_17 Depth=1
	s_and_not1_saveexec_b32 s16, s16
	s_cbranch_execz .LBB47_323
; %bb.322:                              ;   in Loop: Header=BB47_17 Depth=1
	flat_load_i16 v0, v[0:1]
	s_waitcnt vmcnt(0) lgkmcnt(0)
	v_cvt_f32_i32_e32 v16, v0
.LBB47_323:                             ;   in Loop: Header=BB47_17 Depth=1
	s_or_b32 exec_lo, exec_lo, s16
                                        ; implicit-def: $vgpr0_vgpr1
.LBB47_324:                             ;   in Loop: Header=BB47_17 Depth=1
	s_and_not1_saveexec_b32 s15, s15
	s_cbranch_execz .LBB47_330
; %bb.325:                              ;   in Loop: Header=BB47_17 Depth=1
	s_mov_b32 s16, exec_lo
                                        ; implicit-def: $vgpr16
	v_cmpx_lt_i16_e32 0, v7
	s_xor_b32 s16, exec_lo, s16
	s_cbranch_execz .LBB47_327
; %bb.326:                              ;   in Loop: Header=BB47_17 Depth=1
	flat_load_i8 v0, v[0:1]
	s_waitcnt vmcnt(0) lgkmcnt(0)
	v_cvt_f32_i32_e32 v16, v0
                                        ; implicit-def: $vgpr0_vgpr1
.LBB47_327:                             ;   in Loop: Header=BB47_17 Depth=1
	s_and_not1_saveexec_b32 s16, s16
	s_cbranch_execz .LBB47_329
; %bb.328:                              ;   in Loop: Header=BB47_17 Depth=1
	flat_load_u8 v0, v[0:1]
	s_waitcnt vmcnt(0) lgkmcnt(0)
	v_cvt_f32_ubyte0_e32 v16, v0
.LBB47_329:                             ;   in Loop: Header=BB47_17 Depth=1
	s_or_b32 exec_lo, exec_lo, s16
.LBB47_330:                             ;   in Loop: Header=BB47_17 Depth=1
	s_delay_alu instid0(SALU_CYCLE_1)
	s_or_b32 exec_lo, exec_lo, s15
.LBB47_331:                             ;   in Loop: Header=BB47_17 Depth=1
	s_delay_alu instid0(SALU_CYCLE_1) | instskip(NEXT) | instid1(SALU_CYCLE_1)
	s_or_b32 exec_lo, exec_lo, s14
	s_and_not1_b32 s8, s8, exec_lo
	s_and_not1_b32 s7, s7, exec_lo
	s_or_b32 s13, s13, exec_lo
	s_or_b32 exec_lo, exec_lo, s12
	s_mov_b32 s14, 0
	s_and_saveexec_b32 s12, s13
	s_cbranch_execz .LBB47_337
.LBB47_332:                             ;   in Loop: Header=BB47_17 Depth=1
	v_add_nc_u32_e64 v14, s1, s33
	s_mov_b32 s16, 0
	s_mov_b32 s13, exec_lo
                                        ; implicit-def: $sgpr14
                                        ; implicit-def: $sgpr15
	s_delay_alu instid0(VALU_DEP_1) | instskip(SKIP_4) | instid1(VALU_DEP_2)
	v_add_nc_u32_e32 v0, 12, v14
	s_waitcnt vmcnt(0) lgkmcnt(0)
	scratch_store_b32 v0, v16, off
	v_mul_lo_u32 v0, v15, v10
	v_and_b32_e32 v16, 0xff, v8
                                        ; implicit-def: $vgpr15
	v_add_co_u32 v0, vcc_lo, v4, v0
	v_add_co_ci_u32_e32 v1, vcc_lo, 0, v5, vcc_lo
	s_delay_alu instid0(VALU_DEP_3)
	v_cmpx_lt_i16_e32 10, v16
	s_xor_b32 s13, exec_lo, s13
	s_cbranch_execnz .LBB47_343
; %bb.333:                              ;   in Loop: Header=BB47_17 Depth=1
	s_and_not1_saveexec_b32 s13, s13
	s_cbranch_execnz .LBB47_402
.LBB47_334:                             ;   in Loop: Header=BB47_17 Depth=1
	s_or_b32 exec_lo, exec_lo, s13
	s_mov_b32 s13, 0
	s_and_saveexec_b32 s17, s16
	s_cbranch_execz .LBB47_336
.LBB47_335:                             ;   in Loop: Header=BB47_17 Depth=1
	v_add_nc_u32_e32 v0, 8, v14
	v_add_nc_u32_e32 v13, 0x200, v13
	s_mov_b32 s13, exec_lo
	s_and_not1_b32 s15, s15, exec_lo
	s_and_not1_b32 s14, s14, exec_lo
	s_waitcnt vmcnt(0) lgkmcnt(0)
	scratch_store_b32 v0, v15, off
.LBB47_336:                             ;   in Loop: Header=BB47_17 Depth=1
	s_or_b32 exec_lo, exec_lo, s17
	s_delay_alu instid0(SALU_CYCLE_1)
	s_and_not1_b32 s8, s8, exec_lo
	s_and_b32 s15, s15, exec_lo
	s_and_not1_b32 s7, s7, exec_lo
	s_and_b32 s14, s14, exec_lo
	s_or_b32 s8, s8, s15
	s_or_b32 s7, s7, s14
	s_and_b32 s14, s13, exec_lo
.LBB47_337:                             ;   in Loop: Header=BB47_17 Depth=1
	s_or_b32 exec_lo, exec_lo, s12
	s_delay_alu instid0(SALU_CYCLE_1)
	s_and_b32 s8, s8, exec_lo
	s_and_b32 s7, s7, exec_lo
	s_or_not1_b32 s12, s14, exec_lo
.LBB47_338:                             ;   in Loop: Header=BB47_17 Depth=1
	s_or_b32 exec_lo, exec_lo, s9
	s_and_saveexec_b32 s9, s12
	s_cbranch_execz .LBB47_15
; %bb.339:                              ;   in Loop: Header=BB47_17 Depth=1
	s_mov_b32 s14, -1
	s_mov_b32 s15, -1
	s_mov_b32 s13, exec_lo
                                        ; implicit-def: $sgpr10
                                        ; implicit-def: $sgpr12
	v_cmpx_lt_i32_e64 v13, v6
	s_cbranch_execz .LBB47_549
; %bb.340:                              ;   in Loop: Header=BB47_17 Depth=1
	s_waitcnt vmcnt(0) lgkmcnt(0)
	v_add_nc_u32_e32 v15, s11, v13
	s_mov_b32 s16, 0
	s_mov_b32 s15, exec_lo
                                        ; implicit-def: $sgpr10
                                        ; implicit-def: $sgpr12
                                        ; implicit-def: $vgpr16
	s_delay_alu instid0(VALU_DEP_1) | instskip(NEXT) | instid1(VALU_DEP_1)
	v_mul_lo_u32 v0, v15, v9
	v_add_co_u32 v0, vcc_lo, v2, v0
	v_add_co_ci_u32_e32 v1, vcc_lo, 0, v3, vcc_lo
	v_cmpx_lt_i16_e32 10, v7
	s_xor_b32 s15, exec_lo, s15
	s_cbranch_execnz .LBB47_443
; %bb.341:                              ;   in Loop: Header=BB47_17 Depth=1
	s_and_not1_saveexec_b32 s15, s15
	s_cbranch_execnz .LBB47_502
.LBB47_342:                             ;   in Loop: Header=BB47_17 Depth=1
	s_or_b32 exec_lo, exec_lo, s15
	s_mov_b32 s17, 0
	s_and_saveexec_b32 s15, s16
	s_cbranch_execnz .LBB47_543
	s_branch .LBB47_548
.LBB47_343:                             ;   in Loop: Header=BB47_17 Depth=1
	s_mov_b32 s14, exec_lo
                                        ; implicit-def: $sgpr17
                                        ; implicit-def: $sgpr15
                                        ; implicit-def: $vgpr15
	v_cmpx_lt_i16_e32 25, v16
	s_xor_b32 s14, exec_lo, s14
	s_cbranch_execz .LBB47_375
; %bb.344:                              ;   in Loop: Header=BB47_17 Depth=1
	s_mov_b32 s15, exec_lo
                                        ; implicit-def: $sgpr17
                                        ; implicit-def: $sgpr18
                                        ; implicit-def: $vgpr15
	v_cmpx_lt_i16_e32 28, v16
	s_xor_b32 s15, exec_lo, s15
	s_cbranch_execz .LBB47_360
; %bb.345:                              ;   in Loop: Header=BB47_17 Depth=1
	s_mov_b32 s19, 0
	s_mov_b32 s16, exec_lo
                                        ; implicit-def: $sgpr17
                                        ; implicit-def: $sgpr18
                                        ; implicit-def: $vgpr15
	v_cmpx_lt_i16_e32 43, v16
	s_xor_b32 s16, exec_lo, s16
	s_cbranch_execz .LBB47_355
; %bb.346:                              ;   in Loop: Header=BB47_17 Depth=1
	s_mov_b32 s20, exec_lo
                                        ; implicit-def: $sgpr18
                                        ; implicit-def: $sgpr17
                                        ; implicit-def: $vgpr15
	v_cmpx_lt_i16_e32 45, v16
	s_xor_b32 s20, exec_lo, s20
	s_cbranch_execz .LBB47_350
; %bb.347:                              ;   in Loop: Header=BB47_17 Depth=1
	s_mov_b32 s17, 0
	s_mov_b32 s18, exec_lo
                                        ; implicit-def: $vgpr15
	v_cmpx_eq_u16_e32 46, v16
	s_cbranch_execz .LBB47_349
; %bb.348:                              ;   in Loop: Header=BB47_17 Depth=1
	flat_load_b32 v0, v[0:1]
	s_mov_b32 s19, exec_lo
	s_waitcnt vmcnt(0) lgkmcnt(0)
	v_lshlrev_b32_e32 v15, 16, v0
.LBB47_349:                             ;   in Loop: Header=BB47_17 Depth=1
	s_or_b32 exec_lo, exec_lo, s18
	s_mov_b32 s18, -1
	s_and_b32 s19, s19, exec_lo
                                        ; implicit-def: $vgpr16
                                        ; implicit-def: $vgpr0_vgpr1
.LBB47_350:                             ;   in Loop: Header=BB47_17 Depth=1
	s_and_not1_saveexec_b32 s20, s20
	s_cbranch_execz .LBB47_354
; %bb.351:                              ;   in Loop: Header=BB47_17 Depth=1
	s_mov_b32 s22, s19
	s_mov_b32 s21, exec_lo
                                        ; implicit-def: $vgpr15
	v_cmpx_eq_u16_e32 44, v16
	s_cbranch_execz .LBB47_353
; %bb.352:                              ;   in Loop: Header=BB47_17 Depth=1
	flat_load_u8 v0, v[0:1]
	s_or_b32 s22, s19, exec_lo
	s_waitcnt vmcnt(0) lgkmcnt(0)
	v_lshlrev_b32_e32 v1, 23, v0
	v_cmp_ne_u32_e32 vcc_lo, 0xff, v0
	s_delay_alu instid0(VALU_DEP_2) | instskip(SKIP_1) | instid1(VALU_DEP_2)
	v_cndmask_b32_e32 v1, 0x7f800001, v1, vcc_lo
	v_cmp_ne_u32_e32 vcc_lo, 0, v0
	v_cndmask_b32_e32 v15, 0x400000, v1, vcc_lo
.LBB47_353:                             ;   in Loop: Header=BB47_17 Depth=1
	s_or_b32 exec_lo, exec_lo, s21
	s_delay_alu instid0(SALU_CYCLE_1)
	s_and_not1_b32 s19, s19, exec_lo
	s_and_b32 s21, s22, exec_lo
	s_or_b32 s18, s18, exec_lo
	s_and_not1_b32 s17, s17, exec_lo
	s_or_b32 s19, s19, s21
.LBB47_354:                             ;   in Loop: Header=BB47_17 Depth=1
	s_or_b32 exec_lo, exec_lo, s20
	s_delay_alu instid0(SALU_CYCLE_1)
	s_and_b32 s18, s18, exec_lo
	s_and_b32 s17, s17, exec_lo
	;; [unrolled: 1-line block ×3, first 2 shown]
                                        ; implicit-def: $vgpr16
                                        ; implicit-def: $vgpr0_vgpr1
.LBB47_355:                             ;   in Loop: Header=BB47_17 Depth=1
	s_and_not1_saveexec_b32 s16, s16
	s_cbranch_execz .LBB47_359
; %bb.356:                              ;   in Loop: Header=BB47_17 Depth=1
	s_mov_b32 s21, s19
	s_mov_b32 s20, exec_lo
                                        ; implicit-def: $vgpr15
	v_cmpx_eq_u16_e32 29, v16
	s_cbranch_execz .LBB47_358
; %bb.357:                              ;   in Loop: Header=BB47_17 Depth=1
	flat_load_b64 v[0:1], v[0:1]
	s_or_b32 s21, s19, exec_lo
	s_waitcnt vmcnt(0) lgkmcnt(0)
	v_clz_i32_u32_e32 v15, v1
	s_delay_alu instid0(VALU_DEP_1) | instskip(NEXT) | instid1(VALU_DEP_1)
	v_min_u32_e32 v15, 32, v15
	v_lshlrev_b64 v[0:1], v15, v[0:1]
	s_delay_alu instid0(VALU_DEP_1) | instskip(NEXT) | instid1(VALU_DEP_1)
	v_min_u32_e32 v0, 1, v0
	v_or_b32_e32 v0, v1, v0
	v_sub_nc_u32_e32 v1, 32, v15
	s_delay_alu instid0(VALU_DEP_2) | instskip(NEXT) | instid1(VALU_DEP_1)
	v_cvt_f32_u32_e32 v0, v0
	v_ldexp_f32 v15, v0, v1
.LBB47_358:                             ;   in Loop: Header=BB47_17 Depth=1
	s_or_b32 exec_lo, exec_lo, s20
	s_delay_alu instid0(SALU_CYCLE_1)
	s_and_not1_b32 s19, s19, exec_lo
	s_and_b32 s20, s21, exec_lo
	s_or_b32 s18, s18, exec_lo
	s_and_not1_b32 s17, s17, exec_lo
	s_or_b32 s19, s19, s20
.LBB47_359:                             ;   in Loop: Header=BB47_17 Depth=1
	s_or_b32 exec_lo, exec_lo, s16
	s_delay_alu instid0(SALU_CYCLE_1)
	s_and_b32 s18, s18, exec_lo
	s_and_b32 s17, s17, exec_lo
	;; [unrolled: 1-line block ×3, first 2 shown]
                                        ; implicit-def: $vgpr16
                                        ; implicit-def: $vgpr0_vgpr1
.LBB47_360:                             ;   in Loop: Header=BB47_17 Depth=1
	s_and_not1_saveexec_b32 s15, s15
	s_cbranch_execz .LBB47_374
; %bb.361:                              ;   in Loop: Header=BB47_17 Depth=1
	s_mov_b32 s19, exec_lo
                                        ; implicit-def: $vgpr15
	v_cmpx_lt_i16_e32 26, v16
	s_xor_b32 s19, exec_lo, s19
	s_cbranch_execz .LBB47_367
; %bb.362:                              ;   in Loop: Header=BB47_17 Depth=1
	s_mov_b32 s20, exec_lo
                                        ; implicit-def: $vgpr15
	v_cmpx_lt_i16_e32 27, v16
	s_xor_b32 s20, exec_lo, s20
	s_cbranch_execz .LBB47_364
; %bb.363:                              ;   in Loop: Header=BB47_17 Depth=1
	flat_load_b32 v0, v[0:1]
	s_waitcnt vmcnt(0) lgkmcnt(0)
	v_cvt_f32_u32_e32 v15, v0
                                        ; implicit-def: $vgpr0_vgpr1
.LBB47_364:                             ;   in Loop: Header=BB47_17 Depth=1
	s_and_not1_saveexec_b32 s20, s20
	s_cbranch_execz .LBB47_366
; %bb.365:                              ;   in Loop: Header=BB47_17 Depth=1
	flat_load_u16 v0, v[0:1]
	s_waitcnt vmcnt(0) lgkmcnt(0)
	v_cvt_f32_u32_e32 v15, v0
.LBB47_366:                             ;   in Loop: Header=BB47_17 Depth=1
	s_or_b32 exec_lo, exec_lo, s20
                                        ; implicit-def: $vgpr0_vgpr1
.LBB47_367:                             ;   in Loop: Header=BB47_17 Depth=1
	s_and_not1_saveexec_b32 s19, s19
	s_cbranch_execz .LBB47_373
; %bb.368:                              ;   in Loop: Header=BB47_17 Depth=1
	flat_load_u8 v0, v[0:1]
	s_mov_b32 s20, 0
	s_mov_b32 s22, exec_lo
                                        ; implicit-def: $sgpr21
	s_waitcnt vmcnt(0) lgkmcnt(0)
	v_cmpx_lt_i16_e32 0x7f, v0
	s_xor_b32 s22, exec_lo, s22
	s_cbranch_execnz .LBB47_1211
; %bb.369:                              ;   in Loop: Header=BB47_17 Depth=1
	s_or_saveexec_b32 s22, s22
	v_mov_b32_e32 v15, s21
	s_xor_b32 exec_lo, exec_lo, s22
	s_cbranch_execnz .LBB47_1214
.LBB47_370:                             ;   in Loop: Header=BB47_17 Depth=1
	s_or_b32 exec_lo, exec_lo, s22
	s_and_saveexec_b32 s21, s20
	s_cbranch_execz .LBB47_372
.LBB47_371:                             ;   in Loop: Header=BB47_17 Depth=1
	v_and_b32_e32 v1, 0xffff, v0
	s_delay_alu instid0(VALU_DEP_1) | instskip(NEXT) | instid1(VALU_DEP_1)
	v_and_b32_e32 v15, 7, v1
	v_clz_i32_u32_e32 v16, v15
	s_delay_alu instid0(VALU_DEP_1) | instskip(NEXT) | instid1(VALU_DEP_1)
	v_min_u32_e32 v16, 32, v16
	v_subrev_nc_u32_e32 v17, 28, v16
	v_sub_nc_u32_e32 v16, 29, v16
	s_delay_alu instid0(VALU_DEP_2) | instskip(SKIP_1) | instid1(VALU_DEP_2)
	v_lshlrev_b32_e32 v17, v17, v1
	v_bfe_u32 v1, v1, 3, 4
	v_and_b32_e32 v17, 7, v17
	s_delay_alu instid0(VALU_DEP_2) | instskip(NEXT) | instid1(VALU_DEP_2)
	v_cmp_eq_u32_e32 vcc_lo, 0, v1
	v_dual_cndmask_b32 v15, v15, v17 :: v_dual_lshlrev_b32 v0, 24, v0
	v_cndmask_b32_e32 v1, v1, v16, vcc_lo
	s_delay_alu instid0(VALU_DEP_2) | instskip(NEXT) | instid1(VALU_DEP_3)
	v_and_b32_e32 v0, 0x80000000, v0
	v_lshlrev_b32_e32 v15, 20, v15
	s_delay_alu instid0(VALU_DEP_3) | instskip(NEXT) | instid1(VALU_DEP_1)
	v_lshl_add_u32 v1, v1, 23, 0x3b800000
	v_or3_b32 v15, v0, v1, v15
.LBB47_372:                             ;   in Loop: Header=BB47_17 Depth=1
	s_or_b32 exec_lo, exec_lo, s21
.LBB47_373:                             ;   in Loop: Header=BB47_17 Depth=1
	s_delay_alu instid0(SALU_CYCLE_1) | instskip(NEXT) | instid1(SALU_CYCLE_1)
	s_or_b32 exec_lo, exec_lo, s19
	s_and_not1_b32 s18, s18, exec_lo
	s_and_not1_b32 s17, s17, exec_lo
	s_or_b32 s16, s16, exec_lo
.LBB47_374:                             ;   in Loop: Header=BB47_17 Depth=1
	s_or_b32 exec_lo, exec_lo, s15
	s_delay_alu instid0(SALU_CYCLE_1)
	s_and_b32 s15, s18, exec_lo
	s_and_b32 s17, s17, exec_lo
	;; [unrolled: 1-line block ×3, first 2 shown]
                                        ; implicit-def: $vgpr16
                                        ; implicit-def: $vgpr0_vgpr1
.LBB47_375:                             ;   in Loop: Header=BB47_17 Depth=1
	s_and_not1_saveexec_b32 s14, s14
	s_cbranch_execz .LBB47_401
; %bb.376:                              ;   in Loop: Header=BB47_17 Depth=1
	s_mov_b32 s19, s16
	s_mov_b32 s18, exec_lo
                                        ; implicit-def: $vgpr15
	v_cmpx_lt_i16_e32 22, v16
	s_xor_b32 s18, exec_lo, s18
	s_cbranch_execz .LBB47_390
; %bb.377:                              ;   in Loop: Header=BB47_17 Depth=1
	s_mov_b32 s19, exec_lo
                                        ; implicit-def: $vgpr15
	v_cmpx_lt_i16_e32 23, v16
	s_xor_b32 s19, exec_lo, s19
	s_cbranch_execz .LBB47_387
; %bb.378:                              ;   in Loop: Header=BB47_17 Depth=1
	;; [unrolled: 6-line block ×3, first 2 shown]
	flat_load_u8 v0, v[0:1]
	s_mov_b32 s21, 0
	s_mov_b32 s23, exec_lo
                                        ; implicit-def: $sgpr22
	s_waitcnt vmcnt(0) lgkmcnt(0)
	v_cmpx_lt_i16_e32 0x7f, v0
	s_xor_b32 s23, exec_lo, s23
	s_cbranch_execnz .LBB47_1430
; %bb.380:                              ;   in Loop: Header=BB47_17 Depth=1
	s_or_saveexec_b32 s23, s23
	v_mov_b32_e32 v15, s22
	s_xor_b32 exec_lo, exec_lo, s23
	s_cbranch_execnz .LBB47_1433
.LBB47_381:                             ;   in Loop: Header=BB47_17 Depth=1
	s_or_b32 exec_lo, exec_lo, s23
	s_and_saveexec_b32 s22, s21
	s_cbranch_execz .LBB47_383
.LBB47_382:                             ;   in Loop: Header=BB47_17 Depth=1
	v_and_b32_e32 v1, 0xffff, v0
	s_delay_alu instid0(VALU_DEP_1) | instskip(NEXT) | instid1(VALU_DEP_1)
	v_and_b32_e32 v15, 3, v1
	v_clz_i32_u32_e32 v16, v15
	s_delay_alu instid0(VALU_DEP_1) | instskip(NEXT) | instid1(VALU_DEP_1)
	v_min_u32_e32 v16, 32, v16
	v_subrev_nc_u32_e32 v17, 29, v16
	v_sub_nc_u32_e32 v16, 30, v16
	s_delay_alu instid0(VALU_DEP_2) | instskip(SKIP_1) | instid1(VALU_DEP_2)
	v_lshlrev_b32_e32 v17, v17, v1
	v_bfe_u32 v1, v1, 2, 5
	v_and_b32_e32 v17, 3, v17
	s_delay_alu instid0(VALU_DEP_2) | instskip(NEXT) | instid1(VALU_DEP_2)
	v_cmp_eq_u32_e32 vcc_lo, 0, v1
	v_dual_cndmask_b32 v15, v15, v17 :: v_dual_lshlrev_b32 v0, 24, v0
	v_cndmask_b32_e32 v1, v1, v16, vcc_lo
	s_delay_alu instid0(VALU_DEP_2) | instskip(NEXT) | instid1(VALU_DEP_3)
	v_and_b32_e32 v0, 0x80000000, v0
	v_lshlrev_b32_e32 v15, 21, v15
	s_delay_alu instid0(VALU_DEP_3) | instskip(NEXT) | instid1(VALU_DEP_1)
	v_lshl_add_u32 v1, v1, 23, 0x37800000
	v_or3_b32 v15, v0, v1, v15
.LBB47_383:                             ;   in Loop: Header=BB47_17 Depth=1
	s_or_b32 exec_lo, exec_lo, s22
                                        ; implicit-def: $vgpr0_vgpr1
.LBB47_384:                             ;   in Loop: Header=BB47_17 Depth=1
	s_and_not1_saveexec_b32 s20, s20
	s_cbranch_execz .LBB47_386
; %bb.385:                              ;   in Loop: Header=BB47_17 Depth=1
	flat_load_u8 v0, v[0:1]
	s_waitcnt vmcnt(0) lgkmcnt(0)
	v_lshlrev_b32_e32 v0, 24, v0
	s_delay_alu instid0(VALU_DEP_1) | instskip(NEXT) | instid1(VALU_DEP_1)
	v_and_b32_e32 v1, 0x7f000000, v0
	v_clz_i32_u32_e32 v15, v1
	v_add_nc_u32_e32 v17, 0x1000000, v1
	v_cmp_ne_u32_e32 vcc_lo, 0, v1
	s_delay_alu instid0(VALU_DEP_3) | instskip(NEXT) | instid1(VALU_DEP_1)
	v_min_u32_e32 v15, 32, v15
	v_sub_nc_u32_e64 v15, v15, 4 clamp
	s_delay_alu instid0(VALU_DEP_1) | instskip(SKIP_1) | instid1(VALU_DEP_2)
	v_lshlrev_b32_e32 v16, v15, v1
	v_lshlrev_b32_e32 v15, 23, v15
	v_lshrrev_b32_e32 v16, 4, v16
	s_delay_alu instid0(VALU_DEP_1) | instskip(SKIP_1) | instid1(VALU_DEP_2)
	v_sub_nc_u32_e32 v15, v16, v15
	v_ashrrev_i32_e32 v16, 8, v17
	v_add_nc_u32_e32 v15, 0x3c000000, v15
	s_delay_alu instid0(VALU_DEP_1) | instskip(NEXT) | instid1(VALU_DEP_1)
	v_and_or_b32 v15, 0x7f800000, v16, v15
	v_cndmask_b32_e32 v1, 0, v15, vcc_lo
	s_delay_alu instid0(VALU_DEP_1)
	v_and_or_b32 v15, 0x80000000, v0, v1
.LBB47_386:                             ;   in Loop: Header=BB47_17 Depth=1
	s_or_b32 exec_lo, exec_lo, s20
                                        ; implicit-def: $vgpr0_vgpr1
.LBB47_387:                             ;   in Loop: Header=BB47_17 Depth=1
	s_and_not1_saveexec_b32 s19, s19
	s_cbranch_execz .LBB47_389
; %bb.388:                              ;   in Loop: Header=BB47_17 Depth=1
	flat_load_u8 v0, v[0:1]
	s_waitcnt vmcnt(0) lgkmcnt(0)
	v_lshlrev_b32_e32 v1, 25, v0
	v_lshlrev_b16 v0, 8, v0
	s_delay_alu instid0(VALU_DEP_2) | instskip(NEXT) | instid1(VALU_DEP_2)
	v_lshrrev_b32_e32 v15, 4, v1
	v_and_or_b32 v16, 0x7f00, v0, 0.5
	v_cmp_gt_u32_e32 vcc_lo, 0x8000000, v1
	v_bfe_i32 v0, v0, 0, 16
	s_delay_alu instid0(VALU_DEP_4) | instskip(NEXT) | instid1(VALU_DEP_1)
	v_or_b32_e32 v15, 0x70000000, v15
	v_dual_add_f32 v16, -0.5, v16 :: v_dual_mul_f32 v15, 0x7800000, v15
	s_delay_alu instid0(VALU_DEP_1) | instskip(NEXT) | instid1(VALU_DEP_1)
	v_cndmask_b32_e32 v1, v15, v16, vcc_lo
	v_and_or_b32 v15, 0x80000000, v0, v1
.LBB47_389:                             ;   in Loop: Header=BB47_17 Depth=1
	s_or_b32 exec_lo, exec_lo, s19
	s_delay_alu instid0(SALU_CYCLE_1)
	s_or_b32 s19, s16, exec_lo
                                        ; implicit-def: $vgpr16
                                        ; implicit-def: $vgpr0_vgpr1
.LBB47_390:                             ;   in Loop: Header=BB47_17 Depth=1
	s_or_saveexec_b32 s18, s18
                                        ; implicit-def: $sgpr20
                                        ; implicit-def: $sgpr22
	s_delay_alu instid0(SALU_CYCLE_1)
	s_xor_b32 exec_lo, exec_lo, s18
	s_cbranch_execz .LBB47_400
; %bb.391:                              ;   in Loop: Header=BB47_17 Depth=1
	s_mov_b32 s21, s19
	s_mov_b32 s23, exec_lo
                                        ; implicit-def: $sgpr22
                                        ; implicit-def: $sgpr20
                                        ; implicit-def: $vgpr15
	v_cmpx_lt_i16_e32 14, v16
	s_xor_b32 s23, exec_lo, s23
	s_cbranch_execz .LBB47_395
; %bb.392:                              ;   in Loop: Header=BB47_17 Depth=1
	s_mov_b32 s21, s19
	s_mov_b32 s20, exec_lo
                                        ; implicit-def: $vgpr15
	v_cmpx_eq_u16_e32 15, v16
	s_cbranch_execz .LBB47_394
; %bb.393:                              ;   in Loop: Header=BB47_17 Depth=1
	flat_load_u16 v0, v[0:1]
	s_or_b32 s21, s19, exec_lo
	s_waitcnt vmcnt(0) lgkmcnt(0)
	v_lshlrev_b32_e32 v15, 16, v0
.LBB47_394:                             ;   in Loop: Header=BB47_17 Depth=1
	s_or_b32 exec_lo, exec_lo, s20
	s_delay_alu instid0(SALU_CYCLE_1)
	s_and_not1_b32 s24, s19, exec_lo
	s_and_b32 s21, s21, exec_lo
	s_mov_b32 s20, 0
	s_mov_b32 s22, -1
	s_or_b32 s21, s24, s21
                                        ; implicit-def: $vgpr16
                                        ; implicit-def: $vgpr0_vgpr1
.LBB47_395:                             ;   in Loop: Header=BB47_17 Depth=1
	s_and_not1_saveexec_b32 s23, s23
	s_cbranch_execz .LBB47_399
; %bb.396:                              ;   in Loop: Header=BB47_17 Depth=1
	s_mov_b32 s24, s21
	s_mov_b32 s25, exec_lo
                                        ; implicit-def: $vgpr15
	v_cmpx_eq_u16_e32 11, v16
	s_cbranch_execz .LBB47_398
; %bb.397:                              ;   in Loop: Header=BB47_17 Depth=1
	flat_load_u8 v0, v[0:1]
	s_or_b32 s24, s21, exec_lo
	s_waitcnt vmcnt(0) lgkmcnt(0)
	v_cmp_ne_u16_e32 vcc_lo, 0, v0
	v_cndmask_b32_e64 v15, 0, 1.0, vcc_lo
.LBB47_398:                             ;   in Loop: Header=BB47_17 Depth=1
	s_or_b32 exec_lo, exec_lo, s25
	s_delay_alu instid0(SALU_CYCLE_1)
	s_and_not1_b32 s21, s21, exec_lo
	s_and_b32 s24, s24, exec_lo
	s_or_b32 s22, s22, exec_lo
	s_and_not1_b32 s20, s20, exec_lo
	s_or_b32 s21, s21, s24
.LBB47_399:                             ;   in Loop: Header=BB47_17 Depth=1
	s_or_b32 exec_lo, exec_lo, s23
	s_delay_alu instid0(SALU_CYCLE_1)
	s_and_not1_b32 s19, s19, exec_lo
	s_and_b32 s21, s21, exec_lo
	s_and_b32 s22, s22, exec_lo
	;; [unrolled: 1-line block ×3, first 2 shown]
	s_or_b32 s19, s19, s21
.LBB47_400:                             ;   in Loop: Header=BB47_17 Depth=1
	s_or_b32 exec_lo, exec_lo, s18
	s_delay_alu instid0(SALU_CYCLE_1)
	s_and_not1_b32 s15, s15, exec_lo
	s_and_b32 s18, s22, exec_lo
	s_and_not1_b32 s17, s17, exec_lo
	s_or_b32 s15, s15, s18
	s_and_b32 s18, s20, exec_lo
	s_and_not1_b32 s16, s16, exec_lo
	s_and_b32 s19, s19, exec_lo
	s_or_b32 s17, s17, s18
	s_or_b32 s16, s16, s19
.LBB47_401:                             ;   in Loop: Header=BB47_17 Depth=1
	s_or_b32 exec_lo, exec_lo, s14
	s_delay_alu instid0(SALU_CYCLE_1)
	s_and_b32 s15, s15, exec_lo
	s_and_b32 s14, s17, exec_lo
	;; [unrolled: 1-line block ×3, first 2 shown]
                                        ; implicit-def: $vgpr16
                                        ; implicit-def: $vgpr0_vgpr1
	s_and_not1_saveexec_b32 s13, s13
	s_cbranch_execz .LBB47_334
.LBB47_402:                             ;   in Loop: Header=BB47_17 Depth=1
	s_mov_b32 s17, exec_lo
                                        ; implicit-def: $vgpr15
	v_cmpx_lt_i16_e32 4, v16
	s_xor_b32 s17, exec_lo, s17
	s_cbranch_execz .LBB47_424
; %bb.403:                              ;   in Loop: Header=BB47_17 Depth=1
	s_mov_b32 s18, exec_lo
                                        ; implicit-def: $vgpr15
	v_cmpx_lt_i16_e32 7, v16
	s_xor_b32 s18, exec_lo, s18
	s_cbranch_execz .LBB47_413
; %bb.404:                              ;   in Loop: Header=BB47_17 Depth=1
	;; [unrolled: 6-line block ×4, first 2 shown]
	flat_load_b64 v[0:1], v[0:1]
	s_waitcnt vmcnt(0) lgkmcnt(0)
	v_cvt_f32_f64_e32 v15, v[0:1]
                                        ; implicit-def: $vgpr0_vgpr1
.LBB47_407:                             ;   in Loop: Header=BB47_17 Depth=1
	s_and_not1_saveexec_b32 s20, s20
	s_cbranch_execz .LBB47_409
; %bb.408:                              ;   in Loop: Header=BB47_17 Depth=1
	flat_load_b32 v15, v[0:1]
.LBB47_409:                             ;   in Loop: Header=BB47_17 Depth=1
	s_or_b32 exec_lo, exec_lo, s20
                                        ; implicit-def: $vgpr0_vgpr1
.LBB47_410:                             ;   in Loop: Header=BB47_17 Depth=1
	s_and_not1_saveexec_b32 s19, s19
	s_cbranch_execz .LBB47_412
; %bb.411:                              ;   in Loop: Header=BB47_17 Depth=1
	flat_load_b32 v0, v[0:1]
	s_waitcnt vmcnt(0) lgkmcnt(0)
	v_cvt_f32_f16_e32 v15, v0
.LBB47_412:                             ;   in Loop: Header=BB47_17 Depth=1
	s_or_b32 exec_lo, exec_lo, s19
                                        ; implicit-def: $vgpr0_vgpr1
                                        ; implicit-def: $vgpr16
.LBB47_413:                             ;   in Loop: Header=BB47_17 Depth=1
	s_and_not1_saveexec_b32 s18, s18
	s_cbranch_execz .LBB47_423
; %bb.414:                              ;   in Loop: Header=BB47_17 Depth=1
	s_mov_b32 s19, exec_lo
                                        ; implicit-def: $vgpr15
	v_cmpx_lt_i16_e32 5, v16
	s_xor_b32 s19, exec_lo, s19
	s_cbranch_execz .LBB47_420
; %bb.415:                              ;   in Loop: Header=BB47_17 Depth=1
	s_mov_b32 s20, exec_lo
                                        ; implicit-def: $vgpr15
	v_cmpx_lt_i16_e32 6, v16
	s_xor_b32 s20, exec_lo, s20
	s_cbranch_execz .LBB47_417
; %bb.416:                              ;   in Loop: Header=BB47_17 Depth=1
	flat_load_b64 v[0:1], v[0:1]
	s_waitcnt vmcnt(0) lgkmcnt(0)
	v_cvt_f32_f64_e32 v15, v[0:1]
                                        ; implicit-def: $vgpr0_vgpr1
.LBB47_417:                             ;   in Loop: Header=BB47_17 Depth=1
	s_and_not1_saveexec_b32 s20, s20
	s_cbranch_execz .LBB47_419
; %bb.418:                              ;   in Loop: Header=BB47_17 Depth=1
	s_waitcnt vmcnt(0) lgkmcnt(0)
	flat_load_b32 v15, v[0:1]
.LBB47_419:                             ;   in Loop: Header=BB47_17 Depth=1
	s_or_b32 exec_lo, exec_lo, s20
                                        ; implicit-def: $vgpr0_vgpr1
.LBB47_420:                             ;   in Loop: Header=BB47_17 Depth=1
	s_and_not1_saveexec_b32 s19, s19
	s_cbranch_execz .LBB47_422
; %bb.421:                              ;   in Loop: Header=BB47_17 Depth=1
	flat_load_u16 v0, v[0:1]
	s_waitcnt vmcnt(0) lgkmcnt(0)
	v_cvt_f32_f16_e32 v15, v0
.LBB47_422:                             ;   in Loop: Header=BB47_17 Depth=1
	s_or_b32 exec_lo, exec_lo, s19
.LBB47_423:                             ;   in Loop: Header=BB47_17 Depth=1
	s_delay_alu instid0(SALU_CYCLE_1)
	s_or_b32 exec_lo, exec_lo, s18
                                        ; implicit-def: $vgpr16
                                        ; implicit-def: $vgpr0_vgpr1
.LBB47_424:                             ;   in Loop: Header=BB47_17 Depth=1
	s_and_not1_saveexec_b32 s17, s17
	s_cbranch_execz .LBB47_442
; %bb.425:                              ;   in Loop: Header=BB47_17 Depth=1
	s_mov_b32 s18, exec_lo
                                        ; implicit-def: $vgpr15
	v_cmpx_lt_i16_e32 1, v16
	s_xor_b32 s18, exec_lo, s18
	s_cbranch_execz .LBB47_435
; %bb.426:                              ;   in Loop: Header=BB47_17 Depth=1
	s_mov_b32 s19, exec_lo
                                        ; implicit-def: $vgpr15
	v_cmpx_lt_i16_e32 2, v16
	s_xor_b32 s19, exec_lo, s19
	;; [unrolled: 6-line block ×3, first 2 shown]
	s_cbranch_execz .LBB47_429
; %bb.428:                              ;   in Loop: Header=BB47_17 Depth=1
	flat_load_b64 v[0:1], v[0:1]
	s_waitcnt vmcnt(0) lgkmcnt(0)
	v_xor_b32_e32 v15, v0, v1
	v_cls_i32_e32 v16, v1
	s_delay_alu instid0(VALU_DEP_2) | instskip(NEXT) | instid1(VALU_DEP_2)
	v_ashrrev_i32_e32 v15, 31, v15
	v_add_nc_u32_e32 v16, -1, v16
	s_delay_alu instid0(VALU_DEP_2) | instskip(NEXT) | instid1(VALU_DEP_1)
	v_add_nc_u32_e32 v15, 32, v15
	v_min_u32_e32 v15, v16, v15
	s_delay_alu instid0(VALU_DEP_1) | instskip(NEXT) | instid1(VALU_DEP_1)
	v_lshlrev_b64 v[0:1], v15, v[0:1]
	v_min_u32_e32 v0, 1, v0
	s_delay_alu instid0(VALU_DEP_1) | instskip(SKIP_1) | instid1(VALU_DEP_2)
	v_or_b32_e32 v0, v1, v0
	v_sub_nc_u32_e32 v1, 32, v15
	v_cvt_f32_i32_e32 v0, v0
	s_delay_alu instid0(VALU_DEP_1)
	v_ldexp_f32 v15, v0, v1
                                        ; implicit-def: $vgpr0_vgpr1
.LBB47_429:                             ;   in Loop: Header=BB47_17 Depth=1
	s_and_not1_saveexec_b32 s20, s20
	s_cbranch_execz .LBB47_431
; %bb.430:                              ;   in Loop: Header=BB47_17 Depth=1
	flat_load_b32 v0, v[0:1]
	s_waitcnt vmcnt(0) lgkmcnt(0)
	v_cvt_f32_i32_e32 v15, v0
.LBB47_431:                             ;   in Loop: Header=BB47_17 Depth=1
	s_or_b32 exec_lo, exec_lo, s20
                                        ; implicit-def: $vgpr0_vgpr1
.LBB47_432:                             ;   in Loop: Header=BB47_17 Depth=1
	s_and_not1_saveexec_b32 s19, s19
	s_cbranch_execz .LBB47_434
; %bb.433:                              ;   in Loop: Header=BB47_17 Depth=1
	flat_load_i16 v0, v[0:1]
	s_waitcnt vmcnt(0) lgkmcnt(0)
	v_cvt_f32_i32_e32 v15, v0
.LBB47_434:                             ;   in Loop: Header=BB47_17 Depth=1
	s_or_b32 exec_lo, exec_lo, s19
                                        ; implicit-def: $vgpr0_vgpr1
                                        ; implicit-def: $vgpr16
.LBB47_435:                             ;   in Loop: Header=BB47_17 Depth=1
	s_and_not1_saveexec_b32 s18, s18
	s_cbranch_execz .LBB47_441
; %bb.436:                              ;   in Loop: Header=BB47_17 Depth=1
	s_mov_b32 s19, exec_lo
                                        ; implicit-def: $vgpr15
	v_cmpx_lt_i16_e32 0, v16
	s_xor_b32 s19, exec_lo, s19
	s_cbranch_execz .LBB47_438
; %bb.437:                              ;   in Loop: Header=BB47_17 Depth=1
	flat_load_i8 v0, v[0:1]
	s_waitcnt vmcnt(0) lgkmcnt(0)
	v_cvt_f32_i32_e32 v15, v0
                                        ; implicit-def: $vgpr0_vgpr1
.LBB47_438:                             ;   in Loop: Header=BB47_17 Depth=1
	s_and_not1_saveexec_b32 s19, s19
	s_cbranch_execz .LBB47_440
; %bb.439:                              ;   in Loop: Header=BB47_17 Depth=1
	flat_load_u8 v0, v[0:1]
	s_waitcnt vmcnt(0) lgkmcnt(0)
	v_cvt_f32_ubyte0_e32 v15, v0
.LBB47_440:                             ;   in Loop: Header=BB47_17 Depth=1
	s_or_b32 exec_lo, exec_lo, s19
.LBB47_441:                             ;   in Loop: Header=BB47_17 Depth=1
	s_delay_alu instid0(SALU_CYCLE_1)
	s_or_b32 exec_lo, exec_lo, s18
.LBB47_442:                             ;   in Loop: Header=BB47_17 Depth=1
	s_delay_alu instid0(SALU_CYCLE_1) | instskip(NEXT) | instid1(SALU_CYCLE_1)
	s_or_b32 exec_lo, exec_lo, s17
	s_and_not1_b32 s15, s15, exec_lo
	s_and_not1_b32 s14, s14, exec_lo
	s_or_b32 s16, s16, exec_lo
	s_or_b32 exec_lo, exec_lo, s13
	s_mov_b32 s13, 0
	s_and_saveexec_b32 s17, s16
	s_cbranch_execnz .LBB47_335
	s_branch .LBB47_336
.LBB47_443:                             ;   in Loop: Header=BB47_17 Depth=1
	s_mov_b32 s10, exec_lo
                                        ; implicit-def: $sgpr17
                                        ; implicit-def: $sgpr12
                                        ; implicit-def: $vgpr16
	v_cmpx_lt_i16_e32 25, v7
	s_xor_b32 s10, exec_lo, s10
	s_cbranch_execz .LBB47_475
; %bb.444:                              ;   in Loop: Header=BB47_17 Depth=1
	s_mov_b32 s12, exec_lo
                                        ; implicit-def: $sgpr17
                                        ; implicit-def: $sgpr18
                                        ; implicit-def: $vgpr16
	v_cmpx_lt_i16_e32 28, v7
	s_xor_b32 s12, exec_lo, s12
	s_cbranch_execz .LBB47_460
; %bb.445:                              ;   in Loop: Header=BB47_17 Depth=1
	s_mov_b32 s19, 0
	s_mov_b32 s16, exec_lo
                                        ; implicit-def: $sgpr17
                                        ; implicit-def: $sgpr18
                                        ; implicit-def: $vgpr16
	v_cmpx_lt_i16_e32 43, v7
	s_xor_b32 s16, exec_lo, s16
	s_cbranch_execz .LBB47_455
; %bb.446:                              ;   in Loop: Header=BB47_17 Depth=1
	s_mov_b32 s18, exec_lo
                                        ; implicit-def: $sgpr17
                                        ; implicit-def: $sgpr20
                                        ; implicit-def: $vgpr16
	v_cmpx_lt_i16_e32 45, v7
	s_xor_b32 s18, exec_lo, s18
	s_cbranch_execz .LBB47_450
; %bb.447:                              ;   in Loop: Header=BB47_17 Depth=1
	s_mov_b32 s17, 0
	s_mov_b32 s20, exec_lo
                                        ; implicit-def: $vgpr16
	v_cmpx_eq_u16_e32 46, v7
	s_cbranch_execz .LBB47_449
; %bb.448:                              ;   in Loop: Header=BB47_17 Depth=1
	flat_load_b32 v0, v[0:1]
	s_mov_b32 s19, exec_lo
	s_waitcnt vmcnt(0) lgkmcnt(0)
	v_lshlrev_b32_e32 v16, 16, v0
.LBB47_449:                             ;   in Loop: Header=BB47_17 Depth=1
	s_or_b32 exec_lo, exec_lo, s20
	s_mov_b32 s20, -1
	s_and_b32 s19, s19, exec_lo
                                        ; implicit-def: $vgpr0_vgpr1
.LBB47_450:                             ;   in Loop: Header=BB47_17 Depth=1
	s_and_not1_saveexec_b32 s18, s18
	s_cbranch_execz .LBB47_454
; %bb.451:                              ;   in Loop: Header=BB47_17 Depth=1
	s_mov_b32 s22, s19
	s_mov_b32 s21, exec_lo
                                        ; implicit-def: $vgpr16
	v_cmpx_eq_u16_e32 44, v7
	s_cbranch_execz .LBB47_453
; %bb.452:                              ;   in Loop: Header=BB47_17 Depth=1
	flat_load_u8 v0, v[0:1]
	s_or_b32 s22, s19, exec_lo
	s_waitcnt vmcnt(0) lgkmcnt(0)
	v_lshlrev_b32_e32 v1, 23, v0
	v_cmp_ne_u32_e32 vcc_lo, 0xff, v0
	s_delay_alu instid0(VALU_DEP_2) | instskip(SKIP_1) | instid1(VALU_DEP_2)
	v_cndmask_b32_e32 v1, 0x7f800001, v1, vcc_lo
	v_cmp_ne_u32_e32 vcc_lo, 0, v0
	v_cndmask_b32_e32 v16, 0x400000, v1, vcc_lo
.LBB47_453:                             ;   in Loop: Header=BB47_17 Depth=1
	s_or_b32 exec_lo, exec_lo, s21
	s_delay_alu instid0(SALU_CYCLE_1)
	s_and_not1_b32 s19, s19, exec_lo
	s_and_b32 s21, s22, exec_lo
	s_and_not1_b32 s17, s17, exec_lo
	s_or_b32 s20, s20, exec_lo
	s_or_b32 s19, s19, s21
.LBB47_454:                             ;   in Loop: Header=BB47_17 Depth=1
	s_or_b32 exec_lo, exec_lo, s18
	s_delay_alu instid0(SALU_CYCLE_1)
	s_and_b32 s18, s17, exec_lo
	s_and_b32 s17, s20, exec_lo
	;; [unrolled: 1-line block ×3, first 2 shown]
                                        ; implicit-def: $vgpr0_vgpr1
.LBB47_455:                             ;   in Loop: Header=BB47_17 Depth=1
	s_and_not1_saveexec_b32 s16, s16
	s_cbranch_execz .LBB47_459
; %bb.456:                              ;   in Loop: Header=BB47_17 Depth=1
	s_mov_b32 s21, s19
	s_mov_b32 s20, exec_lo
                                        ; implicit-def: $vgpr16
	v_cmpx_eq_u16_e32 29, v7
	s_cbranch_execz .LBB47_458
; %bb.457:                              ;   in Loop: Header=BB47_17 Depth=1
	flat_load_b64 v[0:1], v[0:1]
	s_or_b32 s21, s19, exec_lo
	s_waitcnt vmcnt(0) lgkmcnt(0)
	v_clz_i32_u32_e32 v14, v1
	s_delay_alu instid0(VALU_DEP_1) | instskip(NEXT) | instid1(VALU_DEP_1)
	v_min_u32_e32 v14, 32, v14
	v_lshlrev_b64 v[0:1], v14, v[0:1]
	s_delay_alu instid0(VALU_DEP_1) | instskip(NEXT) | instid1(VALU_DEP_1)
	v_min_u32_e32 v0, 1, v0
	v_or_b32_e32 v0, v1, v0
	v_sub_nc_u32_e32 v1, 32, v14
	s_delay_alu instid0(VALU_DEP_2) | instskip(NEXT) | instid1(VALU_DEP_1)
	v_cvt_f32_u32_e32 v0, v0
	v_ldexp_f32 v16, v0, v1
.LBB47_458:                             ;   in Loop: Header=BB47_17 Depth=1
	s_or_b32 exec_lo, exec_lo, s20
	s_delay_alu instid0(SALU_CYCLE_1)
	s_and_not1_b32 s19, s19, exec_lo
	s_and_b32 s20, s21, exec_lo
	s_and_not1_b32 s18, s18, exec_lo
	s_or_b32 s17, s17, exec_lo
	s_or_b32 s19, s19, s20
.LBB47_459:                             ;   in Loop: Header=BB47_17 Depth=1
	s_or_b32 exec_lo, exec_lo, s16
	s_delay_alu instid0(SALU_CYCLE_1)
	s_and_b32 s18, s18, exec_lo
	s_and_b32 s17, s17, exec_lo
	;; [unrolled: 1-line block ×3, first 2 shown]
                                        ; implicit-def: $vgpr0_vgpr1
.LBB47_460:                             ;   in Loop: Header=BB47_17 Depth=1
	s_and_not1_saveexec_b32 s12, s12
	s_cbranch_execz .LBB47_474
; %bb.461:                              ;   in Loop: Header=BB47_17 Depth=1
	s_mov_b32 s19, exec_lo
                                        ; implicit-def: $vgpr16
	v_cmpx_lt_i16_e32 26, v7
	s_xor_b32 s19, exec_lo, s19
	s_cbranch_execz .LBB47_467
; %bb.462:                              ;   in Loop: Header=BB47_17 Depth=1
	s_mov_b32 s20, exec_lo
                                        ; implicit-def: $vgpr16
	v_cmpx_lt_i16_e32 27, v7
	s_xor_b32 s20, exec_lo, s20
	s_cbranch_execz .LBB47_464
; %bb.463:                              ;   in Loop: Header=BB47_17 Depth=1
	flat_load_b32 v0, v[0:1]
	s_waitcnt vmcnt(0) lgkmcnt(0)
	v_cvt_f32_u32_e32 v16, v0
                                        ; implicit-def: $vgpr0_vgpr1
.LBB47_464:                             ;   in Loop: Header=BB47_17 Depth=1
	s_and_not1_saveexec_b32 s20, s20
	s_cbranch_execz .LBB47_466
; %bb.465:                              ;   in Loop: Header=BB47_17 Depth=1
	flat_load_u16 v0, v[0:1]
	s_waitcnt vmcnt(0) lgkmcnt(0)
	v_cvt_f32_u32_e32 v16, v0
.LBB47_466:                             ;   in Loop: Header=BB47_17 Depth=1
	s_or_b32 exec_lo, exec_lo, s20
                                        ; implicit-def: $vgpr0_vgpr1
.LBB47_467:                             ;   in Loop: Header=BB47_17 Depth=1
	s_and_not1_saveexec_b32 s19, s19
	s_cbranch_execz .LBB47_473
; %bb.468:                              ;   in Loop: Header=BB47_17 Depth=1
	flat_load_u8 v0, v[0:1]
	s_mov_b32 s20, 0
	s_mov_b32 s22, exec_lo
                                        ; implicit-def: $sgpr21
	s_waitcnt vmcnt(0) lgkmcnt(0)
	v_cmpx_lt_i16_e32 0x7f, v0
	s_xor_b32 s22, exec_lo, s22
	s_cbranch_execnz .LBB47_1215
; %bb.469:                              ;   in Loop: Header=BB47_17 Depth=1
	s_or_saveexec_b32 s22, s22
	v_mov_b32_e32 v16, s21
	s_xor_b32 exec_lo, exec_lo, s22
	s_cbranch_execnz .LBB47_1218
.LBB47_470:                             ;   in Loop: Header=BB47_17 Depth=1
	s_or_b32 exec_lo, exec_lo, s22
	s_and_saveexec_b32 s21, s20
	s_cbranch_execz .LBB47_472
.LBB47_471:                             ;   in Loop: Header=BB47_17 Depth=1
	v_and_b32_e32 v1, 0xffff, v0
	v_lshlrev_b32_e32 v0, 24, v0
	s_delay_alu instid0(VALU_DEP_2) | instskip(NEXT) | instid1(VALU_DEP_2)
	v_and_b32_e32 v14, 7, v1
	v_and_b32_e32 v0, 0x80000000, v0
	s_delay_alu instid0(VALU_DEP_2) | instskip(NEXT) | instid1(VALU_DEP_1)
	v_clz_i32_u32_e32 v16, v14
	v_min_u32_e32 v16, 32, v16
	s_delay_alu instid0(VALU_DEP_1) | instskip(SKIP_1) | instid1(VALU_DEP_2)
	v_subrev_nc_u32_e32 v17, 28, v16
	v_sub_nc_u32_e32 v16, 29, v16
	v_lshlrev_b32_e32 v17, v17, v1
	v_bfe_u32 v1, v1, 3, 4
	s_delay_alu instid0(VALU_DEP_2) | instskip(NEXT) | instid1(VALU_DEP_2)
	v_and_b32_e32 v17, 7, v17
	v_cmp_eq_u32_e32 vcc_lo, 0, v1
	s_delay_alu instid0(VALU_DEP_2) | instskip(NEXT) | instid1(VALU_DEP_1)
	v_dual_cndmask_b32 v1, v1, v16 :: v_dual_cndmask_b32 v14, v14, v17
	v_lshl_add_u32 v1, v1, 23, 0x3b800000
	s_delay_alu instid0(VALU_DEP_2) | instskip(NEXT) | instid1(VALU_DEP_1)
	v_lshlrev_b32_e32 v14, 20, v14
	v_or3_b32 v16, v0, v1, v14
.LBB47_472:                             ;   in Loop: Header=BB47_17 Depth=1
	s_or_b32 exec_lo, exec_lo, s21
.LBB47_473:                             ;   in Loop: Header=BB47_17 Depth=1
	s_delay_alu instid0(SALU_CYCLE_1) | instskip(NEXT) | instid1(SALU_CYCLE_1)
	s_or_b32 exec_lo, exec_lo, s19
	s_and_not1_b32 s18, s18, exec_lo
	s_and_not1_b32 s17, s17, exec_lo
	s_or_b32 s16, s16, exec_lo
.LBB47_474:                             ;   in Loop: Header=BB47_17 Depth=1
	s_or_b32 exec_lo, exec_lo, s12
	s_delay_alu instid0(SALU_CYCLE_1)
	s_and_b32 s12, s18, exec_lo
	s_and_b32 s17, s17, exec_lo
	;; [unrolled: 1-line block ×3, first 2 shown]
                                        ; implicit-def: $vgpr0_vgpr1
.LBB47_475:                             ;   in Loop: Header=BB47_17 Depth=1
	s_and_not1_saveexec_b32 s10, s10
	s_cbranch_execz .LBB47_501
; %bb.476:                              ;   in Loop: Header=BB47_17 Depth=1
	s_mov_b32 s19, s16
	s_mov_b32 s18, exec_lo
                                        ; implicit-def: $vgpr16
	v_cmpx_lt_i16_e32 22, v7
	s_xor_b32 s18, exec_lo, s18
	s_cbranch_execz .LBB47_490
; %bb.477:                              ;   in Loop: Header=BB47_17 Depth=1
	s_mov_b32 s19, exec_lo
                                        ; implicit-def: $vgpr16
	v_cmpx_lt_i16_e32 23, v7
	s_xor_b32 s19, exec_lo, s19
	s_cbranch_execz .LBB47_487
; %bb.478:                              ;   in Loop: Header=BB47_17 Depth=1
	;; [unrolled: 6-line block ×3, first 2 shown]
	flat_load_u8 v0, v[0:1]
	s_mov_b32 s21, 0
	s_mov_b32 s23, exec_lo
                                        ; implicit-def: $sgpr22
	s_waitcnt vmcnt(0) lgkmcnt(0)
	v_cmpx_lt_i16_e32 0x7f, v0
	s_xor_b32 s23, exec_lo, s23
	s_cbranch_execnz .LBB47_1434
; %bb.480:                              ;   in Loop: Header=BB47_17 Depth=1
	s_or_saveexec_b32 s23, s23
	v_mov_b32_e32 v16, s22
	s_xor_b32 exec_lo, exec_lo, s23
	s_cbranch_execnz .LBB47_1437
.LBB47_481:                             ;   in Loop: Header=BB47_17 Depth=1
	s_or_b32 exec_lo, exec_lo, s23
	s_and_saveexec_b32 s22, s21
	s_cbranch_execz .LBB47_483
.LBB47_482:                             ;   in Loop: Header=BB47_17 Depth=1
	v_and_b32_e32 v1, 0xffff, v0
	v_lshlrev_b32_e32 v0, 24, v0
	s_delay_alu instid0(VALU_DEP_2) | instskip(NEXT) | instid1(VALU_DEP_2)
	v_and_b32_e32 v14, 3, v1
	v_and_b32_e32 v0, 0x80000000, v0
	s_delay_alu instid0(VALU_DEP_2) | instskip(NEXT) | instid1(VALU_DEP_1)
	v_clz_i32_u32_e32 v16, v14
	v_min_u32_e32 v16, 32, v16
	s_delay_alu instid0(VALU_DEP_1) | instskip(SKIP_1) | instid1(VALU_DEP_2)
	v_subrev_nc_u32_e32 v17, 29, v16
	v_sub_nc_u32_e32 v16, 30, v16
	v_lshlrev_b32_e32 v17, v17, v1
	v_bfe_u32 v1, v1, 2, 5
	s_delay_alu instid0(VALU_DEP_2) | instskip(NEXT) | instid1(VALU_DEP_2)
	v_and_b32_e32 v17, 3, v17
	v_cmp_eq_u32_e32 vcc_lo, 0, v1
	s_delay_alu instid0(VALU_DEP_2) | instskip(NEXT) | instid1(VALU_DEP_1)
	v_dual_cndmask_b32 v1, v1, v16 :: v_dual_cndmask_b32 v14, v14, v17
	v_lshl_add_u32 v1, v1, 23, 0x37800000
	s_delay_alu instid0(VALU_DEP_2) | instskip(NEXT) | instid1(VALU_DEP_1)
	v_lshlrev_b32_e32 v14, 21, v14
	v_or3_b32 v16, v0, v1, v14
.LBB47_483:                             ;   in Loop: Header=BB47_17 Depth=1
	s_or_b32 exec_lo, exec_lo, s22
                                        ; implicit-def: $vgpr0_vgpr1
.LBB47_484:                             ;   in Loop: Header=BB47_17 Depth=1
	s_and_not1_saveexec_b32 s20, s20
	s_cbranch_execz .LBB47_486
; %bb.485:                              ;   in Loop: Header=BB47_17 Depth=1
	flat_load_u8 v0, v[0:1]
	s_waitcnt vmcnt(0) lgkmcnt(0)
	v_lshlrev_b32_e32 v0, 24, v0
	s_delay_alu instid0(VALU_DEP_1) | instskip(NEXT) | instid1(VALU_DEP_1)
	v_and_b32_e32 v1, 0x7f000000, v0
	v_clz_i32_u32_e32 v14, v1
	v_add_nc_u32_e32 v17, 0x1000000, v1
	v_cmp_ne_u32_e32 vcc_lo, 0, v1
	s_delay_alu instid0(VALU_DEP_3) | instskip(NEXT) | instid1(VALU_DEP_1)
	v_min_u32_e32 v14, 32, v14
	v_sub_nc_u32_e64 v14, v14, 4 clamp
	s_delay_alu instid0(VALU_DEP_1) | instskip(SKIP_1) | instid1(VALU_DEP_2)
	v_lshlrev_b32_e32 v16, v14, v1
	v_lshlrev_b32_e32 v14, 23, v14
	v_lshrrev_b32_e32 v16, 4, v16
	s_delay_alu instid0(VALU_DEP_1) | instskip(SKIP_1) | instid1(VALU_DEP_2)
	v_sub_nc_u32_e32 v14, v16, v14
	v_ashrrev_i32_e32 v16, 8, v17
	v_add_nc_u32_e32 v14, 0x3c000000, v14
	s_delay_alu instid0(VALU_DEP_1) | instskip(NEXT) | instid1(VALU_DEP_1)
	v_and_or_b32 v14, 0x7f800000, v16, v14
	v_cndmask_b32_e32 v1, 0, v14, vcc_lo
	s_delay_alu instid0(VALU_DEP_1)
	v_and_or_b32 v16, 0x80000000, v0, v1
.LBB47_486:                             ;   in Loop: Header=BB47_17 Depth=1
	s_or_b32 exec_lo, exec_lo, s20
                                        ; implicit-def: $vgpr0_vgpr1
.LBB47_487:                             ;   in Loop: Header=BB47_17 Depth=1
	s_and_not1_saveexec_b32 s19, s19
	s_cbranch_execz .LBB47_489
; %bb.488:                              ;   in Loop: Header=BB47_17 Depth=1
	flat_load_u8 v0, v[0:1]
	s_waitcnt vmcnt(0) lgkmcnt(0)
	v_lshlrev_b32_e32 v1, 25, v0
	v_lshlrev_b16 v0, 8, v0
	s_delay_alu instid0(VALU_DEP_2) | instskip(NEXT) | instid1(VALU_DEP_2)
	v_lshrrev_b32_e32 v14, 4, v1
	v_and_or_b32 v16, 0x7f00, v0, 0.5
	v_bfe_i32 v0, v0, 0, 16
	s_delay_alu instid0(VALU_DEP_3) | instskip(NEXT) | instid1(VALU_DEP_3)
	v_or_b32_e32 v14, 0x70000000, v14
	v_add_f32_e32 v16, -0.5, v16
	s_delay_alu instid0(VALU_DEP_2) | instskip(SKIP_1) | instid1(VALU_DEP_2)
	v_mul_f32_e32 v14, 0x7800000, v14
	v_cmp_gt_u32_e32 vcc_lo, 0x8000000, v1
	v_cndmask_b32_e32 v1, v14, v16, vcc_lo
	s_delay_alu instid0(VALU_DEP_1)
	v_and_or_b32 v16, 0x80000000, v0, v1
.LBB47_489:                             ;   in Loop: Header=BB47_17 Depth=1
	s_or_b32 exec_lo, exec_lo, s19
	s_delay_alu instid0(SALU_CYCLE_1)
	s_or_b32 s19, s16, exec_lo
                                        ; implicit-def: $vgpr0_vgpr1
.LBB47_490:                             ;   in Loop: Header=BB47_17 Depth=1
	s_or_saveexec_b32 s18, s18
                                        ; implicit-def: $sgpr20
                                        ; implicit-def: $sgpr22
	s_delay_alu instid0(SALU_CYCLE_1)
	s_xor_b32 exec_lo, exec_lo, s18
	s_cbranch_execz .LBB47_500
; %bb.491:                              ;   in Loop: Header=BB47_17 Depth=1
	s_mov_b32 s21, s19
	s_mov_b32 s23, exec_lo
                                        ; implicit-def: $sgpr22
                                        ; implicit-def: $sgpr20
                                        ; implicit-def: $vgpr16
	v_cmpx_lt_i16_e32 14, v7
	s_xor_b32 s23, exec_lo, s23
	s_cbranch_execz .LBB47_495
; %bb.492:                              ;   in Loop: Header=BB47_17 Depth=1
	s_mov_b32 s21, s19
	s_mov_b32 s20, exec_lo
                                        ; implicit-def: $vgpr16
	v_cmpx_eq_u16_e32 15, v7
	s_cbranch_execz .LBB47_494
; %bb.493:                              ;   in Loop: Header=BB47_17 Depth=1
	flat_load_u16 v0, v[0:1]
	s_or_b32 s21, s19, exec_lo
	s_waitcnt vmcnt(0) lgkmcnt(0)
	v_lshlrev_b32_e32 v16, 16, v0
.LBB47_494:                             ;   in Loop: Header=BB47_17 Depth=1
	s_or_b32 exec_lo, exec_lo, s20
	s_delay_alu instid0(SALU_CYCLE_1)
	s_and_not1_b32 s24, s19, exec_lo
	s_and_b32 s21, s21, exec_lo
	s_mov_b32 s20, -1
	s_mov_b32 s22, 0
	s_or_b32 s21, s24, s21
                                        ; implicit-def: $vgpr0_vgpr1
.LBB47_495:                             ;   in Loop: Header=BB47_17 Depth=1
	s_and_not1_saveexec_b32 s23, s23
	s_cbranch_execz .LBB47_499
; %bb.496:                              ;   in Loop: Header=BB47_17 Depth=1
	s_mov_b32 s24, s21
	s_mov_b32 s25, exec_lo
                                        ; implicit-def: $vgpr16
	v_cmpx_eq_u16_e32 11, v7
	s_cbranch_execz .LBB47_498
; %bb.497:                              ;   in Loop: Header=BB47_17 Depth=1
	flat_load_u8 v0, v[0:1]
	s_or_b32 s24, s21, exec_lo
	s_waitcnt vmcnt(0) lgkmcnt(0)
	v_cmp_ne_u16_e32 vcc_lo, 0, v0
	v_cndmask_b32_e64 v16, 0, 1.0, vcc_lo
.LBB47_498:                             ;   in Loop: Header=BB47_17 Depth=1
	s_or_b32 exec_lo, exec_lo, s25
	s_delay_alu instid0(SALU_CYCLE_1)
	s_and_not1_b32 s21, s21, exec_lo
	s_and_b32 s24, s24, exec_lo
	s_and_not1_b32 s22, s22, exec_lo
	s_or_b32 s20, s20, exec_lo
	s_or_b32 s21, s21, s24
.LBB47_499:                             ;   in Loop: Header=BB47_17 Depth=1
	s_or_b32 exec_lo, exec_lo, s23
	s_delay_alu instid0(SALU_CYCLE_1)
	s_and_not1_b32 s19, s19, exec_lo
	s_and_b32 s21, s21, exec_lo
	s_and_b32 s22, s22, exec_lo
	;; [unrolled: 1-line block ×3, first 2 shown]
	s_or_b32 s19, s19, s21
.LBB47_500:                             ;   in Loop: Header=BB47_17 Depth=1
	s_or_b32 exec_lo, exec_lo, s18
	s_delay_alu instid0(SALU_CYCLE_1)
	s_and_not1_b32 s12, s12, exec_lo
	s_and_b32 s18, s22, exec_lo
	s_and_not1_b32 s17, s17, exec_lo
	s_or_b32 s12, s12, s18
	s_and_b32 s18, s20, exec_lo
	s_and_not1_b32 s16, s16, exec_lo
	s_and_b32 s19, s19, exec_lo
	s_or_b32 s17, s17, s18
	s_or_b32 s16, s16, s19
.LBB47_501:                             ;   in Loop: Header=BB47_17 Depth=1
	s_or_b32 exec_lo, exec_lo, s10
	s_delay_alu instid0(SALU_CYCLE_1)
	s_and_b32 s12, s12, exec_lo
	s_and_b32 s10, s17, exec_lo
	;; [unrolled: 1-line block ×3, first 2 shown]
                                        ; implicit-def: $vgpr0_vgpr1
	s_and_not1_saveexec_b32 s15, s15
	s_cbranch_execz .LBB47_342
.LBB47_502:                             ;   in Loop: Header=BB47_17 Depth=1
	s_mov_b32 s17, exec_lo
                                        ; implicit-def: $vgpr16
	v_cmpx_lt_i16_e32 4, v7
	s_xor_b32 s17, exec_lo, s17
	s_cbranch_execz .LBB47_524
; %bb.503:                              ;   in Loop: Header=BB47_17 Depth=1
	s_mov_b32 s18, exec_lo
                                        ; implicit-def: $vgpr16
	v_cmpx_lt_i16_e32 7, v7
	s_xor_b32 s18, exec_lo, s18
	s_cbranch_execz .LBB47_513
; %bb.504:                              ;   in Loop: Header=BB47_17 Depth=1
	;; [unrolled: 6-line block ×4, first 2 shown]
	flat_load_b64 v[0:1], v[0:1]
	s_waitcnt vmcnt(0) lgkmcnt(0)
	v_cvt_f32_f64_e32 v16, v[0:1]
                                        ; implicit-def: $vgpr0_vgpr1
.LBB47_507:                             ;   in Loop: Header=BB47_17 Depth=1
	s_and_not1_saveexec_b32 s20, s20
	s_cbranch_execz .LBB47_509
; %bb.508:                              ;   in Loop: Header=BB47_17 Depth=1
	flat_load_b32 v16, v[0:1]
.LBB47_509:                             ;   in Loop: Header=BB47_17 Depth=1
	s_or_b32 exec_lo, exec_lo, s20
                                        ; implicit-def: $vgpr0_vgpr1
.LBB47_510:                             ;   in Loop: Header=BB47_17 Depth=1
	s_and_not1_saveexec_b32 s19, s19
	s_cbranch_execz .LBB47_512
; %bb.511:                              ;   in Loop: Header=BB47_17 Depth=1
	flat_load_b32 v0, v[0:1]
	s_waitcnt vmcnt(0) lgkmcnt(0)
	v_cvt_f32_f16_e32 v16, v0
.LBB47_512:                             ;   in Loop: Header=BB47_17 Depth=1
	s_or_b32 exec_lo, exec_lo, s19
                                        ; implicit-def: $vgpr0_vgpr1
.LBB47_513:                             ;   in Loop: Header=BB47_17 Depth=1
	s_and_not1_saveexec_b32 s18, s18
	s_cbranch_execz .LBB47_523
; %bb.514:                              ;   in Loop: Header=BB47_17 Depth=1
	s_mov_b32 s19, exec_lo
                                        ; implicit-def: $vgpr16
	v_cmpx_lt_i16_e32 5, v7
	s_xor_b32 s19, exec_lo, s19
	s_cbranch_execz .LBB47_520
; %bb.515:                              ;   in Loop: Header=BB47_17 Depth=1
	s_mov_b32 s20, exec_lo
                                        ; implicit-def: $vgpr16
	v_cmpx_lt_i16_e32 6, v7
	s_xor_b32 s20, exec_lo, s20
	s_cbranch_execz .LBB47_517
; %bb.516:                              ;   in Loop: Header=BB47_17 Depth=1
	flat_load_b64 v[0:1], v[0:1]
	s_waitcnt vmcnt(0) lgkmcnt(0)
	v_cvt_f32_f64_e32 v16, v[0:1]
                                        ; implicit-def: $vgpr0_vgpr1
.LBB47_517:                             ;   in Loop: Header=BB47_17 Depth=1
	s_and_not1_saveexec_b32 s20, s20
	s_cbranch_execz .LBB47_519
; %bb.518:                              ;   in Loop: Header=BB47_17 Depth=1
	s_waitcnt vmcnt(0) lgkmcnt(0)
	flat_load_b32 v16, v[0:1]
.LBB47_519:                             ;   in Loop: Header=BB47_17 Depth=1
	s_or_b32 exec_lo, exec_lo, s20
                                        ; implicit-def: $vgpr0_vgpr1
.LBB47_520:                             ;   in Loop: Header=BB47_17 Depth=1
	s_and_not1_saveexec_b32 s19, s19
	s_cbranch_execz .LBB47_522
; %bb.521:                              ;   in Loop: Header=BB47_17 Depth=1
	flat_load_u16 v0, v[0:1]
	s_waitcnt vmcnt(0) lgkmcnt(0)
	v_cvt_f32_f16_e32 v16, v0
.LBB47_522:                             ;   in Loop: Header=BB47_17 Depth=1
	s_or_b32 exec_lo, exec_lo, s19
.LBB47_523:                             ;   in Loop: Header=BB47_17 Depth=1
	s_delay_alu instid0(SALU_CYCLE_1)
	s_or_b32 exec_lo, exec_lo, s18
                                        ; implicit-def: $vgpr0_vgpr1
.LBB47_524:                             ;   in Loop: Header=BB47_17 Depth=1
	s_and_not1_saveexec_b32 s17, s17
	s_cbranch_execz .LBB47_542
; %bb.525:                              ;   in Loop: Header=BB47_17 Depth=1
	s_mov_b32 s18, exec_lo
                                        ; implicit-def: $vgpr16
	v_cmpx_lt_i16_e32 1, v7
	s_xor_b32 s18, exec_lo, s18
	s_cbranch_execz .LBB47_535
; %bb.526:                              ;   in Loop: Header=BB47_17 Depth=1
	s_mov_b32 s19, exec_lo
                                        ; implicit-def: $vgpr16
	v_cmpx_lt_i16_e32 2, v7
	s_xor_b32 s19, exec_lo, s19
	;; [unrolled: 6-line block ×3, first 2 shown]
	s_cbranch_execz .LBB47_529
; %bb.528:                              ;   in Loop: Header=BB47_17 Depth=1
	flat_load_b64 v[0:1], v[0:1]
	s_waitcnt vmcnt(0) lgkmcnt(0)
	v_xor_b32_e32 v14, v0, v1
	v_cls_i32_e32 v16, v1
	s_delay_alu instid0(VALU_DEP_2) | instskip(NEXT) | instid1(VALU_DEP_2)
	v_ashrrev_i32_e32 v14, 31, v14
	v_add_nc_u32_e32 v16, -1, v16
	s_delay_alu instid0(VALU_DEP_2) | instskip(NEXT) | instid1(VALU_DEP_1)
	v_add_nc_u32_e32 v14, 32, v14
	v_min_u32_e32 v14, v16, v14
	s_delay_alu instid0(VALU_DEP_1) | instskip(NEXT) | instid1(VALU_DEP_1)
	v_lshlrev_b64 v[0:1], v14, v[0:1]
	v_min_u32_e32 v0, 1, v0
	s_delay_alu instid0(VALU_DEP_1) | instskip(SKIP_1) | instid1(VALU_DEP_2)
	v_or_b32_e32 v0, v1, v0
	v_sub_nc_u32_e32 v1, 32, v14
	v_cvt_f32_i32_e32 v0, v0
	s_delay_alu instid0(VALU_DEP_1)
	v_ldexp_f32 v16, v0, v1
                                        ; implicit-def: $vgpr0_vgpr1
.LBB47_529:                             ;   in Loop: Header=BB47_17 Depth=1
	s_and_not1_saveexec_b32 s20, s20
	s_cbranch_execz .LBB47_531
; %bb.530:                              ;   in Loop: Header=BB47_17 Depth=1
	flat_load_b32 v0, v[0:1]
	s_waitcnt vmcnt(0) lgkmcnt(0)
	v_cvt_f32_i32_e32 v16, v0
.LBB47_531:                             ;   in Loop: Header=BB47_17 Depth=1
	s_or_b32 exec_lo, exec_lo, s20
                                        ; implicit-def: $vgpr0_vgpr1
.LBB47_532:                             ;   in Loop: Header=BB47_17 Depth=1
	s_and_not1_saveexec_b32 s19, s19
	s_cbranch_execz .LBB47_534
; %bb.533:                              ;   in Loop: Header=BB47_17 Depth=1
	flat_load_i16 v0, v[0:1]
	s_waitcnt vmcnt(0) lgkmcnt(0)
	v_cvt_f32_i32_e32 v16, v0
.LBB47_534:                             ;   in Loop: Header=BB47_17 Depth=1
	s_or_b32 exec_lo, exec_lo, s19
                                        ; implicit-def: $vgpr0_vgpr1
.LBB47_535:                             ;   in Loop: Header=BB47_17 Depth=1
	s_and_not1_saveexec_b32 s18, s18
	s_cbranch_execz .LBB47_541
; %bb.536:                              ;   in Loop: Header=BB47_17 Depth=1
	s_mov_b32 s19, exec_lo
                                        ; implicit-def: $vgpr16
	v_cmpx_lt_i16_e32 0, v7
	s_xor_b32 s19, exec_lo, s19
	s_cbranch_execz .LBB47_538
; %bb.537:                              ;   in Loop: Header=BB47_17 Depth=1
	flat_load_i8 v0, v[0:1]
	s_waitcnt vmcnt(0) lgkmcnt(0)
	v_cvt_f32_i32_e32 v16, v0
                                        ; implicit-def: $vgpr0_vgpr1
.LBB47_538:                             ;   in Loop: Header=BB47_17 Depth=1
	s_and_not1_saveexec_b32 s19, s19
	s_cbranch_execz .LBB47_540
; %bb.539:                              ;   in Loop: Header=BB47_17 Depth=1
	flat_load_u8 v0, v[0:1]
	s_waitcnt vmcnt(0) lgkmcnt(0)
	v_cvt_f32_ubyte0_e32 v16, v0
.LBB47_540:                             ;   in Loop: Header=BB47_17 Depth=1
	s_or_b32 exec_lo, exec_lo, s19
.LBB47_541:                             ;   in Loop: Header=BB47_17 Depth=1
	s_delay_alu instid0(SALU_CYCLE_1)
	s_or_b32 exec_lo, exec_lo, s18
.LBB47_542:                             ;   in Loop: Header=BB47_17 Depth=1
	s_delay_alu instid0(SALU_CYCLE_1) | instskip(NEXT) | instid1(SALU_CYCLE_1)
	s_or_b32 exec_lo, exec_lo, s17
	s_and_not1_b32 s12, s12, exec_lo
	s_and_not1_b32 s10, s10, exec_lo
	s_or_b32 s16, s16, exec_lo
	s_or_b32 exec_lo, exec_lo, s15
	s_mov_b32 s17, 0
	s_and_saveexec_b32 s15, s16
	s_cbranch_execz .LBB47_548
.LBB47_543:                             ;   in Loop: Header=BB47_17 Depth=1
	v_add_nc_u32_e64 v14, s1, s33
	s_mov_b32 s19, 0
	s_mov_b32 s16, exec_lo
                                        ; implicit-def: $sgpr17
                                        ; implicit-def: $sgpr18
	s_delay_alu instid0(VALU_DEP_1) | instskip(SKIP_4) | instid1(VALU_DEP_2)
	v_add_nc_u32_e32 v0, 20, v14
	s_waitcnt vmcnt(0) lgkmcnt(0)
	scratch_store_b32 v0, v16, off
	v_mul_lo_u32 v0, v15, v10
	v_and_b32_e32 v16, 0xff, v8
                                        ; implicit-def: $vgpr15
	v_add_co_u32 v0, vcc_lo, v4, v0
	v_add_co_ci_u32_e32 v1, vcc_lo, 0, v5, vcc_lo
	s_delay_alu instid0(VALU_DEP_3)
	v_cmpx_lt_i16_e32 10, v16
	s_xor_b32 s16, exec_lo, s16
	s_cbranch_execnz .LBB47_554
; %bb.544:                              ;   in Loop: Header=BB47_17 Depth=1
	s_and_not1_saveexec_b32 s16, s16
	s_cbranch_execnz .LBB47_613
.LBB47_545:                             ;   in Loop: Header=BB47_17 Depth=1
	s_or_b32 exec_lo, exec_lo, s16
	s_mov_b32 s16, 0
	s_and_saveexec_b32 s20, s19
	s_cbranch_execz .LBB47_547
.LBB47_546:                             ;   in Loop: Header=BB47_17 Depth=1
	v_add_nc_u32_e32 v0, 16, v14
	v_add_nc_u32_e32 v13, 0x200, v13
	s_mov_b32 s16, exec_lo
	s_and_not1_b32 s18, s18, exec_lo
	s_and_not1_b32 s17, s17, exec_lo
	s_waitcnt vmcnt(0) lgkmcnt(0)
	scratch_store_b32 v0, v15, off
.LBB47_547:                             ;   in Loop: Header=BB47_17 Depth=1
	s_or_b32 exec_lo, exec_lo, s20
	s_delay_alu instid0(SALU_CYCLE_1)
	s_and_not1_b32 s12, s12, exec_lo
	s_and_b32 s18, s18, exec_lo
	s_and_not1_b32 s10, s10, exec_lo
	s_and_b32 s17, s17, exec_lo
	s_or_b32 s12, s12, s18
	s_or_b32 s10, s10, s17
	s_and_b32 s17, s16, exec_lo
.LBB47_548:                             ;   in Loop: Header=BB47_17 Depth=1
	s_or_b32 exec_lo, exec_lo, s15
	s_delay_alu instid0(SALU_CYCLE_1)
	s_and_b32 s12, s12, exec_lo
	s_and_b32 s10, s10, exec_lo
	s_or_not1_b32 s15, s17, exec_lo
.LBB47_549:                             ;   in Loop: Header=BB47_17 Depth=1
	s_or_b32 exec_lo, exec_lo, s13
	s_and_saveexec_b32 s13, s15
	s_cbranch_execz .LBB47_14
; %bb.550:                              ;   in Loop: Header=BB47_17 Depth=1
	s_mov_b32 s17, -1
	s_mov_b32 s18, -1
	s_mov_b32 s16, exec_lo
                                        ; implicit-def: $sgpr14
                                        ; implicit-def: $sgpr15
	v_cmpx_lt_i32_e64 v13, v6
	s_cbranch_execz .LBB47_760
; %bb.551:                              ;   in Loop: Header=BB47_17 Depth=1
	s_waitcnt vmcnt(0) lgkmcnt(0)
	v_add_nc_u32_e32 v15, s11, v13
	s_mov_b32 s19, 0
	s_mov_b32 s18, exec_lo
                                        ; implicit-def: $sgpr14
                                        ; implicit-def: $sgpr15
                                        ; implicit-def: $vgpr16
	s_delay_alu instid0(VALU_DEP_1) | instskip(NEXT) | instid1(VALU_DEP_1)
	v_mul_lo_u32 v0, v15, v9
	v_add_co_u32 v0, vcc_lo, v2, v0
	v_add_co_ci_u32_e32 v1, vcc_lo, 0, v3, vcc_lo
	v_cmpx_lt_i16_e32 10, v7
	s_xor_b32 s18, exec_lo, s18
	s_cbranch_execnz .LBB47_654
; %bb.552:                              ;   in Loop: Header=BB47_17 Depth=1
	s_and_not1_saveexec_b32 s18, s18
	s_cbranch_execnz .LBB47_713
.LBB47_553:                             ;   in Loop: Header=BB47_17 Depth=1
	s_or_b32 exec_lo, exec_lo, s18
	s_mov_b32 s20, 0
	s_and_saveexec_b32 s18, s19
	s_cbranch_execnz .LBB47_754
	s_branch .LBB47_759
.LBB47_554:                             ;   in Loop: Header=BB47_17 Depth=1
	s_mov_b32 s17, exec_lo
                                        ; implicit-def: $sgpr20
                                        ; implicit-def: $sgpr18
                                        ; implicit-def: $vgpr15
	v_cmpx_lt_i16_e32 25, v16
	s_xor_b32 s17, exec_lo, s17
	s_cbranch_execz .LBB47_586
; %bb.555:                              ;   in Loop: Header=BB47_17 Depth=1
	s_mov_b32 s18, exec_lo
                                        ; implicit-def: $sgpr20
                                        ; implicit-def: $sgpr21
                                        ; implicit-def: $vgpr15
	v_cmpx_lt_i16_e32 28, v16
	s_xor_b32 s18, exec_lo, s18
	s_cbranch_execz .LBB47_571
; %bb.556:                              ;   in Loop: Header=BB47_17 Depth=1
	s_mov_b32 s22, 0
	s_mov_b32 s19, exec_lo
                                        ; implicit-def: $sgpr20
                                        ; implicit-def: $sgpr21
                                        ; implicit-def: $vgpr15
	v_cmpx_lt_i16_e32 43, v16
	s_xor_b32 s19, exec_lo, s19
	s_cbranch_execz .LBB47_566
; %bb.557:                              ;   in Loop: Header=BB47_17 Depth=1
	s_mov_b32 s23, exec_lo
                                        ; implicit-def: $sgpr21
                                        ; implicit-def: $sgpr20
                                        ; implicit-def: $vgpr15
	v_cmpx_lt_i16_e32 45, v16
	s_xor_b32 s23, exec_lo, s23
	s_cbranch_execz .LBB47_561
; %bb.558:                              ;   in Loop: Header=BB47_17 Depth=1
	s_mov_b32 s20, 0
	s_mov_b32 s21, exec_lo
                                        ; implicit-def: $vgpr15
	v_cmpx_eq_u16_e32 46, v16
	s_cbranch_execz .LBB47_560
; %bb.559:                              ;   in Loop: Header=BB47_17 Depth=1
	flat_load_b32 v0, v[0:1]
	s_mov_b32 s22, exec_lo
	s_waitcnt vmcnt(0) lgkmcnt(0)
	v_lshlrev_b32_e32 v15, 16, v0
.LBB47_560:                             ;   in Loop: Header=BB47_17 Depth=1
	s_or_b32 exec_lo, exec_lo, s21
	s_mov_b32 s21, -1
	s_and_b32 s22, s22, exec_lo
                                        ; implicit-def: $vgpr16
                                        ; implicit-def: $vgpr0_vgpr1
.LBB47_561:                             ;   in Loop: Header=BB47_17 Depth=1
	s_and_not1_saveexec_b32 s23, s23
	s_cbranch_execz .LBB47_565
; %bb.562:                              ;   in Loop: Header=BB47_17 Depth=1
	s_mov_b32 s25, s22
	s_mov_b32 s24, exec_lo
                                        ; implicit-def: $vgpr15
	v_cmpx_eq_u16_e32 44, v16
	s_cbranch_execz .LBB47_564
; %bb.563:                              ;   in Loop: Header=BB47_17 Depth=1
	flat_load_u8 v0, v[0:1]
	s_or_b32 s25, s22, exec_lo
	s_waitcnt vmcnt(0) lgkmcnt(0)
	v_lshlrev_b32_e32 v1, 23, v0
	v_cmp_ne_u32_e32 vcc_lo, 0xff, v0
	s_delay_alu instid0(VALU_DEP_2) | instskip(SKIP_1) | instid1(VALU_DEP_2)
	v_cndmask_b32_e32 v1, 0x7f800001, v1, vcc_lo
	v_cmp_ne_u32_e32 vcc_lo, 0, v0
	v_cndmask_b32_e32 v15, 0x400000, v1, vcc_lo
.LBB47_564:                             ;   in Loop: Header=BB47_17 Depth=1
	s_or_b32 exec_lo, exec_lo, s24
	s_delay_alu instid0(SALU_CYCLE_1)
	s_and_not1_b32 s22, s22, exec_lo
	s_and_b32 s24, s25, exec_lo
	s_or_b32 s21, s21, exec_lo
	s_and_not1_b32 s20, s20, exec_lo
	s_or_b32 s22, s22, s24
.LBB47_565:                             ;   in Loop: Header=BB47_17 Depth=1
	s_or_b32 exec_lo, exec_lo, s23
	s_delay_alu instid0(SALU_CYCLE_1)
	s_and_b32 s21, s21, exec_lo
	s_and_b32 s20, s20, exec_lo
	;; [unrolled: 1-line block ×3, first 2 shown]
                                        ; implicit-def: $vgpr16
                                        ; implicit-def: $vgpr0_vgpr1
.LBB47_566:                             ;   in Loop: Header=BB47_17 Depth=1
	s_and_not1_saveexec_b32 s19, s19
	s_cbranch_execz .LBB47_570
; %bb.567:                              ;   in Loop: Header=BB47_17 Depth=1
	s_mov_b32 s24, s22
	s_mov_b32 s23, exec_lo
                                        ; implicit-def: $vgpr15
	v_cmpx_eq_u16_e32 29, v16
	s_cbranch_execz .LBB47_569
; %bb.568:                              ;   in Loop: Header=BB47_17 Depth=1
	flat_load_b64 v[0:1], v[0:1]
	s_or_b32 s24, s22, exec_lo
	s_waitcnt vmcnt(0) lgkmcnt(0)
	v_clz_i32_u32_e32 v15, v1
	s_delay_alu instid0(VALU_DEP_1) | instskip(NEXT) | instid1(VALU_DEP_1)
	v_min_u32_e32 v15, 32, v15
	v_lshlrev_b64 v[0:1], v15, v[0:1]
	s_delay_alu instid0(VALU_DEP_1) | instskip(NEXT) | instid1(VALU_DEP_1)
	v_min_u32_e32 v0, 1, v0
	v_or_b32_e32 v0, v1, v0
	v_sub_nc_u32_e32 v1, 32, v15
	s_delay_alu instid0(VALU_DEP_2) | instskip(NEXT) | instid1(VALU_DEP_1)
	v_cvt_f32_u32_e32 v0, v0
	v_ldexp_f32 v15, v0, v1
.LBB47_569:                             ;   in Loop: Header=BB47_17 Depth=1
	s_or_b32 exec_lo, exec_lo, s23
	s_delay_alu instid0(SALU_CYCLE_1)
	s_and_not1_b32 s22, s22, exec_lo
	s_and_b32 s23, s24, exec_lo
	s_or_b32 s21, s21, exec_lo
	s_and_not1_b32 s20, s20, exec_lo
	s_or_b32 s22, s22, s23
.LBB47_570:                             ;   in Loop: Header=BB47_17 Depth=1
	s_or_b32 exec_lo, exec_lo, s19
	s_delay_alu instid0(SALU_CYCLE_1)
	s_and_b32 s21, s21, exec_lo
	s_and_b32 s20, s20, exec_lo
	;; [unrolled: 1-line block ×3, first 2 shown]
                                        ; implicit-def: $vgpr16
                                        ; implicit-def: $vgpr0_vgpr1
.LBB47_571:                             ;   in Loop: Header=BB47_17 Depth=1
	s_and_not1_saveexec_b32 s18, s18
	s_cbranch_execz .LBB47_585
; %bb.572:                              ;   in Loop: Header=BB47_17 Depth=1
	s_mov_b32 s22, exec_lo
                                        ; implicit-def: $vgpr15
	v_cmpx_lt_i16_e32 26, v16
	s_xor_b32 s22, exec_lo, s22
	s_cbranch_execz .LBB47_578
; %bb.573:                              ;   in Loop: Header=BB47_17 Depth=1
	s_mov_b32 s23, exec_lo
                                        ; implicit-def: $vgpr15
	v_cmpx_lt_i16_e32 27, v16
	s_xor_b32 s23, exec_lo, s23
	s_cbranch_execz .LBB47_575
; %bb.574:                              ;   in Loop: Header=BB47_17 Depth=1
	flat_load_b32 v0, v[0:1]
	s_waitcnt vmcnt(0) lgkmcnt(0)
	v_cvt_f32_u32_e32 v15, v0
                                        ; implicit-def: $vgpr0_vgpr1
.LBB47_575:                             ;   in Loop: Header=BB47_17 Depth=1
	s_and_not1_saveexec_b32 s23, s23
	s_cbranch_execz .LBB47_577
; %bb.576:                              ;   in Loop: Header=BB47_17 Depth=1
	flat_load_u16 v0, v[0:1]
	s_waitcnt vmcnt(0) lgkmcnt(0)
	v_cvt_f32_u32_e32 v15, v0
.LBB47_577:                             ;   in Loop: Header=BB47_17 Depth=1
	s_or_b32 exec_lo, exec_lo, s23
                                        ; implicit-def: $vgpr0_vgpr1
.LBB47_578:                             ;   in Loop: Header=BB47_17 Depth=1
	s_and_not1_saveexec_b32 s22, s22
	s_cbranch_execz .LBB47_584
; %bb.579:                              ;   in Loop: Header=BB47_17 Depth=1
	flat_load_u8 v0, v[0:1]
	s_mov_b32 s23, 0
	s_mov_b32 s25, exec_lo
                                        ; implicit-def: $sgpr24
	s_waitcnt vmcnt(0) lgkmcnt(0)
	v_cmpx_lt_i16_e32 0x7f, v0
	s_xor_b32 s25, exec_lo, s25
	s_cbranch_execnz .LBB47_1438
; %bb.580:                              ;   in Loop: Header=BB47_17 Depth=1
	s_or_saveexec_b32 s25, s25
	v_mov_b32_e32 v15, s24
	s_xor_b32 exec_lo, exec_lo, s25
	s_cbranch_execnz .LBB47_1441
.LBB47_581:                             ;   in Loop: Header=BB47_17 Depth=1
	s_or_b32 exec_lo, exec_lo, s25
	s_and_saveexec_b32 s24, s23
	s_cbranch_execz .LBB47_583
.LBB47_582:                             ;   in Loop: Header=BB47_17 Depth=1
	v_and_b32_e32 v1, 0xffff, v0
	s_delay_alu instid0(VALU_DEP_1) | instskip(NEXT) | instid1(VALU_DEP_1)
	v_and_b32_e32 v15, 7, v1
	v_clz_i32_u32_e32 v16, v15
	s_delay_alu instid0(VALU_DEP_1) | instskip(NEXT) | instid1(VALU_DEP_1)
	v_min_u32_e32 v16, 32, v16
	v_subrev_nc_u32_e32 v17, 28, v16
	v_sub_nc_u32_e32 v16, 29, v16
	s_delay_alu instid0(VALU_DEP_2) | instskip(SKIP_1) | instid1(VALU_DEP_2)
	v_lshlrev_b32_e32 v17, v17, v1
	v_bfe_u32 v1, v1, 3, 4
	v_and_b32_e32 v17, 7, v17
	s_delay_alu instid0(VALU_DEP_2) | instskip(NEXT) | instid1(VALU_DEP_2)
	v_cmp_eq_u32_e32 vcc_lo, 0, v1
	v_dual_cndmask_b32 v15, v15, v17 :: v_dual_lshlrev_b32 v0, 24, v0
	v_cndmask_b32_e32 v1, v1, v16, vcc_lo
	s_delay_alu instid0(VALU_DEP_2) | instskip(NEXT) | instid1(VALU_DEP_3)
	v_and_b32_e32 v0, 0x80000000, v0
	v_lshlrev_b32_e32 v15, 20, v15
	s_delay_alu instid0(VALU_DEP_3) | instskip(NEXT) | instid1(VALU_DEP_1)
	v_lshl_add_u32 v1, v1, 23, 0x3b800000
	v_or3_b32 v15, v0, v1, v15
.LBB47_583:                             ;   in Loop: Header=BB47_17 Depth=1
	s_or_b32 exec_lo, exec_lo, s24
.LBB47_584:                             ;   in Loop: Header=BB47_17 Depth=1
	s_delay_alu instid0(SALU_CYCLE_1) | instskip(NEXT) | instid1(SALU_CYCLE_1)
	s_or_b32 exec_lo, exec_lo, s22
	s_and_not1_b32 s21, s21, exec_lo
	s_and_not1_b32 s20, s20, exec_lo
	s_or_b32 s19, s19, exec_lo
.LBB47_585:                             ;   in Loop: Header=BB47_17 Depth=1
	s_or_b32 exec_lo, exec_lo, s18
	s_delay_alu instid0(SALU_CYCLE_1)
	s_and_b32 s18, s21, exec_lo
	s_and_b32 s20, s20, exec_lo
	;; [unrolled: 1-line block ×3, first 2 shown]
                                        ; implicit-def: $vgpr16
                                        ; implicit-def: $vgpr0_vgpr1
.LBB47_586:                             ;   in Loop: Header=BB47_17 Depth=1
	s_and_not1_saveexec_b32 s17, s17
	s_cbranch_execz .LBB47_612
; %bb.587:                              ;   in Loop: Header=BB47_17 Depth=1
	s_mov_b32 s22, s19
	s_mov_b32 s21, exec_lo
                                        ; implicit-def: $vgpr15
	v_cmpx_lt_i16_e32 22, v16
	s_xor_b32 s21, exec_lo, s21
	s_cbranch_execz .LBB47_601
; %bb.588:                              ;   in Loop: Header=BB47_17 Depth=1
	s_mov_b32 s22, exec_lo
                                        ; implicit-def: $vgpr15
	v_cmpx_lt_i16_e32 23, v16
	s_xor_b32 s22, exec_lo, s22
	s_cbranch_execz .LBB47_598
; %bb.589:                              ;   in Loop: Header=BB47_17 Depth=1
	;; [unrolled: 6-line block ×3, first 2 shown]
	flat_load_u8 v0, v[0:1]
	s_mov_b32 s24, 0
	s_mov_b32 s26, exec_lo
                                        ; implicit-def: $sgpr25
	s_waitcnt vmcnt(0) lgkmcnt(0)
	v_cmpx_lt_i16_e32 0x7f, v0
	s_xor_b32 s26, exec_lo, s26
	s_cbranch_execnz .LBB47_1657
; %bb.591:                              ;   in Loop: Header=BB47_17 Depth=1
	s_or_saveexec_b32 s26, s26
	v_mov_b32_e32 v15, s25
	s_xor_b32 exec_lo, exec_lo, s26
	s_cbranch_execnz .LBB47_1660
.LBB47_592:                             ;   in Loop: Header=BB47_17 Depth=1
	s_or_b32 exec_lo, exec_lo, s26
	s_and_saveexec_b32 s25, s24
	s_cbranch_execz .LBB47_594
.LBB47_593:                             ;   in Loop: Header=BB47_17 Depth=1
	v_and_b32_e32 v1, 0xffff, v0
	s_delay_alu instid0(VALU_DEP_1) | instskip(NEXT) | instid1(VALU_DEP_1)
	v_and_b32_e32 v15, 3, v1
	v_clz_i32_u32_e32 v16, v15
	s_delay_alu instid0(VALU_DEP_1) | instskip(NEXT) | instid1(VALU_DEP_1)
	v_min_u32_e32 v16, 32, v16
	v_subrev_nc_u32_e32 v17, 29, v16
	v_sub_nc_u32_e32 v16, 30, v16
	s_delay_alu instid0(VALU_DEP_2) | instskip(SKIP_1) | instid1(VALU_DEP_2)
	v_lshlrev_b32_e32 v17, v17, v1
	v_bfe_u32 v1, v1, 2, 5
	v_and_b32_e32 v17, 3, v17
	s_delay_alu instid0(VALU_DEP_2) | instskip(NEXT) | instid1(VALU_DEP_2)
	v_cmp_eq_u32_e32 vcc_lo, 0, v1
	v_dual_cndmask_b32 v15, v15, v17 :: v_dual_lshlrev_b32 v0, 24, v0
	v_cndmask_b32_e32 v1, v1, v16, vcc_lo
	s_delay_alu instid0(VALU_DEP_2) | instskip(NEXT) | instid1(VALU_DEP_3)
	v_and_b32_e32 v0, 0x80000000, v0
	v_lshlrev_b32_e32 v15, 21, v15
	s_delay_alu instid0(VALU_DEP_3) | instskip(NEXT) | instid1(VALU_DEP_1)
	v_lshl_add_u32 v1, v1, 23, 0x37800000
	v_or3_b32 v15, v0, v1, v15
.LBB47_594:                             ;   in Loop: Header=BB47_17 Depth=1
	s_or_b32 exec_lo, exec_lo, s25
                                        ; implicit-def: $vgpr0_vgpr1
.LBB47_595:                             ;   in Loop: Header=BB47_17 Depth=1
	s_and_not1_saveexec_b32 s23, s23
	s_cbranch_execz .LBB47_597
; %bb.596:                              ;   in Loop: Header=BB47_17 Depth=1
	flat_load_u8 v0, v[0:1]
	s_waitcnt vmcnt(0) lgkmcnt(0)
	v_lshlrev_b32_e32 v0, 24, v0
	s_delay_alu instid0(VALU_DEP_1) | instskip(NEXT) | instid1(VALU_DEP_1)
	v_and_b32_e32 v1, 0x7f000000, v0
	v_clz_i32_u32_e32 v15, v1
	v_add_nc_u32_e32 v17, 0x1000000, v1
	v_cmp_ne_u32_e32 vcc_lo, 0, v1
	s_delay_alu instid0(VALU_DEP_3) | instskip(NEXT) | instid1(VALU_DEP_1)
	v_min_u32_e32 v15, 32, v15
	v_sub_nc_u32_e64 v15, v15, 4 clamp
	s_delay_alu instid0(VALU_DEP_1) | instskip(SKIP_1) | instid1(VALU_DEP_2)
	v_lshlrev_b32_e32 v16, v15, v1
	v_lshlrev_b32_e32 v15, 23, v15
	v_lshrrev_b32_e32 v16, 4, v16
	s_delay_alu instid0(VALU_DEP_1) | instskip(SKIP_1) | instid1(VALU_DEP_2)
	v_sub_nc_u32_e32 v15, v16, v15
	v_ashrrev_i32_e32 v16, 8, v17
	v_add_nc_u32_e32 v15, 0x3c000000, v15
	s_delay_alu instid0(VALU_DEP_1) | instskip(NEXT) | instid1(VALU_DEP_1)
	v_and_or_b32 v15, 0x7f800000, v16, v15
	v_cndmask_b32_e32 v1, 0, v15, vcc_lo
	s_delay_alu instid0(VALU_DEP_1)
	v_and_or_b32 v15, 0x80000000, v0, v1
.LBB47_597:                             ;   in Loop: Header=BB47_17 Depth=1
	s_or_b32 exec_lo, exec_lo, s23
                                        ; implicit-def: $vgpr0_vgpr1
.LBB47_598:                             ;   in Loop: Header=BB47_17 Depth=1
	s_and_not1_saveexec_b32 s22, s22
	s_cbranch_execz .LBB47_600
; %bb.599:                              ;   in Loop: Header=BB47_17 Depth=1
	flat_load_u8 v0, v[0:1]
	s_waitcnt vmcnt(0) lgkmcnt(0)
	v_lshlrev_b32_e32 v1, 25, v0
	v_lshlrev_b16 v0, 8, v0
	s_delay_alu instid0(VALU_DEP_2) | instskip(NEXT) | instid1(VALU_DEP_2)
	v_lshrrev_b32_e32 v15, 4, v1
	v_and_or_b32 v16, 0x7f00, v0, 0.5
	v_cmp_gt_u32_e32 vcc_lo, 0x8000000, v1
	v_bfe_i32 v0, v0, 0, 16
	s_delay_alu instid0(VALU_DEP_4) | instskip(NEXT) | instid1(VALU_DEP_1)
	v_or_b32_e32 v15, 0x70000000, v15
	v_dual_add_f32 v16, -0.5, v16 :: v_dual_mul_f32 v15, 0x7800000, v15
	s_delay_alu instid0(VALU_DEP_1) | instskip(NEXT) | instid1(VALU_DEP_1)
	v_cndmask_b32_e32 v1, v15, v16, vcc_lo
	v_and_or_b32 v15, 0x80000000, v0, v1
.LBB47_600:                             ;   in Loop: Header=BB47_17 Depth=1
	s_or_b32 exec_lo, exec_lo, s22
	s_delay_alu instid0(SALU_CYCLE_1)
	s_or_b32 s22, s19, exec_lo
                                        ; implicit-def: $vgpr16
                                        ; implicit-def: $vgpr0_vgpr1
.LBB47_601:                             ;   in Loop: Header=BB47_17 Depth=1
	s_or_saveexec_b32 s21, s21
                                        ; implicit-def: $sgpr23
                                        ; implicit-def: $sgpr25
	s_delay_alu instid0(SALU_CYCLE_1)
	s_xor_b32 exec_lo, exec_lo, s21
	s_cbranch_execz .LBB47_611
; %bb.602:                              ;   in Loop: Header=BB47_17 Depth=1
	s_mov_b32 s24, s22
	s_mov_b32 s26, exec_lo
                                        ; implicit-def: $sgpr25
                                        ; implicit-def: $sgpr23
                                        ; implicit-def: $vgpr15
	v_cmpx_lt_i16_e32 14, v16
	s_xor_b32 s26, exec_lo, s26
	s_cbranch_execz .LBB47_606
; %bb.603:                              ;   in Loop: Header=BB47_17 Depth=1
	s_mov_b32 s24, s22
	s_mov_b32 s23, exec_lo
                                        ; implicit-def: $vgpr15
	v_cmpx_eq_u16_e32 15, v16
	s_cbranch_execz .LBB47_605
; %bb.604:                              ;   in Loop: Header=BB47_17 Depth=1
	flat_load_u16 v0, v[0:1]
	s_or_b32 s24, s22, exec_lo
	s_waitcnt vmcnt(0) lgkmcnt(0)
	v_lshlrev_b32_e32 v15, 16, v0
.LBB47_605:                             ;   in Loop: Header=BB47_17 Depth=1
	s_or_b32 exec_lo, exec_lo, s23
	s_delay_alu instid0(SALU_CYCLE_1)
	s_and_not1_b32 s27, s22, exec_lo
	s_and_b32 s24, s24, exec_lo
	s_mov_b32 s23, 0
	s_mov_b32 s25, -1
	s_or_b32 s24, s27, s24
                                        ; implicit-def: $vgpr16
                                        ; implicit-def: $vgpr0_vgpr1
.LBB47_606:                             ;   in Loop: Header=BB47_17 Depth=1
	s_and_not1_saveexec_b32 s26, s26
	s_cbranch_execz .LBB47_610
; %bb.607:                              ;   in Loop: Header=BB47_17 Depth=1
	s_mov_b32 s27, s24
	s_mov_b32 s28, exec_lo
                                        ; implicit-def: $vgpr15
	v_cmpx_eq_u16_e32 11, v16
	s_cbranch_execz .LBB47_609
; %bb.608:                              ;   in Loop: Header=BB47_17 Depth=1
	flat_load_u8 v0, v[0:1]
	s_or_b32 s27, s24, exec_lo
	s_waitcnt vmcnt(0) lgkmcnt(0)
	v_cmp_ne_u16_e32 vcc_lo, 0, v0
	v_cndmask_b32_e64 v15, 0, 1.0, vcc_lo
.LBB47_609:                             ;   in Loop: Header=BB47_17 Depth=1
	s_or_b32 exec_lo, exec_lo, s28
	s_delay_alu instid0(SALU_CYCLE_1)
	s_and_not1_b32 s24, s24, exec_lo
	s_and_b32 s27, s27, exec_lo
	s_or_b32 s25, s25, exec_lo
	s_and_not1_b32 s23, s23, exec_lo
	s_or_b32 s24, s24, s27
.LBB47_610:                             ;   in Loop: Header=BB47_17 Depth=1
	s_or_b32 exec_lo, exec_lo, s26
	s_delay_alu instid0(SALU_CYCLE_1)
	s_and_not1_b32 s22, s22, exec_lo
	s_and_b32 s24, s24, exec_lo
	s_and_b32 s25, s25, exec_lo
	;; [unrolled: 1-line block ×3, first 2 shown]
	s_or_b32 s22, s22, s24
.LBB47_611:                             ;   in Loop: Header=BB47_17 Depth=1
	s_or_b32 exec_lo, exec_lo, s21
	s_delay_alu instid0(SALU_CYCLE_1)
	s_and_not1_b32 s18, s18, exec_lo
	s_and_b32 s21, s25, exec_lo
	s_and_not1_b32 s20, s20, exec_lo
	s_or_b32 s18, s18, s21
	s_and_b32 s21, s23, exec_lo
	s_and_not1_b32 s19, s19, exec_lo
	s_and_b32 s22, s22, exec_lo
	s_or_b32 s20, s20, s21
	s_or_b32 s19, s19, s22
.LBB47_612:                             ;   in Loop: Header=BB47_17 Depth=1
	s_or_b32 exec_lo, exec_lo, s17
	s_delay_alu instid0(SALU_CYCLE_1)
	s_and_b32 s18, s18, exec_lo
	s_and_b32 s17, s20, exec_lo
	;; [unrolled: 1-line block ×3, first 2 shown]
                                        ; implicit-def: $vgpr16
                                        ; implicit-def: $vgpr0_vgpr1
	s_and_not1_saveexec_b32 s16, s16
	s_cbranch_execz .LBB47_545
.LBB47_613:                             ;   in Loop: Header=BB47_17 Depth=1
	s_mov_b32 s20, exec_lo
                                        ; implicit-def: $vgpr15
	v_cmpx_lt_i16_e32 4, v16
	s_xor_b32 s20, exec_lo, s20
	s_cbranch_execz .LBB47_635
; %bb.614:                              ;   in Loop: Header=BB47_17 Depth=1
	s_mov_b32 s21, exec_lo
                                        ; implicit-def: $vgpr15
	v_cmpx_lt_i16_e32 7, v16
	s_xor_b32 s21, exec_lo, s21
	s_cbranch_execz .LBB47_624
; %bb.615:                              ;   in Loop: Header=BB47_17 Depth=1
	;; [unrolled: 6-line block ×4, first 2 shown]
	flat_load_b64 v[0:1], v[0:1]
	s_waitcnt vmcnt(0) lgkmcnt(0)
	v_cvt_f32_f64_e32 v15, v[0:1]
                                        ; implicit-def: $vgpr0_vgpr1
.LBB47_618:                             ;   in Loop: Header=BB47_17 Depth=1
	s_and_not1_saveexec_b32 s23, s23
	s_cbranch_execz .LBB47_620
; %bb.619:                              ;   in Loop: Header=BB47_17 Depth=1
	flat_load_b32 v15, v[0:1]
.LBB47_620:                             ;   in Loop: Header=BB47_17 Depth=1
	s_or_b32 exec_lo, exec_lo, s23
                                        ; implicit-def: $vgpr0_vgpr1
.LBB47_621:                             ;   in Loop: Header=BB47_17 Depth=1
	s_and_not1_saveexec_b32 s22, s22
	s_cbranch_execz .LBB47_623
; %bb.622:                              ;   in Loop: Header=BB47_17 Depth=1
	flat_load_b32 v0, v[0:1]
	s_waitcnt vmcnt(0) lgkmcnt(0)
	v_cvt_f32_f16_e32 v15, v0
.LBB47_623:                             ;   in Loop: Header=BB47_17 Depth=1
	s_or_b32 exec_lo, exec_lo, s22
                                        ; implicit-def: $vgpr0_vgpr1
                                        ; implicit-def: $vgpr16
.LBB47_624:                             ;   in Loop: Header=BB47_17 Depth=1
	s_and_not1_saveexec_b32 s21, s21
	s_cbranch_execz .LBB47_634
; %bb.625:                              ;   in Loop: Header=BB47_17 Depth=1
	s_mov_b32 s22, exec_lo
                                        ; implicit-def: $vgpr15
	v_cmpx_lt_i16_e32 5, v16
	s_xor_b32 s22, exec_lo, s22
	s_cbranch_execz .LBB47_631
; %bb.626:                              ;   in Loop: Header=BB47_17 Depth=1
	s_mov_b32 s23, exec_lo
                                        ; implicit-def: $vgpr15
	v_cmpx_lt_i16_e32 6, v16
	s_xor_b32 s23, exec_lo, s23
	s_cbranch_execz .LBB47_628
; %bb.627:                              ;   in Loop: Header=BB47_17 Depth=1
	flat_load_b64 v[0:1], v[0:1]
	s_waitcnt vmcnt(0) lgkmcnt(0)
	v_cvt_f32_f64_e32 v15, v[0:1]
                                        ; implicit-def: $vgpr0_vgpr1
.LBB47_628:                             ;   in Loop: Header=BB47_17 Depth=1
	s_and_not1_saveexec_b32 s23, s23
	s_cbranch_execz .LBB47_630
; %bb.629:                              ;   in Loop: Header=BB47_17 Depth=1
	s_waitcnt vmcnt(0) lgkmcnt(0)
	flat_load_b32 v15, v[0:1]
.LBB47_630:                             ;   in Loop: Header=BB47_17 Depth=1
	s_or_b32 exec_lo, exec_lo, s23
                                        ; implicit-def: $vgpr0_vgpr1
.LBB47_631:                             ;   in Loop: Header=BB47_17 Depth=1
	s_and_not1_saveexec_b32 s22, s22
	s_cbranch_execz .LBB47_633
; %bb.632:                              ;   in Loop: Header=BB47_17 Depth=1
	flat_load_u16 v0, v[0:1]
	s_waitcnt vmcnt(0) lgkmcnt(0)
	v_cvt_f32_f16_e32 v15, v0
.LBB47_633:                             ;   in Loop: Header=BB47_17 Depth=1
	s_or_b32 exec_lo, exec_lo, s22
.LBB47_634:                             ;   in Loop: Header=BB47_17 Depth=1
	s_delay_alu instid0(SALU_CYCLE_1)
	s_or_b32 exec_lo, exec_lo, s21
                                        ; implicit-def: $vgpr16
                                        ; implicit-def: $vgpr0_vgpr1
.LBB47_635:                             ;   in Loop: Header=BB47_17 Depth=1
	s_and_not1_saveexec_b32 s20, s20
	s_cbranch_execz .LBB47_653
; %bb.636:                              ;   in Loop: Header=BB47_17 Depth=1
	s_mov_b32 s21, exec_lo
                                        ; implicit-def: $vgpr15
	v_cmpx_lt_i16_e32 1, v16
	s_xor_b32 s21, exec_lo, s21
	s_cbranch_execz .LBB47_646
; %bb.637:                              ;   in Loop: Header=BB47_17 Depth=1
	s_mov_b32 s22, exec_lo
                                        ; implicit-def: $vgpr15
	v_cmpx_lt_i16_e32 2, v16
	s_xor_b32 s22, exec_lo, s22
	;; [unrolled: 6-line block ×3, first 2 shown]
	s_cbranch_execz .LBB47_640
; %bb.639:                              ;   in Loop: Header=BB47_17 Depth=1
	flat_load_b64 v[0:1], v[0:1]
	s_waitcnt vmcnt(0) lgkmcnt(0)
	v_xor_b32_e32 v15, v0, v1
	v_cls_i32_e32 v16, v1
	s_delay_alu instid0(VALU_DEP_2) | instskip(NEXT) | instid1(VALU_DEP_2)
	v_ashrrev_i32_e32 v15, 31, v15
	v_add_nc_u32_e32 v16, -1, v16
	s_delay_alu instid0(VALU_DEP_2) | instskip(NEXT) | instid1(VALU_DEP_1)
	v_add_nc_u32_e32 v15, 32, v15
	v_min_u32_e32 v15, v16, v15
	s_delay_alu instid0(VALU_DEP_1) | instskip(NEXT) | instid1(VALU_DEP_1)
	v_lshlrev_b64 v[0:1], v15, v[0:1]
	v_min_u32_e32 v0, 1, v0
	s_delay_alu instid0(VALU_DEP_1) | instskip(SKIP_1) | instid1(VALU_DEP_2)
	v_or_b32_e32 v0, v1, v0
	v_sub_nc_u32_e32 v1, 32, v15
	v_cvt_f32_i32_e32 v0, v0
	s_delay_alu instid0(VALU_DEP_1)
	v_ldexp_f32 v15, v0, v1
                                        ; implicit-def: $vgpr0_vgpr1
.LBB47_640:                             ;   in Loop: Header=BB47_17 Depth=1
	s_and_not1_saveexec_b32 s23, s23
	s_cbranch_execz .LBB47_642
; %bb.641:                              ;   in Loop: Header=BB47_17 Depth=1
	flat_load_b32 v0, v[0:1]
	s_waitcnt vmcnt(0) lgkmcnt(0)
	v_cvt_f32_i32_e32 v15, v0
.LBB47_642:                             ;   in Loop: Header=BB47_17 Depth=1
	s_or_b32 exec_lo, exec_lo, s23
                                        ; implicit-def: $vgpr0_vgpr1
.LBB47_643:                             ;   in Loop: Header=BB47_17 Depth=1
	s_and_not1_saveexec_b32 s22, s22
	s_cbranch_execz .LBB47_645
; %bb.644:                              ;   in Loop: Header=BB47_17 Depth=1
	flat_load_i16 v0, v[0:1]
	s_waitcnt vmcnt(0) lgkmcnt(0)
	v_cvt_f32_i32_e32 v15, v0
.LBB47_645:                             ;   in Loop: Header=BB47_17 Depth=1
	s_or_b32 exec_lo, exec_lo, s22
                                        ; implicit-def: $vgpr0_vgpr1
                                        ; implicit-def: $vgpr16
.LBB47_646:                             ;   in Loop: Header=BB47_17 Depth=1
	s_and_not1_saveexec_b32 s21, s21
	s_cbranch_execz .LBB47_652
; %bb.647:                              ;   in Loop: Header=BB47_17 Depth=1
	s_mov_b32 s22, exec_lo
                                        ; implicit-def: $vgpr15
	v_cmpx_lt_i16_e32 0, v16
	s_xor_b32 s22, exec_lo, s22
	s_cbranch_execz .LBB47_649
; %bb.648:                              ;   in Loop: Header=BB47_17 Depth=1
	flat_load_i8 v0, v[0:1]
	s_waitcnt vmcnt(0) lgkmcnt(0)
	v_cvt_f32_i32_e32 v15, v0
                                        ; implicit-def: $vgpr0_vgpr1
.LBB47_649:                             ;   in Loop: Header=BB47_17 Depth=1
	s_and_not1_saveexec_b32 s22, s22
	s_cbranch_execz .LBB47_651
; %bb.650:                              ;   in Loop: Header=BB47_17 Depth=1
	flat_load_u8 v0, v[0:1]
	s_waitcnt vmcnt(0) lgkmcnt(0)
	v_cvt_f32_ubyte0_e32 v15, v0
.LBB47_651:                             ;   in Loop: Header=BB47_17 Depth=1
	s_or_b32 exec_lo, exec_lo, s22
.LBB47_652:                             ;   in Loop: Header=BB47_17 Depth=1
	s_delay_alu instid0(SALU_CYCLE_1)
	s_or_b32 exec_lo, exec_lo, s21
.LBB47_653:                             ;   in Loop: Header=BB47_17 Depth=1
	s_delay_alu instid0(SALU_CYCLE_1) | instskip(NEXT) | instid1(SALU_CYCLE_1)
	s_or_b32 exec_lo, exec_lo, s20
	s_and_not1_b32 s18, s18, exec_lo
	s_and_not1_b32 s17, s17, exec_lo
	s_or_b32 s19, s19, exec_lo
	s_or_b32 exec_lo, exec_lo, s16
	s_mov_b32 s16, 0
	s_and_saveexec_b32 s20, s19
	s_cbranch_execnz .LBB47_546
	s_branch .LBB47_547
.LBB47_654:                             ;   in Loop: Header=BB47_17 Depth=1
	s_mov_b32 s14, exec_lo
                                        ; implicit-def: $sgpr20
                                        ; implicit-def: $sgpr15
                                        ; implicit-def: $vgpr16
	v_cmpx_lt_i16_e32 25, v7
	s_xor_b32 s14, exec_lo, s14
	s_cbranch_execz .LBB47_686
; %bb.655:                              ;   in Loop: Header=BB47_17 Depth=1
	s_mov_b32 s15, exec_lo
                                        ; implicit-def: $sgpr20
                                        ; implicit-def: $sgpr21
                                        ; implicit-def: $vgpr16
	v_cmpx_lt_i16_e32 28, v7
	s_xor_b32 s15, exec_lo, s15
	s_cbranch_execz .LBB47_671
; %bb.656:                              ;   in Loop: Header=BB47_17 Depth=1
	s_mov_b32 s22, 0
	s_mov_b32 s19, exec_lo
                                        ; implicit-def: $sgpr20
                                        ; implicit-def: $sgpr21
                                        ; implicit-def: $vgpr16
	v_cmpx_lt_i16_e32 43, v7
	s_xor_b32 s19, exec_lo, s19
	s_cbranch_execz .LBB47_666
; %bb.657:                              ;   in Loop: Header=BB47_17 Depth=1
	s_mov_b32 s21, exec_lo
                                        ; implicit-def: $sgpr20
                                        ; implicit-def: $sgpr23
                                        ; implicit-def: $vgpr16
	v_cmpx_lt_i16_e32 45, v7
	s_xor_b32 s21, exec_lo, s21
	s_cbranch_execz .LBB47_661
; %bb.658:                              ;   in Loop: Header=BB47_17 Depth=1
	s_mov_b32 s20, 0
	s_mov_b32 s23, exec_lo
                                        ; implicit-def: $vgpr16
	v_cmpx_eq_u16_e32 46, v7
	s_cbranch_execz .LBB47_660
; %bb.659:                              ;   in Loop: Header=BB47_17 Depth=1
	flat_load_b32 v0, v[0:1]
	s_mov_b32 s22, exec_lo
	s_waitcnt vmcnt(0) lgkmcnt(0)
	v_lshlrev_b32_e32 v16, 16, v0
.LBB47_660:                             ;   in Loop: Header=BB47_17 Depth=1
	s_or_b32 exec_lo, exec_lo, s23
	s_mov_b32 s23, -1
	s_and_b32 s22, s22, exec_lo
                                        ; implicit-def: $vgpr0_vgpr1
.LBB47_661:                             ;   in Loop: Header=BB47_17 Depth=1
	s_and_not1_saveexec_b32 s21, s21
	s_cbranch_execz .LBB47_665
; %bb.662:                              ;   in Loop: Header=BB47_17 Depth=1
	s_mov_b32 s25, s22
	s_mov_b32 s24, exec_lo
                                        ; implicit-def: $vgpr16
	v_cmpx_eq_u16_e32 44, v7
	s_cbranch_execz .LBB47_664
; %bb.663:                              ;   in Loop: Header=BB47_17 Depth=1
	flat_load_u8 v0, v[0:1]
	s_or_b32 s25, s22, exec_lo
	s_waitcnt vmcnt(0) lgkmcnt(0)
	v_lshlrev_b32_e32 v1, 23, v0
	v_cmp_ne_u32_e32 vcc_lo, 0xff, v0
	s_delay_alu instid0(VALU_DEP_2) | instskip(SKIP_1) | instid1(VALU_DEP_2)
	v_cndmask_b32_e32 v1, 0x7f800001, v1, vcc_lo
	v_cmp_ne_u32_e32 vcc_lo, 0, v0
	v_cndmask_b32_e32 v16, 0x400000, v1, vcc_lo
.LBB47_664:                             ;   in Loop: Header=BB47_17 Depth=1
	s_or_b32 exec_lo, exec_lo, s24
	s_delay_alu instid0(SALU_CYCLE_1)
	s_and_not1_b32 s22, s22, exec_lo
	s_and_b32 s24, s25, exec_lo
	s_and_not1_b32 s20, s20, exec_lo
	s_or_b32 s23, s23, exec_lo
	s_or_b32 s22, s22, s24
.LBB47_665:                             ;   in Loop: Header=BB47_17 Depth=1
	s_or_b32 exec_lo, exec_lo, s21
	s_delay_alu instid0(SALU_CYCLE_1)
	s_and_b32 s21, s20, exec_lo
	s_and_b32 s20, s23, exec_lo
	;; [unrolled: 1-line block ×3, first 2 shown]
                                        ; implicit-def: $vgpr0_vgpr1
.LBB47_666:                             ;   in Loop: Header=BB47_17 Depth=1
	s_and_not1_saveexec_b32 s19, s19
	s_cbranch_execz .LBB47_670
; %bb.667:                              ;   in Loop: Header=BB47_17 Depth=1
	s_mov_b32 s24, s22
	s_mov_b32 s23, exec_lo
                                        ; implicit-def: $vgpr16
	v_cmpx_eq_u16_e32 29, v7
	s_cbranch_execz .LBB47_669
; %bb.668:                              ;   in Loop: Header=BB47_17 Depth=1
	flat_load_b64 v[0:1], v[0:1]
	s_or_b32 s24, s22, exec_lo
	s_waitcnt vmcnt(0) lgkmcnt(0)
	v_clz_i32_u32_e32 v14, v1
	s_delay_alu instid0(VALU_DEP_1) | instskip(NEXT) | instid1(VALU_DEP_1)
	v_min_u32_e32 v14, 32, v14
	v_lshlrev_b64 v[0:1], v14, v[0:1]
	s_delay_alu instid0(VALU_DEP_1) | instskip(NEXT) | instid1(VALU_DEP_1)
	v_min_u32_e32 v0, 1, v0
	v_or_b32_e32 v0, v1, v0
	v_sub_nc_u32_e32 v1, 32, v14
	s_delay_alu instid0(VALU_DEP_2) | instskip(NEXT) | instid1(VALU_DEP_1)
	v_cvt_f32_u32_e32 v0, v0
	v_ldexp_f32 v16, v0, v1
.LBB47_669:                             ;   in Loop: Header=BB47_17 Depth=1
	s_or_b32 exec_lo, exec_lo, s23
	s_delay_alu instid0(SALU_CYCLE_1)
	s_and_not1_b32 s22, s22, exec_lo
	s_and_b32 s23, s24, exec_lo
	s_and_not1_b32 s21, s21, exec_lo
	s_or_b32 s20, s20, exec_lo
	s_or_b32 s22, s22, s23
.LBB47_670:                             ;   in Loop: Header=BB47_17 Depth=1
	s_or_b32 exec_lo, exec_lo, s19
	s_delay_alu instid0(SALU_CYCLE_1)
	s_and_b32 s21, s21, exec_lo
	s_and_b32 s20, s20, exec_lo
	;; [unrolled: 1-line block ×3, first 2 shown]
                                        ; implicit-def: $vgpr0_vgpr1
.LBB47_671:                             ;   in Loop: Header=BB47_17 Depth=1
	s_and_not1_saveexec_b32 s15, s15
	s_cbranch_execz .LBB47_685
; %bb.672:                              ;   in Loop: Header=BB47_17 Depth=1
	s_mov_b32 s22, exec_lo
                                        ; implicit-def: $vgpr16
	v_cmpx_lt_i16_e32 26, v7
	s_xor_b32 s22, exec_lo, s22
	s_cbranch_execz .LBB47_678
; %bb.673:                              ;   in Loop: Header=BB47_17 Depth=1
	s_mov_b32 s23, exec_lo
                                        ; implicit-def: $vgpr16
	v_cmpx_lt_i16_e32 27, v7
	s_xor_b32 s23, exec_lo, s23
	s_cbranch_execz .LBB47_675
; %bb.674:                              ;   in Loop: Header=BB47_17 Depth=1
	flat_load_b32 v0, v[0:1]
	s_waitcnt vmcnt(0) lgkmcnt(0)
	v_cvt_f32_u32_e32 v16, v0
                                        ; implicit-def: $vgpr0_vgpr1
.LBB47_675:                             ;   in Loop: Header=BB47_17 Depth=1
	s_and_not1_saveexec_b32 s23, s23
	s_cbranch_execz .LBB47_677
; %bb.676:                              ;   in Loop: Header=BB47_17 Depth=1
	flat_load_u16 v0, v[0:1]
	s_waitcnt vmcnt(0) lgkmcnt(0)
	v_cvt_f32_u32_e32 v16, v0
.LBB47_677:                             ;   in Loop: Header=BB47_17 Depth=1
	s_or_b32 exec_lo, exec_lo, s23
                                        ; implicit-def: $vgpr0_vgpr1
.LBB47_678:                             ;   in Loop: Header=BB47_17 Depth=1
	s_and_not1_saveexec_b32 s22, s22
	s_cbranch_execz .LBB47_684
; %bb.679:                              ;   in Loop: Header=BB47_17 Depth=1
	flat_load_u8 v0, v[0:1]
	s_mov_b32 s23, 0
	s_mov_b32 s25, exec_lo
                                        ; implicit-def: $sgpr24
	s_waitcnt vmcnt(0) lgkmcnt(0)
	v_cmpx_lt_i16_e32 0x7f, v0
	s_xor_b32 s25, exec_lo, s25
	s_cbranch_execnz .LBB47_1442
; %bb.680:                              ;   in Loop: Header=BB47_17 Depth=1
	s_or_saveexec_b32 s25, s25
	v_mov_b32_e32 v16, s24
	s_xor_b32 exec_lo, exec_lo, s25
	s_cbranch_execnz .LBB47_1445
.LBB47_681:                             ;   in Loop: Header=BB47_17 Depth=1
	s_or_b32 exec_lo, exec_lo, s25
	s_and_saveexec_b32 s24, s23
	s_cbranch_execz .LBB47_683
.LBB47_682:                             ;   in Loop: Header=BB47_17 Depth=1
	v_and_b32_e32 v1, 0xffff, v0
	v_lshlrev_b32_e32 v0, 24, v0
	s_delay_alu instid0(VALU_DEP_2) | instskip(NEXT) | instid1(VALU_DEP_2)
	v_and_b32_e32 v14, 7, v1
	v_and_b32_e32 v0, 0x80000000, v0
	s_delay_alu instid0(VALU_DEP_2) | instskip(NEXT) | instid1(VALU_DEP_1)
	v_clz_i32_u32_e32 v16, v14
	v_min_u32_e32 v16, 32, v16
	s_delay_alu instid0(VALU_DEP_1) | instskip(SKIP_1) | instid1(VALU_DEP_2)
	v_subrev_nc_u32_e32 v17, 28, v16
	v_sub_nc_u32_e32 v16, 29, v16
	v_lshlrev_b32_e32 v17, v17, v1
	v_bfe_u32 v1, v1, 3, 4
	s_delay_alu instid0(VALU_DEP_2) | instskip(NEXT) | instid1(VALU_DEP_2)
	v_and_b32_e32 v17, 7, v17
	v_cmp_eq_u32_e32 vcc_lo, 0, v1
	s_delay_alu instid0(VALU_DEP_2) | instskip(NEXT) | instid1(VALU_DEP_1)
	v_dual_cndmask_b32 v1, v1, v16 :: v_dual_cndmask_b32 v14, v14, v17
	v_lshl_add_u32 v1, v1, 23, 0x3b800000
	s_delay_alu instid0(VALU_DEP_2) | instskip(NEXT) | instid1(VALU_DEP_1)
	v_lshlrev_b32_e32 v14, 20, v14
	v_or3_b32 v16, v0, v1, v14
.LBB47_683:                             ;   in Loop: Header=BB47_17 Depth=1
	s_or_b32 exec_lo, exec_lo, s24
.LBB47_684:                             ;   in Loop: Header=BB47_17 Depth=1
	s_delay_alu instid0(SALU_CYCLE_1) | instskip(NEXT) | instid1(SALU_CYCLE_1)
	s_or_b32 exec_lo, exec_lo, s22
	s_and_not1_b32 s21, s21, exec_lo
	s_and_not1_b32 s20, s20, exec_lo
	s_or_b32 s19, s19, exec_lo
.LBB47_685:                             ;   in Loop: Header=BB47_17 Depth=1
	s_or_b32 exec_lo, exec_lo, s15
	s_delay_alu instid0(SALU_CYCLE_1)
	s_and_b32 s15, s21, exec_lo
	s_and_b32 s20, s20, exec_lo
	;; [unrolled: 1-line block ×3, first 2 shown]
                                        ; implicit-def: $vgpr0_vgpr1
.LBB47_686:                             ;   in Loop: Header=BB47_17 Depth=1
	s_and_not1_saveexec_b32 s14, s14
	s_cbranch_execz .LBB47_712
; %bb.687:                              ;   in Loop: Header=BB47_17 Depth=1
	s_mov_b32 s22, s19
	s_mov_b32 s21, exec_lo
                                        ; implicit-def: $vgpr16
	v_cmpx_lt_i16_e32 22, v7
	s_xor_b32 s21, exec_lo, s21
	s_cbranch_execz .LBB47_701
; %bb.688:                              ;   in Loop: Header=BB47_17 Depth=1
	s_mov_b32 s22, exec_lo
                                        ; implicit-def: $vgpr16
	v_cmpx_lt_i16_e32 23, v7
	s_xor_b32 s22, exec_lo, s22
	s_cbranch_execz .LBB47_698
; %bb.689:                              ;   in Loop: Header=BB47_17 Depth=1
	;; [unrolled: 6-line block ×3, first 2 shown]
	flat_load_u8 v0, v[0:1]
	s_mov_b32 s24, 0
	s_mov_b32 s26, exec_lo
                                        ; implicit-def: $sgpr25
	s_waitcnt vmcnt(0) lgkmcnt(0)
	v_cmpx_lt_i16_e32 0x7f, v0
	s_xor_b32 s26, exec_lo, s26
	s_cbranch_execnz .LBB47_1661
; %bb.691:                              ;   in Loop: Header=BB47_17 Depth=1
	s_or_saveexec_b32 s26, s26
	v_mov_b32_e32 v16, s25
	s_xor_b32 exec_lo, exec_lo, s26
	s_cbranch_execnz .LBB47_1664
.LBB47_692:                             ;   in Loop: Header=BB47_17 Depth=1
	s_or_b32 exec_lo, exec_lo, s26
	s_and_saveexec_b32 s25, s24
	s_cbranch_execz .LBB47_694
.LBB47_693:                             ;   in Loop: Header=BB47_17 Depth=1
	v_and_b32_e32 v1, 0xffff, v0
	v_lshlrev_b32_e32 v0, 24, v0
	s_delay_alu instid0(VALU_DEP_2) | instskip(NEXT) | instid1(VALU_DEP_2)
	v_and_b32_e32 v14, 3, v1
	v_and_b32_e32 v0, 0x80000000, v0
	s_delay_alu instid0(VALU_DEP_2) | instskip(NEXT) | instid1(VALU_DEP_1)
	v_clz_i32_u32_e32 v16, v14
	v_min_u32_e32 v16, 32, v16
	s_delay_alu instid0(VALU_DEP_1) | instskip(SKIP_1) | instid1(VALU_DEP_2)
	v_subrev_nc_u32_e32 v17, 29, v16
	v_sub_nc_u32_e32 v16, 30, v16
	v_lshlrev_b32_e32 v17, v17, v1
	v_bfe_u32 v1, v1, 2, 5
	s_delay_alu instid0(VALU_DEP_2) | instskip(NEXT) | instid1(VALU_DEP_2)
	v_and_b32_e32 v17, 3, v17
	v_cmp_eq_u32_e32 vcc_lo, 0, v1
	s_delay_alu instid0(VALU_DEP_2) | instskip(NEXT) | instid1(VALU_DEP_1)
	v_dual_cndmask_b32 v1, v1, v16 :: v_dual_cndmask_b32 v14, v14, v17
	v_lshl_add_u32 v1, v1, 23, 0x37800000
	s_delay_alu instid0(VALU_DEP_2) | instskip(NEXT) | instid1(VALU_DEP_1)
	v_lshlrev_b32_e32 v14, 21, v14
	v_or3_b32 v16, v0, v1, v14
.LBB47_694:                             ;   in Loop: Header=BB47_17 Depth=1
	s_or_b32 exec_lo, exec_lo, s25
                                        ; implicit-def: $vgpr0_vgpr1
.LBB47_695:                             ;   in Loop: Header=BB47_17 Depth=1
	s_and_not1_saveexec_b32 s23, s23
	s_cbranch_execz .LBB47_697
; %bb.696:                              ;   in Loop: Header=BB47_17 Depth=1
	flat_load_u8 v0, v[0:1]
	s_waitcnt vmcnt(0) lgkmcnt(0)
	v_lshlrev_b32_e32 v0, 24, v0
	s_delay_alu instid0(VALU_DEP_1) | instskip(NEXT) | instid1(VALU_DEP_1)
	v_and_b32_e32 v1, 0x7f000000, v0
	v_clz_i32_u32_e32 v14, v1
	v_add_nc_u32_e32 v17, 0x1000000, v1
	v_cmp_ne_u32_e32 vcc_lo, 0, v1
	s_delay_alu instid0(VALU_DEP_3) | instskip(NEXT) | instid1(VALU_DEP_1)
	v_min_u32_e32 v14, 32, v14
	v_sub_nc_u32_e64 v14, v14, 4 clamp
	s_delay_alu instid0(VALU_DEP_1) | instskip(SKIP_1) | instid1(VALU_DEP_2)
	v_lshlrev_b32_e32 v16, v14, v1
	v_lshlrev_b32_e32 v14, 23, v14
	v_lshrrev_b32_e32 v16, 4, v16
	s_delay_alu instid0(VALU_DEP_1) | instskip(SKIP_1) | instid1(VALU_DEP_2)
	v_sub_nc_u32_e32 v14, v16, v14
	v_ashrrev_i32_e32 v16, 8, v17
	v_add_nc_u32_e32 v14, 0x3c000000, v14
	s_delay_alu instid0(VALU_DEP_1) | instskip(NEXT) | instid1(VALU_DEP_1)
	v_and_or_b32 v14, 0x7f800000, v16, v14
	v_cndmask_b32_e32 v1, 0, v14, vcc_lo
	s_delay_alu instid0(VALU_DEP_1)
	v_and_or_b32 v16, 0x80000000, v0, v1
.LBB47_697:                             ;   in Loop: Header=BB47_17 Depth=1
	s_or_b32 exec_lo, exec_lo, s23
                                        ; implicit-def: $vgpr0_vgpr1
.LBB47_698:                             ;   in Loop: Header=BB47_17 Depth=1
	s_and_not1_saveexec_b32 s22, s22
	s_cbranch_execz .LBB47_700
; %bb.699:                              ;   in Loop: Header=BB47_17 Depth=1
	flat_load_u8 v0, v[0:1]
	s_waitcnt vmcnt(0) lgkmcnt(0)
	v_lshlrev_b32_e32 v1, 25, v0
	v_lshlrev_b16 v0, 8, v0
	s_delay_alu instid0(VALU_DEP_2) | instskip(NEXT) | instid1(VALU_DEP_2)
	v_lshrrev_b32_e32 v14, 4, v1
	v_and_or_b32 v16, 0x7f00, v0, 0.5
	v_bfe_i32 v0, v0, 0, 16
	s_delay_alu instid0(VALU_DEP_3) | instskip(NEXT) | instid1(VALU_DEP_3)
	v_or_b32_e32 v14, 0x70000000, v14
	v_add_f32_e32 v16, -0.5, v16
	s_delay_alu instid0(VALU_DEP_2) | instskip(SKIP_1) | instid1(VALU_DEP_2)
	v_mul_f32_e32 v14, 0x7800000, v14
	v_cmp_gt_u32_e32 vcc_lo, 0x8000000, v1
	v_cndmask_b32_e32 v1, v14, v16, vcc_lo
	s_delay_alu instid0(VALU_DEP_1)
	v_and_or_b32 v16, 0x80000000, v0, v1
.LBB47_700:                             ;   in Loop: Header=BB47_17 Depth=1
	s_or_b32 exec_lo, exec_lo, s22
	s_delay_alu instid0(SALU_CYCLE_1)
	s_or_b32 s22, s19, exec_lo
                                        ; implicit-def: $vgpr0_vgpr1
.LBB47_701:                             ;   in Loop: Header=BB47_17 Depth=1
	s_or_saveexec_b32 s21, s21
                                        ; implicit-def: $sgpr23
                                        ; implicit-def: $sgpr25
	s_delay_alu instid0(SALU_CYCLE_1)
	s_xor_b32 exec_lo, exec_lo, s21
	s_cbranch_execz .LBB47_711
; %bb.702:                              ;   in Loop: Header=BB47_17 Depth=1
	s_mov_b32 s24, s22
	s_mov_b32 s26, exec_lo
                                        ; implicit-def: $sgpr25
                                        ; implicit-def: $sgpr23
                                        ; implicit-def: $vgpr16
	v_cmpx_lt_i16_e32 14, v7
	s_xor_b32 s26, exec_lo, s26
	s_cbranch_execz .LBB47_706
; %bb.703:                              ;   in Loop: Header=BB47_17 Depth=1
	s_mov_b32 s24, s22
	s_mov_b32 s23, exec_lo
                                        ; implicit-def: $vgpr16
	v_cmpx_eq_u16_e32 15, v7
	s_cbranch_execz .LBB47_705
; %bb.704:                              ;   in Loop: Header=BB47_17 Depth=1
	flat_load_u16 v0, v[0:1]
	s_or_b32 s24, s22, exec_lo
	s_waitcnt vmcnt(0) lgkmcnt(0)
	v_lshlrev_b32_e32 v16, 16, v0
.LBB47_705:                             ;   in Loop: Header=BB47_17 Depth=1
	s_or_b32 exec_lo, exec_lo, s23
	s_delay_alu instid0(SALU_CYCLE_1)
	s_and_not1_b32 s27, s22, exec_lo
	s_and_b32 s24, s24, exec_lo
	s_mov_b32 s23, -1
	s_mov_b32 s25, 0
	s_or_b32 s24, s27, s24
                                        ; implicit-def: $vgpr0_vgpr1
.LBB47_706:                             ;   in Loop: Header=BB47_17 Depth=1
	s_and_not1_saveexec_b32 s26, s26
	s_cbranch_execz .LBB47_710
; %bb.707:                              ;   in Loop: Header=BB47_17 Depth=1
	s_mov_b32 s27, s24
	s_mov_b32 s28, exec_lo
                                        ; implicit-def: $vgpr16
	v_cmpx_eq_u16_e32 11, v7
	s_cbranch_execz .LBB47_709
; %bb.708:                              ;   in Loop: Header=BB47_17 Depth=1
	flat_load_u8 v0, v[0:1]
	s_or_b32 s27, s24, exec_lo
	s_waitcnt vmcnt(0) lgkmcnt(0)
	v_cmp_ne_u16_e32 vcc_lo, 0, v0
	v_cndmask_b32_e64 v16, 0, 1.0, vcc_lo
.LBB47_709:                             ;   in Loop: Header=BB47_17 Depth=1
	s_or_b32 exec_lo, exec_lo, s28
	s_delay_alu instid0(SALU_CYCLE_1)
	s_and_not1_b32 s24, s24, exec_lo
	s_and_b32 s27, s27, exec_lo
	s_and_not1_b32 s25, s25, exec_lo
	s_or_b32 s23, s23, exec_lo
	s_or_b32 s24, s24, s27
.LBB47_710:                             ;   in Loop: Header=BB47_17 Depth=1
	s_or_b32 exec_lo, exec_lo, s26
	s_delay_alu instid0(SALU_CYCLE_1)
	s_and_not1_b32 s22, s22, exec_lo
	s_and_b32 s24, s24, exec_lo
	s_and_b32 s25, s25, exec_lo
	;; [unrolled: 1-line block ×3, first 2 shown]
	s_or_b32 s22, s22, s24
.LBB47_711:                             ;   in Loop: Header=BB47_17 Depth=1
	s_or_b32 exec_lo, exec_lo, s21
	s_delay_alu instid0(SALU_CYCLE_1)
	s_and_not1_b32 s15, s15, exec_lo
	s_and_b32 s21, s25, exec_lo
	s_and_not1_b32 s20, s20, exec_lo
	s_or_b32 s15, s15, s21
	s_and_b32 s21, s23, exec_lo
	s_and_not1_b32 s19, s19, exec_lo
	s_and_b32 s22, s22, exec_lo
	s_or_b32 s20, s20, s21
	s_or_b32 s19, s19, s22
.LBB47_712:                             ;   in Loop: Header=BB47_17 Depth=1
	s_or_b32 exec_lo, exec_lo, s14
	s_delay_alu instid0(SALU_CYCLE_1)
	s_and_b32 s15, s15, exec_lo
	s_and_b32 s14, s20, exec_lo
	;; [unrolled: 1-line block ×3, first 2 shown]
                                        ; implicit-def: $vgpr0_vgpr1
	s_and_not1_saveexec_b32 s18, s18
	s_cbranch_execz .LBB47_553
.LBB47_713:                             ;   in Loop: Header=BB47_17 Depth=1
	s_mov_b32 s20, exec_lo
                                        ; implicit-def: $vgpr16
	v_cmpx_lt_i16_e32 4, v7
	s_xor_b32 s20, exec_lo, s20
	s_cbranch_execz .LBB47_735
; %bb.714:                              ;   in Loop: Header=BB47_17 Depth=1
	s_mov_b32 s21, exec_lo
                                        ; implicit-def: $vgpr16
	v_cmpx_lt_i16_e32 7, v7
	s_xor_b32 s21, exec_lo, s21
	s_cbranch_execz .LBB47_724
; %bb.715:                              ;   in Loop: Header=BB47_17 Depth=1
	;; [unrolled: 6-line block ×4, first 2 shown]
	flat_load_b64 v[0:1], v[0:1]
	s_waitcnt vmcnt(0) lgkmcnt(0)
	v_cvt_f32_f64_e32 v16, v[0:1]
                                        ; implicit-def: $vgpr0_vgpr1
.LBB47_718:                             ;   in Loop: Header=BB47_17 Depth=1
	s_and_not1_saveexec_b32 s23, s23
	s_cbranch_execz .LBB47_720
; %bb.719:                              ;   in Loop: Header=BB47_17 Depth=1
	flat_load_b32 v16, v[0:1]
.LBB47_720:                             ;   in Loop: Header=BB47_17 Depth=1
	s_or_b32 exec_lo, exec_lo, s23
                                        ; implicit-def: $vgpr0_vgpr1
.LBB47_721:                             ;   in Loop: Header=BB47_17 Depth=1
	s_and_not1_saveexec_b32 s22, s22
	s_cbranch_execz .LBB47_723
; %bb.722:                              ;   in Loop: Header=BB47_17 Depth=1
	flat_load_b32 v0, v[0:1]
	s_waitcnt vmcnt(0) lgkmcnt(0)
	v_cvt_f32_f16_e32 v16, v0
.LBB47_723:                             ;   in Loop: Header=BB47_17 Depth=1
	s_or_b32 exec_lo, exec_lo, s22
                                        ; implicit-def: $vgpr0_vgpr1
.LBB47_724:                             ;   in Loop: Header=BB47_17 Depth=1
	s_and_not1_saveexec_b32 s21, s21
	s_cbranch_execz .LBB47_734
; %bb.725:                              ;   in Loop: Header=BB47_17 Depth=1
	s_mov_b32 s22, exec_lo
                                        ; implicit-def: $vgpr16
	v_cmpx_lt_i16_e32 5, v7
	s_xor_b32 s22, exec_lo, s22
	s_cbranch_execz .LBB47_731
; %bb.726:                              ;   in Loop: Header=BB47_17 Depth=1
	s_mov_b32 s23, exec_lo
                                        ; implicit-def: $vgpr16
	v_cmpx_lt_i16_e32 6, v7
	s_xor_b32 s23, exec_lo, s23
	s_cbranch_execz .LBB47_728
; %bb.727:                              ;   in Loop: Header=BB47_17 Depth=1
	flat_load_b64 v[0:1], v[0:1]
	s_waitcnt vmcnt(0) lgkmcnt(0)
	v_cvt_f32_f64_e32 v16, v[0:1]
                                        ; implicit-def: $vgpr0_vgpr1
.LBB47_728:                             ;   in Loop: Header=BB47_17 Depth=1
	s_and_not1_saveexec_b32 s23, s23
	s_cbranch_execz .LBB47_730
; %bb.729:                              ;   in Loop: Header=BB47_17 Depth=1
	s_waitcnt vmcnt(0) lgkmcnt(0)
	flat_load_b32 v16, v[0:1]
.LBB47_730:                             ;   in Loop: Header=BB47_17 Depth=1
	s_or_b32 exec_lo, exec_lo, s23
                                        ; implicit-def: $vgpr0_vgpr1
.LBB47_731:                             ;   in Loop: Header=BB47_17 Depth=1
	s_and_not1_saveexec_b32 s22, s22
	s_cbranch_execz .LBB47_733
; %bb.732:                              ;   in Loop: Header=BB47_17 Depth=1
	flat_load_u16 v0, v[0:1]
	s_waitcnt vmcnt(0) lgkmcnt(0)
	v_cvt_f32_f16_e32 v16, v0
.LBB47_733:                             ;   in Loop: Header=BB47_17 Depth=1
	s_or_b32 exec_lo, exec_lo, s22
.LBB47_734:                             ;   in Loop: Header=BB47_17 Depth=1
	s_delay_alu instid0(SALU_CYCLE_1)
	s_or_b32 exec_lo, exec_lo, s21
                                        ; implicit-def: $vgpr0_vgpr1
.LBB47_735:                             ;   in Loop: Header=BB47_17 Depth=1
	s_and_not1_saveexec_b32 s20, s20
	s_cbranch_execz .LBB47_753
; %bb.736:                              ;   in Loop: Header=BB47_17 Depth=1
	s_mov_b32 s21, exec_lo
                                        ; implicit-def: $vgpr16
	v_cmpx_lt_i16_e32 1, v7
	s_xor_b32 s21, exec_lo, s21
	s_cbranch_execz .LBB47_746
; %bb.737:                              ;   in Loop: Header=BB47_17 Depth=1
	s_mov_b32 s22, exec_lo
                                        ; implicit-def: $vgpr16
	v_cmpx_lt_i16_e32 2, v7
	s_xor_b32 s22, exec_lo, s22
	;; [unrolled: 6-line block ×3, first 2 shown]
	s_cbranch_execz .LBB47_740
; %bb.739:                              ;   in Loop: Header=BB47_17 Depth=1
	flat_load_b64 v[0:1], v[0:1]
	s_waitcnt vmcnt(0) lgkmcnt(0)
	v_xor_b32_e32 v14, v0, v1
	v_cls_i32_e32 v16, v1
	s_delay_alu instid0(VALU_DEP_2) | instskip(NEXT) | instid1(VALU_DEP_2)
	v_ashrrev_i32_e32 v14, 31, v14
	v_add_nc_u32_e32 v16, -1, v16
	s_delay_alu instid0(VALU_DEP_2) | instskip(NEXT) | instid1(VALU_DEP_1)
	v_add_nc_u32_e32 v14, 32, v14
	v_min_u32_e32 v14, v16, v14
	s_delay_alu instid0(VALU_DEP_1) | instskip(NEXT) | instid1(VALU_DEP_1)
	v_lshlrev_b64 v[0:1], v14, v[0:1]
	v_min_u32_e32 v0, 1, v0
	s_delay_alu instid0(VALU_DEP_1) | instskip(SKIP_1) | instid1(VALU_DEP_2)
	v_or_b32_e32 v0, v1, v0
	v_sub_nc_u32_e32 v1, 32, v14
	v_cvt_f32_i32_e32 v0, v0
	s_delay_alu instid0(VALU_DEP_1)
	v_ldexp_f32 v16, v0, v1
                                        ; implicit-def: $vgpr0_vgpr1
.LBB47_740:                             ;   in Loop: Header=BB47_17 Depth=1
	s_and_not1_saveexec_b32 s23, s23
	s_cbranch_execz .LBB47_742
; %bb.741:                              ;   in Loop: Header=BB47_17 Depth=1
	flat_load_b32 v0, v[0:1]
	s_waitcnt vmcnt(0) lgkmcnt(0)
	v_cvt_f32_i32_e32 v16, v0
.LBB47_742:                             ;   in Loop: Header=BB47_17 Depth=1
	s_or_b32 exec_lo, exec_lo, s23
                                        ; implicit-def: $vgpr0_vgpr1
.LBB47_743:                             ;   in Loop: Header=BB47_17 Depth=1
	s_and_not1_saveexec_b32 s22, s22
	s_cbranch_execz .LBB47_745
; %bb.744:                              ;   in Loop: Header=BB47_17 Depth=1
	flat_load_i16 v0, v[0:1]
	s_waitcnt vmcnt(0) lgkmcnt(0)
	v_cvt_f32_i32_e32 v16, v0
.LBB47_745:                             ;   in Loop: Header=BB47_17 Depth=1
	s_or_b32 exec_lo, exec_lo, s22
                                        ; implicit-def: $vgpr0_vgpr1
.LBB47_746:                             ;   in Loop: Header=BB47_17 Depth=1
	s_and_not1_saveexec_b32 s21, s21
	s_cbranch_execz .LBB47_752
; %bb.747:                              ;   in Loop: Header=BB47_17 Depth=1
	s_mov_b32 s22, exec_lo
                                        ; implicit-def: $vgpr16
	v_cmpx_lt_i16_e32 0, v7
	s_xor_b32 s22, exec_lo, s22
	s_cbranch_execz .LBB47_749
; %bb.748:                              ;   in Loop: Header=BB47_17 Depth=1
	flat_load_i8 v0, v[0:1]
	s_waitcnt vmcnt(0) lgkmcnt(0)
	v_cvt_f32_i32_e32 v16, v0
                                        ; implicit-def: $vgpr0_vgpr1
.LBB47_749:                             ;   in Loop: Header=BB47_17 Depth=1
	s_and_not1_saveexec_b32 s22, s22
	s_cbranch_execz .LBB47_751
; %bb.750:                              ;   in Loop: Header=BB47_17 Depth=1
	flat_load_u8 v0, v[0:1]
	s_waitcnt vmcnt(0) lgkmcnt(0)
	v_cvt_f32_ubyte0_e32 v16, v0
.LBB47_751:                             ;   in Loop: Header=BB47_17 Depth=1
	s_or_b32 exec_lo, exec_lo, s22
.LBB47_752:                             ;   in Loop: Header=BB47_17 Depth=1
	s_delay_alu instid0(SALU_CYCLE_1)
	s_or_b32 exec_lo, exec_lo, s21
.LBB47_753:                             ;   in Loop: Header=BB47_17 Depth=1
	s_delay_alu instid0(SALU_CYCLE_1) | instskip(NEXT) | instid1(SALU_CYCLE_1)
	s_or_b32 exec_lo, exec_lo, s20
	s_and_not1_b32 s15, s15, exec_lo
	s_and_not1_b32 s14, s14, exec_lo
	s_or_b32 s19, s19, exec_lo
	s_or_b32 exec_lo, exec_lo, s18
	s_mov_b32 s20, 0
	s_and_saveexec_b32 s18, s19
	s_cbranch_execz .LBB47_759
.LBB47_754:                             ;   in Loop: Header=BB47_17 Depth=1
	v_add_nc_u32_e64 v14, s1, s33
	s_mov_b32 s22, 0
	s_mov_b32 s19, exec_lo
                                        ; implicit-def: $sgpr20
                                        ; implicit-def: $sgpr21
	s_delay_alu instid0(VALU_DEP_1) | instskip(SKIP_4) | instid1(VALU_DEP_2)
	v_add_nc_u32_e32 v0, 28, v14
	s_waitcnt vmcnt(0) lgkmcnt(0)
	scratch_store_b32 v0, v16, off
	v_mul_lo_u32 v0, v15, v10
	v_and_b32_e32 v16, 0xff, v8
                                        ; implicit-def: $vgpr15
	v_add_co_u32 v0, vcc_lo, v4, v0
	v_add_co_ci_u32_e32 v1, vcc_lo, 0, v5, vcc_lo
	s_delay_alu instid0(VALU_DEP_3)
	v_cmpx_lt_i16_e32 10, v16
	s_xor_b32 s19, exec_lo, s19
	s_cbranch_execnz .LBB47_769
; %bb.755:                              ;   in Loop: Header=BB47_17 Depth=1
	s_and_not1_saveexec_b32 s19, s19
	s_cbranch_execnz .LBB47_828
.LBB47_756:                             ;   in Loop: Header=BB47_17 Depth=1
	s_or_b32 exec_lo, exec_lo, s19
	s_mov_b32 s19, 0
	s_and_saveexec_b32 s23, s22
	s_cbranch_execz .LBB47_758
.LBB47_757:                             ;   in Loop: Header=BB47_17 Depth=1
	v_add_nc_u32_e32 v0, 24, v14
	v_add_nc_u32_e32 v13, 0x200, v13
	s_mov_b32 s19, exec_lo
	s_and_not1_b32 s21, s21, exec_lo
	s_and_not1_b32 s20, s20, exec_lo
	s_waitcnt vmcnt(0) lgkmcnt(0)
	scratch_store_b32 v0, v15, off
.LBB47_758:                             ;   in Loop: Header=BB47_17 Depth=1
	s_or_b32 exec_lo, exec_lo, s23
	s_delay_alu instid0(SALU_CYCLE_1)
	s_and_not1_b32 s15, s15, exec_lo
	s_and_b32 s21, s21, exec_lo
	s_and_not1_b32 s14, s14, exec_lo
	s_and_b32 s20, s20, exec_lo
	s_or_b32 s15, s15, s21
	s_or_b32 s14, s14, s20
	s_and_b32 s20, s19, exec_lo
.LBB47_759:                             ;   in Loop: Header=BB47_17 Depth=1
	s_or_b32 exec_lo, exec_lo, s18
	s_delay_alu instid0(SALU_CYCLE_1)
	s_and_b32 s15, s15, exec_lo
	s_and_b32 s14, s14, exec_lo
	s_or_not1_b32 s18, s20, exec_lo
.LBB47_760:                             ;   in Loop: Header=BB47_17 Depth=1
	s_or_b32 exec_lo, exec_lo, s16
	s_and_saveexec_b32 s16, s18
	s_cbranch_execz .LBB47_13
; %bb.761:                              ;   in Loop: Header=BB47_17 Depth=1
	s_mov_b32 s20, -1
	s_mov_b32 s21, -1
	s_mov_b32 s19, exec_lo
                                        ; implicit-def: $sgpr17
                                        ; implicit-def: $sgpr18
	v_cmpx_lt_i32_e64 v13, v6
	s_cbranch_execz .LBB47_975
; %bb.762:                              ;   in Loop: Header=BB47_17 Depth=1
	s_waitcnt vmcnt(0) lgkmcnt(0)
	v_add_nc_u32_e32 v15, s11, v13
	s_mov_b32 s22, 0
	s_mov_b32 s21, exec_lo
                                        ; implicit-def: $sgpr17
                                        ; implicit-def: $sgpr18
                                        ; implicit-def: $vgpr16
	s_delay_alu instid0(VALU_DEP_1) | instskip(NEXT) | instid1(VALU_DEP_1)
	v_mul_lo_u32 v0, v15, v9
	v_add_co_u32 v0, vcc_lo, v2, v0
	v_add_co_ci_u32_e32 v1, vcc_lo, 0, v3, vcc_lo
	v_cmpx_lt_i16_e32 10, v7
	s_xor_b32 s21, exec_lo, s21
	s_cbranch_execnz .LBB47_869
; %bb.763:                              ;   in Loop: Header=BB47_17 Depth=1
	s_and_not1_saveexec_b32 s21, s21
	s_cbranch_execnz .LBB47_928
.LBB47_764:                             ;   in Loop: Header=BB47_17 Depth=1
	s_or_b32 exec_lo, exec_lo, s21
	s_mov_b32 s23, 0
	s_and_saveexec_b32 s21, s22
	s_cbranch_execnz .LBB47_969
	s_branch .LBB47_974
.LBB47_765:                             ;   in Loop: Header=BB47_17 Depth=1
	s_mov_b32 s15, -1
	s_mov_b32 s18, exec_lo
                                        ; implicit-def: $sgpr16
	v_cmpx_eq_u16_e32 0x80, v0
; %bb.766:                              ;   in Loop: Header=BB47_17 Depth=1
	s_mov_b32 s16, 0x7f800001
	s_xor_b32 s15, exec_lo, -1
; %bb.767:                              ;   in Loop: Header=BB47_17 Depth=1
	s_or_b32 exec_lo, exec_lo, s18
	s_delay_alu instid0(SALU_CYCLE_1)
	s_and_b32 s15, s15, exec_lo
	s_or_saveexec_b32 s17, s17
	v_mov_b32_e32 v16, s16
	s_xor_b32 exec_lo, exec_lo, s17
	s_cbranch_execz .LBB47_48
.LBB47_768:                             ;   in Loop: Header=BB47_17 Depth=1
	v_cmp_ne_u16_e32 vcc_lo, 0, v0
	v_mov_b32_e32 v16, 0
	s_and_not1_b32 s15, s15, exec_lo
	s_and_b32 s16, vcc_lo, exec_lo
	s_delay_alu instid0(SALU_CYCLE_1)
	s_or_b32 s15, s15, s16
	s_or_b32 exec_lo, exec_lo, s17
	s_and_saveexec_b32 s16, s15
	s_cbranch_execnz .LBB47_49
	s_branch .LBB47_50
.LBB47_769:                             ;   in Loop: Header=BB47_17 Depth=1
	s_mov_b32 s20, exec_lo
                                        ; implicit-def: $sgpr23
                                        ; implicit-def: $sgpr21
                                        ; implicit-def: $vgpr15
	v_cmpx_lt_i16_e32 25, v16
	s_xor_b32 s20, exec_lo, s20
	s_cbranch_execz .LBB47_801
; %bb.770:                              ;   in Loop: Header=BB47_17 Depth=1
	s_mov_b32 s21, exec_lo
                                        ; implicit-def: $sgpr23
                                        ; implicit-def: $sgpr24
                                        ; implicit-def: $vgpr15
	v_cmpx_lt_i16_e32 28, v16
	s_xor_b32 s21, exec_lo, s21
	s_cbranch_execz .LBB47_786
; %bb.771:                              ;   in Loop: Header=BB47_17 Depth=1
	s_mov_b32 s25, 0
	s_mov_b32 s22, exec_lo
                                        ; implicit-def: $sgpr23
                                        ; implicit-def: $sgpr24
                                        ; implicit-def: $vgpr15
	v_cmpx_lt_i16_e32 43, v16
	s_xor_b32 s22, exec_lo, s22
	s_cbranch_execz .LBB47_781
; %bb.772:                              ;   in Loop: Header=BB47_17 Depth=1
	s_mov_b32 s26, exec_lo
                                        ; implicit-def: $sgpr24
                                        ; implicit-def: $sgpr23
                                        ; implicit-def: $vgpr15
	v_cmpx_lt_i16_e32 45, v16
	s_xor_b32 s26, exec_lo, s26
	s_cbranch_execz .LBB47_776
; %bb.773:                              ;   in Loop: Header=BB47_17 Depth=1
	s_mov_b32 s23, 0
	s_mov_b32 s24, exec_lo
                                        ; implicit-def: $vgpr15
	v_cmpx_eq_u16_e32 46, v16
	s_cbranch_execz .LBB47_775
; %bb.774:                              ;   in Loop: Header=BB47_17 Depth=1
	flat_load_b32 v0, v[0:1]
	s_mov_b32 s25, exec_lo
	s_waitcnt vmcnt(0) lgkmcnt(0)
	v_lshlrev_b32_e32 v15, 16, v0
.LBB47_775:                             ;   in Loop: Header=BB47_17 Depth=1
	s_or_b32 exec_lo, exec_lo, s24
	s_mov_b32 s24, -1
	s_and_b32 s25, s25, exec_lo
                                        ; implicit-def: $vgpr16
                                        ; implicit-def: $vgpr0_vgpr1
.LBB47_776:                             ;   in Loop: Header=BB47_17 Depth=1
	s_and_not1_saveexec_b32 s26, s26
	s_cbranch_execz .LBB47_780
; %bb.777:                              ;   in Loop: Header=BB47_17 Depth=1
	s_mov_b32 s28, s25
	s_mov_b32 s27, exec_lo
                                        ; implicit-def: $vgpr15
	v_cmpx_eq_u16_e32 44, v16
	s_cbranch_execz .LBB47_779
; %bb.778:                              ;   in Loop: Header=BB47_17 Depth=1
	flat_load_u8 v0, v[0:1]
	s_or_b32 s28, s25, exec_lo
	s_waitcnt vmcnt(0) lgkmcnt(0)
	v_lshlrev_b32_e32 v1, 23, v0
	v_cmp_ne_u32_e32 vcc_lo, 0xff, v0
	s_delay_alu instid0(VALU_DEP_2) | instskip(SKIP_1) | instid1(VALU_DEP_2)
	v_cndmask_b32_e32 v1, 0x7f800001, v1, vcc_lo
	v_cmp_ne_u32_e32 vcc_lo, 0, v0
	v_cndmask_b32_e32 v15, 0x400000, v1, vcc_lo
.LBB47_779:                             ;   in Loop: Header=BB47_17 Depth=1
	s_or_b32 exec_lo, exec_lo, s27
	s_delay_alu instid0(SALU_CYCLE_1)
	s_and_not1_b32 s25, s25, exec_lo
	s_and_b32 s27, s28, exec_lo
	s_or_b32 s24, s24, exec_lo
	s_and_not1_b32 s23, s23, exec_lo
	s_or_b32 s25, s25, s27
.LBB47_780:                             ;   in Loop: Header=BB47_17 Depth=1
	s_or_b32 exec_lo, exec_lo, s26
	s_delay_alu instid0(SALU_CYCLE_1)
	s_and_b32 s24, s24, exec_lo
	s_and_b32 s23, s23, exec_lo
	;; [unrolled: 1-line block ×3, first 2 shown]
                                        ; implicit-def: $vgpr16
                                        ; implicit-def: $vgpr0_vgpr1
.LBB47_781:                             ;   in Loop: Header=BB47_17 Depth=1
	s_and_not1_saveexec_b32 s22, s22
	s_cbranch_execz .LBB47_785
; %bb.782:                              ;   in Loop: Header=BB47_17 Depth=1
	s_mov_b32 s27, s25
	s_mov_b32 s26, exec_lo
                                        ; implicit-def: $vgpr15
	v_cmpx_eq_u16_e32 29, v16
	s_cbranch_execz .LBB47_784
; %bb.783:                              ;   in Loop: Header=BB47_17 Depth=1
	flat_load_b64 v[0:1], v[0:1]
	s_or_b32 s27, s25, exec_lo
	s_waitcnt vmcnt(0) lgkmcnt(0)
	v_clz_i32_u32_e32 v15, v1
	s_delay_alu instid0(VALU_DEP_1) | instskip(NEXT) | instid1(VALU_DEP_1)
	v_min_u32_e32 v15, 32, v15
	v_lshlrev_b64 v[0:1], v15, v[0:1]
	s_delay_alu instid0(VALU_DEP_1) | instskip(NEXT) | instid1(VALU_DEP_1)
	v_min_u32_e32 v0, 1, v0
	v_or_b32_e32 v0, v1, v0
	v_sub_nc_u32_e32 v1, 32, v15
	s_delay_alu instid0(VALU_DEP_2) | instskip(NEXT) | instid1(VALU_DEP_1)
	v_cvt_f32_u32_e32 v0, v0
	v_ldexp_f32 v15, v0, v1
.LBB47_784:                             ;   in Loop: Header=BB47_17 Depth=1
	s_or_b32 exec_lo, exec_lo, s26
	s_delay_alu instid0(SALU_CYCLE_1)
	s_and_not1_b32 s25, s25, exec_lo
	s_and_b32 s26, s27, exec_lo
	s_or_b32 s24, s24, exec_lo
	s_and_not1_b32 s23, s23, exec_lo
	s_or_b32 s25, s25, s26
.LBB47_785:                             ;   in Loop: Header=BB47_17 Depth=1
	s_or_b32 exec_lo, exec_lo, s22
	s_delay_alu instid0(SALU_CYCLE_1)
	s_and_b32 s24, s24, exec_lo
	s_and_b32 s23, s23, exec_lo
	;; [unrolled: 1-line block ×3, first 2 shown]
                                        ; implicit-def: $vgpr16
                                        ; implicit-def: $vgpr0_vgpr1
.LBB47_786:                             ;   in Loop: Header=BB47_17 Depth=1
	s_and_not1_saveexec_b32 s21, s21
	s_cbranch_execz .LBB47_800
; %bb.787:                              ;   in Loop: Header=BB47_17 Depth=1
	s_mov_b32 s25, exec_lo
                                        ; implicit-def: $vgpr15
	v_cmpx_lt_i16_e32 26, v16
	s_xor_b32 s25, exec_lo, s25
	s_cbranch_execz .LBB47_793
; %bb.788:                              ;   in Loop: Header=BB47_17 Depth=1
	s_mov_b32 s26, exec_lo
                                        ; implicit-def: $vgpr15
	v_cmpx_lt_i16_e32 27, v16
	s_xor_b32 s26, exec_lo, s26
	s_cbranch_execz .LBB47_790
; %bb.789:                              ;   in Loop: Header=BB47_17 Depth=1
	flat_load_b32 v0, v[0:1]
	s_waitcnt vmcnt(0) lgkmcnt(0)
	v_cvt_f32_u32_e32 v15, v0
                                        ; implicit-def: $vgpr0_vgpr1
.LBB47_790:                             ;   in Loop: Header=BB47_17 Depth=1
	s_and_not1_saveexec_b32 s26, s26
	s_cbranch_execz .LBB47_792
; %bb.791:                              ;   in Loop: Header=BB47_17 Depth=1
	flat_load_u16 v0, v[0:1]
	s_waitcnt vmcnt(0) lgkmcnt(0)
	v_cvt_f32_u32_e32 v15, v0
.LBB47_792:                             ;   in Loop: Header=BB47_17 Depth=1
	s_or_b32 exec_lo, exec_lo, s26
                                        ; implicit-def: $vgpr0_vgpr1
.LBB47_793:                             ;   in Loop: Header=BB47_17 Depth=1
	s_and_not1_saveexec_b32 s25, s25
	s_cbranch_execz .LBB47_799
; %bb.794:                              ;   in Loop: Header=BB47_17 Depth=1
	flat_load_u8 v0, v[0:1]
	s_mov_b32 s26, 0
	s_mov_b32 s28, exec_lo
                                        ; implicit-def: $sgpr27
	s_waitcnt vmcnt(0) lgkmcnt(0)
	v_cmpx_lt_i16_e32 0x7f, v0
	s_xor_b32 s28, exec_lo, s28
	s_cbranch_execnz .LBB47_1665
; %bb.795:                              ;   in Loop: Header=BB47_17 Depth=1
	s_or_saveexec_b32 s28, s28
	v_mov_b32_e32 v15, s27
	s_xor_b32 exec_lo, exec_lo, s28
	s_cbranch_execnz .LBB47_1668
.LBB47_796:                             ;   in Loop: Header=BB47_17 Depth=1
	s_or_b32 exec_lo, exec_lo, s28
	s_and_saveexec_b32 s27, s26
	s_cbranch_execz .LBB47_798
.LBB47_797:                             ;   in Loop: Header=BB47_17 Depth=1
	v_and_b32_e32 v1, 0xffff, v0
	s_delay_alu instid0(VALU_DEP_1) | instskip(NEXT) | instid1(VALU_DEP_1)
	v_and_b32_e32 v15, 7, v1
	v_clz_i32_u32_e32 v16, v15
	s_delay_alu instid0(VALU_DEP_1) | instskip(NEXT) | instid1(VALU_DEP_1)
	v_min_u32_e32 v16, 32, v16
	v_subrev_nc_u32_e32 v17, 28, v16
	v_sub_nc_u32_e32 v16, 29, v16
	s_delay_alu instid0(VALU_DEP_2) | instskip(SKIP_1) | instid1(VALU_DEP_2)
	v_lshlrev_b32_e32 v17, v17, v1
	v_bfe_u32 v1, v1, 3, 4
	v_and_b32_e32 v17, 7, v17
	s_delay_alu instid0(VALU_DEP_2) | instskip(NEXT) | instid1(VALU_DEP_2)
	v_cmp_eq_u32_e32 vcc_lo, 0, v1
	v_dual_cndmask_b32 v15, v15, v17 :: v_dual_lshlrev_b32 v0, 24, v0
	v_cndmask_b32_e32 v1, v1, v16, vcc_lo
	s_delay_alu instid0(VALU_DEP_2) | instskip(NEXT) | instid1(VALU_DEP_3)
	v_and_b32_e32 v0, 0x80000000, v0
	v_lshlrev_b32_e32 v15, 20, v15
	s_delay_alu instid0(VALU_DEP_3) | instskip(NEXT) | instid1(VALU_DEP_1)
	v_lshl_add_u32 v1, v1, 23, 0x3b800000
	v_or3_b32 v15, v0, v1, v15
.LBB47_798:                             ;   in Loop: Header=BB47_17 Depth=1
	s_or_b32 exec_lo, exec_lo, s27
.LBB47_799:                             ;   in Loop: Header=BB47_17 Depth=1
	s_delay_alu instid0(SALU_CYCLE_1) | instskip(NEXT) | instid1(SALU_CYCLE_1)
	s_or_b32 exec_lo, exec_lo, s25
	s_and_not1_b32 s24, s24, exec_lo
	s_and_not1_b32 s23, s23, exec_lo
	s_or_b32 s22, s22, exec_lo
.LBB47_800:                             ;   in Loop: Header=BB47_17 Depth=1
	s_or_b32 exec_lo, exec_lo, s21
	s_delay_alu instid0(SALU_CYCLE_1)
	s_and_b32 s21, s24, exec_lo
	s_and_b32 s23, s23, exec_lo
	;; [unrolled: 1-line block ×3, first 2 shown]
                                        ; implicit-def: $vgpr16
                                        ; implicit-def: $vgpr0_vgpr1
.LBB47_801:                             ;   in Loop: Header=BB47_17 Depth=1
	s_and_not1_saveexec_b32 s20, s20
	s_cbranch_execz .LBB47_827
; %bb.802:                              ;   in Loop: Header=BB47_17 Depth=1
	s_mov_b32 s25, s22
	s_mov_b32 s24, exec_lo
                                        ; implicit-def: $vgpr15
	v_cmpx_lt_i16_e32 22, v16
	s_xor_b32 s24, exec_lo, s24
	s_cbranch_execz .LBB47_816
; %bb.803:                              ;   in Loop: Header=BB47_17 Depth=1
	s_mov_b32 s25, exec_lo
                                        ; implicit-def: $vgpr15
	v_cmpx_lt_i16_e32 23, v16
	s_xor_b32 s25, exec_lo, s25
	s_cbranch_execz .LBB47_813
; %bb.804:                              ;   in Loop: Header=BB47_17 Depth=1
	;; [unrolled: 6-line block ×3, first 2 shown]
	flat_load_u8 v0, v[0:1]
	s_mov_b32 s27, 0
	s_mov_b32 s29, exec_lo
                                        ; implicit-def: $sgpr28
	s_waitcnt vmcnt(0) lgkmcnt(0)
	v_cmpx_lt_i16_e32 0x7f, v0
	s_xor_b32 s29, exec_lo, s29
	s_cbranch_execnz .LBB47_1884
; %bb.806:                              ;   in Loop: Header=BB47_17 Depth=1
	s_or_saveexec_b32 s29, s29
	v_mov_b32_e32 v15, s28
	s_xor_b32 exec_lo, exec_lo, s29
	s_cbranch_execnz .LBB47_1887
.LBB47_807:                             ;   in Loop: Header=BB47_17 Depth=1
	s_or_b32 exec_lo, exec_lo, s29
	s_and_saveexec_b32 s28, s27
	s_cbranch_execz .LBB47_809
.LBB47_808:                             ;   in Loop: Header=BB47_17 Depth=1
	v_and_b32_e32 v1, 0xffff, v0
	s_delay_alu instid0(VALU_DEP_1) | instskip(NEXT) | instid1(VALU_DEP_1)
	v_and_b32_e32 v15, 3, v1
	v_clz_i32_u32_e32 v16, v15
	s_delay_alu instid0(VALU_DEP_1) | instskip(NEXT) | instid1(VALU_DEP_1)
	v_min_u32_e32 v16, 32, v16
	v_subrev_nc_u32_e32 v17, 29, v16
	v_sub_nc_u32_e32 v16, 30, v16
	s_delay_alu instid0(VALU_DEP_2) | instskip(SKIP_1) | instid1(VALU_DEP_2)
	v_lshlrev_b32_e32 v17, v17, v1
	v_bfe_u32 v1, v1, 2, 5
	v_and_b32_e32 v17, 3, v17
	s_delay_alu instid0(VALU_DEP_2) | instskip(NEXT) | instid1(VALU_DEP_2)
	v_cmp_eq_u32_e32 vcc_lo, 0, v1
	v_dual_cndmask_b32 v15, v15, v17 :: v_dual_lshlrev_b32 v0, 24, v0
	v_cndmask_b32_e32 v1, v1, v16, vcc_lo
	s_delay_alu instid0(VALU_DEP_2) | instskip(NEXT) | instid1(VALU_DEP_3)
	v_and_b32_e32 v0, 0x80000000, v0
	v_lshlrev_b32_e32 v15, 21, v15
	s_delay_alu instid0(VALU_DEP_3) | instskip(NEXT) | instid1(VALU_DEP_1)
	v_lshl_add_u32 v1, v1, 23, 0x37800000
	v_or3_b32 v15, v0, v1, v15
.LBB47_809:                             ;   in Loop: Header=BB47_17 Depth=1
	s_or_b32 exec_lo, exec_lo, s28
                                        ; implicit-def: $vgpr0_vgpr1
.LBB47_810:                             ;   in Loop: Header=BB47_17 Depth=1
	s_and_not1_saveexec_b32 s26, s26
	s_cbranch_execz .LBB47_812
; %bb.811:                              ;   in Loop: Header=BB47_17 Depth=1
	flat_load_u8 v0, v[0:1]
	s_waitcnt vmcnt(0) lgkmcnt(0)
	v_lshlrev_b32_e32 v0, 24, v0
	s_delay_alu instid0(VALU_DEP_1) | instskip(NEXT) | instid1(VALU_DEP_1)
	v_and_b32_e32 v1, 0x7f000000, v0
	v_clz_i32_u32_e32 v15, v1
	v_add_nc_u32_e32 v17, 0x1000000, v1
	v_cmp_ne_u32_e32 vcc_lo, 0, v1
	s_delay_alu instid0(VALU_DEP_3) | instskip(NEXT) | instid1(VALU_DEP_1)
	v_min_u32_e32 v15, 32, v15
	v_sub_nc_u32_e64 v15, v15, 4 clamp
	s_delay_alu instid0(VALU_DEP_1) | instskip(SKIP_1) | instid1(VALU_DEP_2)
	v_lshlrev_b32_e32 v16, v15, v1
	v_lshlrev_b32_e32 v15, 23, v15
	v_lshrrev_b32_e32 v16, 4, v16
	s_delay_alu instid0(VALU_DEP_1) | instskip(SKIP_1) | instid1(VALU_DEP_2)
	v_sub_nc_u32_e32 v15, v16, v15
	v_ashrrev_i32_e32 v16, 8, v17
	v_add_nc_u32_e32 v15, 0x3c000000, v15
	s_delay_alu instid0(VALU_DEP_1) | instskip(NEXT) | instid1(VALU_DEP_1)
	v_and_or_b32 v15, 0x7f800000, v16, v15
	v_cndmask_b32_e32 v1, 0, v15, vcc_lo
	s_delay_alu instid0(VALU_DEP_1)
	v_and_or_b32 v15, 0x80000000, v0, v1
.LBB47_812:                             ;   in Loop: Header=BB47_17 Depth=1
	s_or_b32 exec_lo, exec_lo, s26
                                        ; implicit-def: $vgpr0_vgpr1
.LBB47_813:                             ;   in Loop: Header=BB47_17 Depth=1
	s_and_not1_saveexec_b32 s25, s25
	s_cbranch_execz .LBB47_815
; %bb.814:                              ;   in Loop: Header=BB47_17 Depth=1
	flat_load_u8 v0, v[0:1]
	s_waitcnt vmcnt(0) lgkmcnt(0)
	v_lshlrev_b32_e32 v1, 25, v0
	v_lshlrev_b16 v0, 8, v0
	s_delay_alu instid0(VALU_DEP_2) | instskip(NEXT) | instid1(VALU_DEP_2)
	v_lshrrev_b32_e32 v15, 4, v1
	v_and_or_b32 v16, 0x7f00, v0, 0.5
	v_cmp_gt_u32_e32 vcc_lo, 0x8000000, v1
	v_bfe_i32 v0, v0, 0, 16
	s_delay_alu instid0(VALU_DEP_4) | instskip(NEXT) | instid1(VALU_DEP_1)
	v_or_b32_e32 v15, 0x70000000, v15
	v_dual_add_f32 v16, -0.5, v16 :: v_dual_mul_f32 v15, 0x7800000, v15
	s_delay_alu instid0(VALU_DEP_1) | instskip(NEXT) | instid1(VALU_DEP_1)
	v_cndmask_b32_e32 v1, v15, v16, vcc_lo
	v_and_or_b32 v15, 0x80000000, v0, v1
.LBB47_815:                             ;   in Loop: Header=BB47_17 Depth=1
	s_or_b32 exec_lo, exec_lo, s25
	s_delay_alu instid0(SALU_CYCLE_1)
	s_or_b32 s25, s22, exec_lo
                                        ; implicit-def: $vgpr16
                                        ; implicit-def: $vgpr0_vgpr1
.LBB47_816:                             ;   in Loop: Header=BB47_17 Depth=1
	s_or_saveexec_b32 s24, s24
                                        ; implicit-def: $sgpr26
                                        ; implicit-def: $sgpr28
	s_delay_alu instid0(SALU_CYCLE_1)
	s_xor_b32 exec_lo, exec_lo, s24
	s_cbranch_execz .LBB47_826
; %bb.817:                              ;   in Loop: Header=BB47_17 Depth=1
	s_mov_b32 s27, s25
	s_mov_b32 s29, exec_lo
                                        ; implicit-def: $sgpr28
                                        ; implicit-def: $sgpr26
                                        ; implicit-def: $vgpr15
	v_cmpx_lt_i16_e32 14, v16
	s_xor_b32 s29, exec_lo, s29
	s_cbranch_execz .LBB47_821
; %bb.818:                              ;   in Loop: Header=BB47_17 Depth=1
	s_mov_b32 s27, s25
	s_mov_b32 s26, exec_lo
                                        ; implicit-def: $vgpr15
	v_cmpx_eq_u16_e32 15, v16
	s_cbranch_execz .LBB47_820
; %bb.819:                              ;   in Loop: Header=BB47_17 Depth=1
	flat_load_u16 v0, v[0:1]
	s_or_b32 s27, s25, exec_lo
	s_waitcnt vmcnt(0) lgkmcnt(0)
	v_lshlrev_b32_e32 v15, 16, v0
.LBB47_820:                             ;   in Loop: Header=BB47_17 Depth=1
	s_or_b32 exec_lo, exec_lo, s26
	s_delay_alu instid0(SALU_CYCLE_1)
	s_and_not1_b32 vcc_lo, s25, exec_lo
	s_and_b32 s27, s27, exec_lo
	s_mov_b32 s26, 0
	s_mov_b32 s28, -1
	s_or_b32 s27, vcc_lo, s27
                                        ; implicit-def: $vgpr16
                                        ; implicit-def: $vgpr0_vgpr1
.LBB47_821:                             ;   in Loop: Header=BB47_17 Depth=1
	s_and_not1_saveexec_b32 s29, s29
	s_cbranch_execz .LBB47_825
; %bb.822:                              ;   in Loop: Header=BB47_17 Depth=1
	s_mov_b32 vcc_hi, s27
	s_mov_b32 s30, exec_lo
                                        ; implicit-def: $vgpr15
	v_cmpx_eq_u16_e32 11, v16
	s_cbranch_execz .LBB47_824
; %bb.823:                              ;   in Loop: Header=BB47_17 Depth=1
	flat_load_u8 v0, v[0:1]
	s_waitcnt vmcnt(0) lgkmcnt(0)
	v_cmp_ne_u16_e32 vcc_lo, 0, v0
	s_or_b32 vcc_hi, s27, exec_lo
	v_cndmask_b32_e64 v15, 0, 1.0, vcc_lo
.LBB47_824:                             ;   in Loop: Header=BB47_17 Depth=1
	s_or_b32 exec_lo, exec_lo, s30
	s_delay_alu instid0(SALU_CYCLE_1)
	s_and_not1_b32 s27, s27, exec_lo
	s_and_b32 vcc_lo, vcc_hi, exec_lo
	s_or_b32 s28, s28, exec_lo
	s_and_not1_b32 s26, s26, exec_lo
	s_or_b32 s27, s27, vcc_lo
.LBB47_825:                             ;   in Loop: Header=BB47_17 Depth=1
	s_or_b32 exec_lo, exec_lo, s29
	s_delay_alu instid0(SALU_CYCLE_1)
	s_and_not1_b32 s25, s25, exec_lo
	s_and_b32 s27, s27, exec_lo
	s_and_b32 s28, s28, exec_lo
	;; [unrolled: 1-line block ×3, first 2 shown]
	s_or_b32 s25, s25, s27
.LBB47_826:                             ;   in Loop: Header=BB47_17 Depth=1
	s_or_b32 exec_lo, exec_lo, s24
	s_delay_alu instid0(SALU_CYCLE_1)
	s_and_not1_b32 s21, s21, exec_lo
	s_and_b32 s24, s28, exec_lo
	s_and_not1_b32 s23, s23, exec_lo
	s_or_b32 s21, s21, s24
	s_and_b32 s24, s26, exec_lo
	s_and_not1_b32 s22, s22, exec_lo
	s_and_b32 s25, s25, exec_lo
	s_or_b32 s23, s23, s24
	s_or_b32 s22, s22, s25
.LBB47_827:                             ;   in Loop: Header=BB47_17 Depth=1
	s_or_b32 exec_lo, exec_lo, s20
	s_delay_alu instid0(SALU_CYCLE_1)
	s_and_b32 s21, s21, exec_lo
	s_and_b32 s20, s23, exec_lo
	;; [unrolled: 1-line block ×3, first 2 shown]
                                        ; implicit-def: $vgpr16
                                        ; implicit-def: $vgpr0_vgpr1
	s_and_not1_saveexec_b32 s19, s19
	s_cbranch_execz .LBB47_756
.LBB47_828:                             ;   in Loop: Header=BB47_17 Depth=1
	s_mov_b32 s23, exec_lo
                                        ; implicit-def: $vgpr15
	v_cmpx_lt_i16_e32 4, v16
	s_xor_b32 s23, exec_lo, s23
	s_cbranch_execz .LBB47_850
; %bb.829:                              ;   in Loop: Header=BB47_17 Depth=1
	s_mov_b32 s24, exec_lo
                                        ; implicit-def: $vgpr15
	v_cmpx_lt_i16_e32 7, v16
	s_xor_b32 s24, exec_lo, s24
	s_cbranch_execz .LBB47_839
; %bb.830:                              ;   in Loop: Header=BB47_17 Depth=1
	;; [unrolled: 6-line block ×4, first 2 shown]
	flat_load_b64 v[0:1], v[0:1]
	s_waitcnt vmcnt(0) lgkmcnt(0)
	v_cvt_f32_f64_e32 v15, v[0:1]
                                        ; implicit-def: $vgpr0_vgpr1
.LBB47_833:                             ;   in Loop: Header=BB47_17 Depth=1
	s_and_not1_saveexec_b32 s26, s26
	s_cbranch_execz .LBB47_835
; %bb.834:                              ;   in Loop: Header=BB47_17 Depth=1
	flat_load_b32 v15, v[0:1]
.LBB47_835:                             ;   in Loop: Header=BB47_17 Depth=1
	s_or_b32 exec_lo, exec_lo, s26
                                        ; implicit-def: $vgpr0_vgpr1
.LBB47_836:                             ;   in Loop: Header=BB47_17 Depth=1
	s_and_not1_saveexec_b32 s25, s25
	s_cbranch_execz .LBB47_838
; %bb.837:                              ;   in Loop: Header=BB47_17 Depth=1
	flat_load_b32 v0, v[0:1]
	s_waitcnt vmcnt(0) lgkmcnt(0)
	v_cvt_f32_f16_e32 v15, v0
.LBB47_838:                             ;   in Loop: Header=BB47_17 Depth=1
	s_or_b32 exec_lo, exec_lo, s25
                                        ; implicit-def: $vgpr0_vgpr1
                                        ; implicit-def: $vgpr16
.LBB47_839:                             ;   in Loop: Header=BB47_17 Depth=1
	s_and_not1_saveexec_b32 s24, s24
	s_cbranch_execz .LBB47_849
; %bb.840:                              ;   in Loop: Header=BB47_17 Depth=1
	s_mov_b32 s25, exec_lo
                                        ; implicit-def: $vgpr15
	v_cmpx_lt_i16_e32 5, v16
	s_xor_b32 s25, exec_lo, s25
	s_cbranch_execz .LBB47_846
; %bb.841:                              ;   in Loop: Header=BB47_17 Depth=1
	s_mov_b32 s26, exec_lo
                                        ; implicit-def: $vgpr15
	v_cmpx_lt_i16_e32 6, v16
	s_xor_b32 s26, exec_lo, s26
	s_cbranch_execz .LBB47_843
; %bb.842:                              ;   in Loop: Header=BB47_17 Depth=1
	flat_load_b64 v[0:1], v[0:1]
	s_waitcnt vmcnt(0) lgkmcnt(0)
	v_cvt_f32_f64_e32 v15, v[0:1]
                                        ; implicit-def: $vgpr0_vgpr1
.LBB47_843:                             ;   in Loop: Header=BB47_17 Depth=1
	s_and_not1_saveexec_b32 s26, s26
	s_cbranch_execz .LBB47_845
; %bb.844:                              ;   in Loop: Header=BB47_17 Depth=1
	s_waitcnt vmcnt(0) lgkmcnt(0)
	flat_load_b32 v15, v[0:1]
.LBB47_845:                             ;   in Loop: Header=BB47_17 Depth=1
	s_or_b32 exec_lo, exec_lo, s26
                                        ; implicit-def: $vgpr0_vgpr1
.LBB47_846:                             ;   in Loop: Header=BB47_17 Depth=1
	s_and_not1_saveexec_b32 s25, s25
	s_cbranch_execz .LBB47_848
; %bb.847:                              ;   in Loop: Header=BB47_17 Depth=1
	flat_load_u16 v0, v[0:1]
	s_waitcnt vmcnt(0) lgkmcnt(0)
	v_cvt_f32_f16_e32 v15, v0
.LBB47_848:                             ;   in Loop: Header=BB47_17 Depth=1
	s_or_b32 exec_lo, exec_lo, s25
.LBB47_849:                             ;   in Loop: Header=BB47_17 Depth=1
	s_delay_alu instid0(SALU_CYCLE_1)
	s_or_b32 exec_lo, exec_lo, s24
                                        ; implicit-def: $vgpr16
                                        ; implicit-def: $vgpr0_vgpr1
.LBB47_850:                             ;   in Loop: Header=BB47_17 Depth=1
	s_and_not1_saveexec_b32 s23, s23
	s_cbranch_execz .LBB47_868
; %bb.851:                              ;   in Loop: Header=BB47_17 Depth=1
	s_mov_b32 s24, exec_lo
                                        ; implicit-def: $vgpr15
	v_cmpx_lt_i16_e32 1, v16
	s_xor_b32 s24, exec_lo, s24
	s_cbranch_execz .LBB47_861
; %bb.852:                              ;   in Loop: Header=BB47_17 Depth=1
	s_mov_b32 s25, exec_lo
                                        ; implicit-def: $vgpr15
	v_cmpx_lt_i16_e32 2, v16
	s_xor_b32 s25, exec_lo, s25
	;; [unrolled: 6-line block ×3, first 2 shown]
	s_cbranch_execz .LBB47_855
; %bb.854:                              ;   in Loop: Header=BB47_17 Depth=1
	flat_load_b64 v[0:1], v[0:1]
	s_waitcnt vmcnt(0) lgkmcnt(0)
	v_xor_b32_e32 v15, v0, v1
	v_cls_i32_e32 v16, v1
	s_delay_alu instid0(VALU_DEP_2) | instskip(NEXT) | instid1(VALU_DEP_2)
	v_ashrrev_i32_e32 v15, 31, v15
	v_add_nc_u32_e32 v16, -1, v16
	s_delay_alu instid0(VALU_DEP_2) | instskip(NEXT) | instid1(VALU_DEP_1)
	v_add_nc_u32_e32 v15, 32, v15
	v_min_u32_e32 v15, v16, v15
	s_delay_alu instid0(VALU_DEP_1) | instskip(NEXT) | instid1(VALU_DEP_1)
	v_lshlrev_b64 v[0:1], v15, v[0:1]
	v_min_u32_e32 v0, 1, v0
	s_delay_alu instid0(VALU_DEP_1) | instskip(SKIP_1) | instid1(VALU_DEP_2)
	v_or_b32_e32 v0, v1, v0
	v_sub_nc_u32_e32 v1, 32, v15
	v_cvt_f32_i32_e32 v0, v0
	s_delay_alu instid0(VALU_DEP_1)
	v_ldexp_f32 v15, v0, v1
                                        ; implicit-def: $vgpr0_vgpr1
.LBB47_855:                             ;   in Loop: Header=BB47_17 Depth=1
	s_and_not1_saveexec_b32 s26, s26
	s_cbranch_execz .LBB47_857
; %bb.856:                              ;   in Loop: Header=BB47_17 Depth=1
	flat_load_b32 v0, v[0:1]
	s_waitcnt vmcnt(0) lgkmcnt(0)
	v_cvt_f32_i32_e32 v15, v0
.LBB47_857:                             ;   in Loop: Header=BB47_17 Depth=1
	s_or_b32 exec_lo, exec_lo, s26
                                        ; implicit-def: $vgpr0_vgpr1
.LBB47_858:                             ;   in Loop: Header=BB47_17 Depth=1
	s_and_not1_saveexec_b32 s25, s25
	s_cbranch_execz .LBB47_860
; %bb.859:                              ;   in Loop: Header=BB47_17 Depth=1
	flat_load_i16 v0, v[0:1]
	s_waitcnt vmcnt(0) lgkmcnt(0)
	v_cvt_f32_i32_e32 v15, v0
.LBB47_860:                             ;   in Loop: Header=BB47_17 Depth=1
	s_or_b32 exec_lo, exec_lo, s25
                                        ; implicit-def: $vgpr0_vgpr1
                                        ; implicit-def: $vgpr16
.LBB47_861:                             ;   in Loop: Header=BB47_17 Depth=1
	s_and_not1_saveexec_b32 s24, s24
	s_cbranch_execz .LBB47_867
; %bb.862:                              ;   in Loop: Header=BB47_17 Depth=1
	s_mov_b32 s25, exec_lo
                                        ; implicit-def: $vgpr15
	v_cmpx_lt_i16_e32 0, v16
	s_xor_b32 s25, exec_lo, s25
	s_cbranch_execz .LBB47_864
; %bb.863:                              ;   in Loop: Header=BB47_17 Depth=1
	flat_load_i8 v0, v[0:1]
	s_waitcnt vmcnt(0) lgkmcnt(0)
	v_cvt_f32_i32_e32 v15, v0
                                        ; implicit-def: $vgpr0_vgpr1
.LBB47_864:                             ;   in Loop: Header=BB47_17 Depth=1
	s_and_not1_saveexec_b32 s25, s25
	s_cbranch_execz .LBB47_866
; %bb.865:                              ;   in Loop: Header=BB47_17 Depth=1
	flat_load_u8 v0, v[0:1]
	s_waitcnt vmcnt(0) lgkmcnt(0)
	v_cvt_f32_ubyte0_e32 v15, v0
.LBB47_866:                             ;   in Loop: Header=BB47_17 Depth=1
	s_or_b32 exec_lo, exec_lo, s25
.LBB47_867:                             ;   in Loop: Header=BB47_17 Depth=1
	s_delay_alu instid0(SALU_CYCLE_1)
	s_or_b32 exec_lo, exec_lo, s24
.LBB47_868:                             ;   in Loop: Header=BB47_17 Depth=1
	s_delay_alu instid0(SALU_CYCLE_1) | instskip(NEXT) | instid1(SALU_CYCLE_1)
	s_or_b32 exec_lo, exec_lo, s23
	s_and_not1_b32 s21, s21, exec_lo
	s_and_not1_b32 s20, s20, exec_lo
	s_or_b32 s22, s22, exec_lo
	s_or_b32 exec_lo, exec_lo, s19
	s_mov_b32 s19, 0
	s_and_saveexec_b32 s23, s22
	s_cbranch_execnz .LBB47_757
	s_branch .LBB47_758
.LBB47_869:                             ;   in Loop: Header=BB47_17 Depth=1
	s_mov_b32 s17, exec_lo
                                        ; implicit-def: $sgpr23
                                        ; implicit-def: $sgpr18
                                        ; implicit-def: $vgpr16
	v_cmpx_lt_i16_e32 25, v7
	s_xor_b32 s17, exec_lo, s17
	s_cbranch_execz .LBB47_901
; %bb.870:                              ;   in Loop: Header=BB47_17 Depth=1
	s_mov_b32 s18, exec_lo
                                        ; implicit-def: $sgpr23
                                        ; implicit-def: $sgpr24
                                        ; implicit-def: $vgpr16
	v_cmpx_lt_i16_e32 28, v7
	s_xor_b32 s18, exec_lo, s18
	s_cbranch_execz .LBB47_886
; %bb.871:                              ;   in Loop: Header=BB47_17 Depth=1
	s_mov_b32 s25, 0
	s_mov_b32 s22, exec_lo
                                        ; implicit-def: $sgpr23
                                        ; implicit-def: $sgpr24
                                        ; implicit-def: $vgpr16
	v_cmpx_lt_i16_e32 43, v7
	s_xor_b32 s22, exec_lo, s22
	s_cbranch_execz .LBB47_881
; %bb.872:                              ;   in Loop: Header=BB47_17 Depth=1
	s_mov_b32 s24, exec_lo
                                        ; implicit-def: $sgpr23
                                        ; implicit-def: $sgpr26
                                        ; implicit-def: $vgpr16
	v_cmpx_lt_i16_e32 45, v7
	s_xor_b32 s24, exec_lo, s24
	s_cbranch_execz .LBB47_876
; %bb.873:                              ;   in Loop: Header=BB47_17 Depth=1
	s_mov_b32 s23, 0
	s_mov_b32 s26, exec_lo
                                        ; implicit-def: $vgpr16
	v_cmpx_eq_u16_e32 46, v7
	s_cbranch_execz .LBB47_875
; %bb.874:                              ;   in Loop: Header=BB47_17 Depth=1
	flat_load_b32 v0, v[0:1]
	s_mov_b32 s25, exec_lo
	s_waitcnt vmcnt(0) lgkmcnt(0)
	v_lshlrev_b32_e32 v16, 16, v0
.LBB47_875:                             ;   in Loop: Header=BB47_17 Depth=1
	s_or_b32 exec_lo, exec_lo, s26
	s_mov_b32 s26, -1
	s_and_b32 s25, s25, exec_lo
                                        ; implicit-def: $vgpr0_vgpr1
.LBB47_876:                             ;   in Loop: Header=BB47_17 Depth=1
	s_and_not1_saveexec_b32 s24, s24
	s_cbranch_execz .LBB47_880
; %bb.877:                              ;   in Loop: Header=BB47_17 Depth=1
	s_mov_b32 s28, s25
	s_mov_b32 s27, exec_lo
                                        ; implicit-def: $vgpr16
	v_cmpx_eq_u16_e32 44, v7
	s_cbranch_execz .LBB47_879
; %bb.878:                              ;   in Loop: Header=BB47_17 Depth=1
	flat_load_u8 v0, v[0:1]
	s_or_b32 s28, s25, exec_lo
	s_waitcnt vmcnt(0) lgkmcnt(0)
	v_lshlrev_b32_e32 v1, 23, v0
	v_cmp_ne_u32_e32 vcc_lo, 0xff, v0
	s_delay_alu instid0(VALU_DEP_2) | instskip(SKIP_1) | instid1(VALU_DEP_2)
	v_cndmask_b32_e32 v1, 0x7f800001, v1, vcc_lo
	v_cmp_ne_u32_e32 vcc_lo, 0, v0
	v_cndmask_b32_e32 v16, 0x400000, v1, vcc_lo
.LBB47_879:                             ;   in Loop: Header=BB47_17 Depth=1
	s_or_b32 exec_lo, exec_lo, s27
	s_delay_alu instid0(SALU_CYCLE_1)
	s_and_not1_b32 s25, s25, exec_lo
	s_and_b32 s27, s28, exec_lo
	s_and_not1_b32 s23, s23, exec_lo
	s_or_b32 s26, s26, exec_lo
	s_or_b32 s25, s25, s27
.LBB47_880:                             ;   in Loop: Header=BB47_17 Depth=1
	s_or_b32 exec_lo, exec_lo, s24
	s_delay_alu instid0(SALU_CYCLE_1)
	s_and_b32 s24, s23, exec_lo
	s_and_b32 s23, s26, exec_lo
	;; [unrolled: 1-line block ×3, first 2 shown]
                                        ; implicit-def: $vgpr0_vgpr1
.LBB47_881:                             ;   in Loop: Header=BB47_17 Depth=1
	s_and_not1_saveexec_b32 s22, s22
	s_cbranch_execz .LBB47_885
; %bb.882:                              ;   in Loop: Header=BB47_17 Depth=1
	s_mov_b32 s27, s25
	s_mov_b32 s26, exec_lo
                                        ; implicit-def: $vgpr16
	v_cmpx_eq_u16_e32 29, v7
	s_cbranch_execz .LBB47_884
; %bb.883:                              ;   in Loop: Header=BB47_17 Depth=1
	flat_load_b64 v[0:1], v[0:1]
	s_or_b32 s27, s25, exec_lo
	s_waitcnt vmcnt(0) lgkmcnt(0)
	v_clz_i32_u32_e32 v14, v1
	s_delay_alu instid0(VALU_DEP_1) | instskip(NEXT) | instid1(VALU_DEP_1)
	v_min_u32_e32 v14, 32, v14
	v_lshlrev_b64 v[0:1], v14, v[0:1]
	s_delay_alu instid0(VALU_DEP_1) | instskip(NEXT) | instid1(VALU_DEP_1)
	v_min_u32_e32 v0, 1, v0
	v_or_b32_e32 v0, v1, v0
	v_sub_nc_u32_e32 v1, 32, v14
	s_delay_alu instid0(VALU_DEP_2) | instskip(NEXT) | instid1(VALU_DEP_1)
	v_cvt_f32_u32_e32 v0, v0
	v_ldexp_f32 v16, v0, v1
.LBB47_884:                             ;   in Loop: Header=BB47_17 Depth=1
	s_or_b32 exec_lo, exec_lo, s26
	s_delay_alu instid0(SALU_CYCLE_1)
	s_and_not1_b32 s25, s25, exec_lo
	s_and_b32 s26, s27, exec_lo
	s_and_not1_b32 s24, s24, exec_lo
	s_or_b32 s23, s23, exec_lo
	s_or_b32 s25, s25, s26
.LBB47_885:                             ;   in Loop: Header=BB47_17 Depth=1
	s_or_b32 exec_lo, exec_lo, s22
	s_delay_alu instid0(SALU_CYCLE_1)
	s_and_b32 s24, s24, exec_lo
	s_and_b32 s23, s23, exec_lo
	;; [unrolled: 1-line block ×3, first 2 shown]
                                        ; implicit-def: $vgpr0_vgpr1
.LBB47_886:                             ;   in Loop: Header=BB47_17 Depth=1
	s_and_not1_saveexec_b32 s18, s18
	s_cbranch_execz .LBB47_900
; %bb.887:                              ;   in Loop: Header=BB47_17 Depth=1
	s_mov_b32 s25, exec_lo
                                        ; implicit-def: $vgpr16
	v_cmpx_lt_i16_e32 26, v7
	s_xor_b32 s25, exec_lo, s25
	s_cbranch_execz .LBB47_893
; %bb.888:                              ;   in Loop: Header=BB47_17 Depth=1
	s_mov_b32 s26, exec_lo
                                        ; implicit-def: $vgpr16
	v_cmpx_lt_i16_e32 27, v7
	s_xor_b32 s26, exec_lo, s26
	s_cbranch_execz .LBB47_890
; %bb.889:                              ;   in Loop: Header=BB47_17 Depth=1
	flat_load_b32 v0, v[0:1]
	s_waitcnt vmcnt(0) lgkmcnt(0)
	v_cvt_f32_u32_e32 v16, v0
                                        ; implicit-def: $vgpr0_vgpr1
.LBB47_890:                             ;   in Loop: Header=BB47_17 Depth=1
	s_and_not1_saveexec_b32 s26, s26
	s_cbranch_execz .LBB47_892
; %bb.891:                              ;   in Loop: Header=BB47_17 Depth=1
	flat_load_u16 v0, v[0:1]
	s_waitcnt vmcnt(0) lgkmcnt(0)
	v_cvt_f32_u32_e32 v16, v0
.LBB47_892:                             ;   in Loop: Header=BB47_17 Depth=1
	s_or_b32 exec_lo, exec_lo, s26
                                        ; implicit-def: $vgpr0_vgpr1
.LBB47_893:                             ;   in Loop: Header=BB47_17 Depth=1
	s_and_not1_saveexec_b32 s25, s25
	s_cbranch_execz .LBB47_899
; %bb.894:                              ;   in Loop: Header=BB47_17 Depth=1
	flat_load_u8 v0, v[0:1]
	s_mov_b32 s26, 0
	s_mov_b32 s28, exec_lo
                                        ; implicit-def: $sgpr27
	s_waitcnt vmcnt(0) lgkmcnt(0)
	v_cmpx_lt_i16_e32 0x7f, v0
	s_xor_b32 s28, exec_lo, s28
	s_cbranch_execnz .LBB47_1669
; %bb.895:                              ;   in Loop: Header=BB47_17 Depth=1
	s_or_saveexec_b32 s28, s28
	v_mov_b32_e32 v16, s27
	s_xor_b32 exec_lo, exec_lo, s28
	s_cbranch_execnz .LBB47_1672
.LBB47_896:                             ;   in Loop: Header=BB47_17 Depth=1
	s_or_b32 exec_lo, exec_lo, s28
	s_and_saveexec_b32 s27, s26
	s_cbranch_execz .LBB47_898
.LBB47_897:                             ;   in Loop: Header=BB47_17 Depth=1
	v_and_b32_e32 v1, 0xffff, v0
	v_lshlrev_b32_e32 v0, 24, v0
	s_delay_alu instid0(VALU_DEP_2) | instskip(NEXT) | instid1(VALU_DEP_2)
	v_and_b32_e32 v14, 7, v1
	v_and_b32_e32 v0, 0x80000000, v0
	s_delay_alu instid0(VALU_DEP_2) | instskip(NEXT) | instid1(VALU_DEP_1)
	v_clz_i32_u32_e32 v16, v14
	v_min_u32_e32 v16, 32, v16
	s_delay_alu instid0(VALU_DEP_1) | instskip(SKIP_1) | instid1(VALU_DEP_2)
	v_subrev_nc_u32_e32 v17, 28, v16
	v_sub_nc_u32_e32 v16, 29, v16
	v_lshlrev_b32_e32 v17, v17, v1
	v_bfe_u32 v1, v1, 3, 4
	s_delay_alu instid0(VALU_DEP_2) | instskip(NEXT) | instid1(VALU_DEP_2)
	v_and_b32_e32 v17, 7, v17
	v_cmp_eq_u32_e32 vcc_lo, 0, v1
	s_delay_alu instid0(VALU_DEP_2) | instskip(NEXT) | instid1(VALU_DEP_1)
	v_dual_cndmask_b32 v1, v1, v16 :: v_dual_cndmask_b32 v14, v14, v17
	v_lshl_add_u32 v1, v1, 23, 0x3b800000
	s_delay_alu instid0(VALU_DEP_2) | instskip(NEXT) | instid1(VALU_DEP_1)
	v_lshlrev_b32_e32 v14, 20, v14
	v_or3_b32 v16, v0, v1, v14
.LBB47_898:                             ;   in Loop: Header=BB47_17 Depth=1
	s_or_b32 exec_lo, exec_lo, s27
.LBB47_899:                             ;   in Loop: Header=BB47_17 Depth=1
	s_delay_alu instid0(SALU_CYCLE_1) | instskip(NEXT) | instid1(SALU_CYCLE_1)
	s_or_b32 exec_lo, exec_lo, s25
	s_and_not1_b32 s24, s24, exec_lo
	s_and_not1_b32 s23, s23, exec_lo
	s_or_b32 s22, s22, exec_lo
.LBB47_900:                             ;   in Loop: Header=BB47_17 Depth=1
	s_or_b32 exec_lo, exec_lo, s18
	s_delay_alu instid0(SALU_CYCLE_1)
	s_and_b32 s18, s24, exec_lo
	s_and_b32 s23, s23, exec_lo
	;; [unrolled: 1-line block ×3, first 2 shown]
                                        ; implicit-def: $vgpr0_vgpr1
.LBB47_901:                             ;   in Loop: Header=BB47_17 Depth=1
	s_and_not1_saveexec_b32 s17, s17
	s_cbranch_execz .LBB47_927
; %bb.902:                              ;   in Loop: Header=BB47_17 Depth=1
	s_mov_b32 s25, s22
	s_mov_b32 s24, exec_lo
                                        ; implicit-def: $vgpr16
	v_cmpx_lt_i16_e32 22, v7
	s_xor_b32 s24, exec_lo, s24
	s_cbranch_execz .LBB47_916
; %bb.903:                              ;   in Loop: Header=BB47_17 Depth=1
	s_mov_b32 s25, exec_lo
                                        ; implicit-def: $vgpr16
	v_cmpx_lt_i16_e32 23, v7
	s_xor_b32 s25, exec_lo, s25
	s_cbranch_execz .LBB47_913
; %bb.904:                              ;   in Loop: Header=BB47_17 Depth=1
	;; [unrolled: 6-line block ×3, first 2 shown]
	flat_load_u8 v0, v[0:1]
	s_mov_b32 s27, 0
	s_mov_b32 s29, exec_lo
                                        ; implicit-def: $sgpr28
	s_waitcnt vmcnt(0) lgkmcnt(0)
	v_cmpx_lt_i16_e32 0x7f, v0
	s_xor_b32 s29, exec_lo, s29
	s_cbranch_execnz .LBB47_1888
; %bb.906:                              ;   in Loop: Header=BB47_17 Depth=1
	s_or_saveexec_b32 s29, s29
	v_mov_b32_e32 v16, s28
	s_xor_b32 exec_lo, exec_lo, s29
	s_cbranch_execnz .LBB47_1891
.LBB47_907:                             ;   in Loop: Header=BB47_17 Depth=1
	s_or_b32 exec_lo, exec_lo, s29
	s_and_saveexec_b32 s28, s27
	s_cbranch_execz .LBB47_909
.LBB47_908:                             ;   in Loop: Header=BB47_17 Depth=1
	v_and_b32_e32 v1, 0xffff, v0
	v_lshlrev_b32_e32 v0, 24, v0
	s_delay_alu instid0(VALU_DEP_2) | instskip(NEXT) | instid1(VALU_DEP_2)
	v_and_b32_e32 v14, 3, v1
	v_and_b32_e32 v0, 0x80000000, v0
	s_delay_alu instid0(VALU_DEP_2) | instskip(NEXT) | instid1(VALU_DEP_1)
	v_clz_i32_u32_e32 v16, v14
	v_min_u32_e32 v16, 32, v16
	s_delay_alu instid0(VALU_DEP_1) | instskip(SKIP_1) | instid1(VALU_DEP_2)
	v_subrev_nc_u32_e32 v17, 29, v16
	v_sub_nc_u32_e32 v16, 30, v16
	v_lshlrev_b32_e32 v17, v17, v1
	v_bfe_u32 v1, v1, 2, 5
	s_delay_alu instid0(VALU_DEP_2) | instskip(NEXT) | instid1(VALU_DEP_2)
	v_and_b32_e32 v17, 3, v17
	v_cmp_eq_u32_e32 vcc_lo, 0, v1
	s_delay_alu instid0(VALU_DEP_2) | instskip(NEXT) | instid1(VALU_DEP_1)
	v_dual_cndmask_b32 v1, v1, v16 :: v_dual_cndmask_b32 v14, v14, v17
	v_lshl_add_u32 v1, v1, 23, 0x37800000
	s_delay_alu instid0(VALU_DEP_2) | instskip(NEXT) | instid1(VALU_DEP_1)
	v_lshlrev_b32_e32 v14, 21, v14
	v_or3_b32 v16, v0, v1, v14
.LBB47_909:                             ;   in Loop: Header=BB47_17 Depth=1
	s_or_b32 exec_lo, exec_lo, s28
                                        ; implicit-def: $vgpr0_vgpr1
.LBB47_910:                             ;   in Loop: Header=BB47_17 Depth=1
	s_and_not1_saveexec_b32 s26, s26
	s_cbranch_execz .LBB47_912
; %bb.911:                              ;   in Loop: Header=BB47_17 Depth=1
	flat_load_u8 v0, v[0:1]
	s_waitcnt vmcnt(0) lgkmcnt(0)
	v_lshlrev_b32_e32 v0, 24, v0
	s_delay_alu instid0(VALU_DEP_1) | instskip(NEXT) | instid1(VALU_DEP_1)
	v_and_b32_e32 v1, 0x7f000000, v0
	v_clz_i32_u32_e32 v14, v1
	v_add_nc_u32_e32 v17, 0x1000000, v1
	v_cmp_ne_u32_e32 vcc_lo, 0, v1
	s_delay_alu instid0(VALU_DEP_3) | instskip(NEXT) | instid1(VALU_DEP_1)
	v_min_u32_e32 v14, 32, v14
	v_sub_nc_u32_e64 v14, v14, 4 clamp
	s_delay_alu instid0(VALU_DEP_1) | instskip(SKIP_1) | instid1(VALU_DEP_2)
	v_lshlrev_b32_e32 v16, v14, v1
	v_lshlrev_b32_e32 v14, 23, v14
	v_lshrrev_b32_e32 v16, 4, v16
	s_delay_alu instid0(VALU_DEP_1) | instskip(SKIP_1) | instid1(VALU_DEP_2)
	v_sub_nc_u32_e32 v14, v16, v14
	v_ashrrev_i32_e32 v16, 8, v17
	v_add_nc_u32_e32 v14, 0x3c000000, v14
	s_delay_alu instid0(VALU_DEP_1) | instskip(NEXT) | instid1(VALU_DEP_1)
	v_and_or_b32 v14, 0x7f800000, v16, v14
	v_cndmask_b32_e32 v1, 0, v14, vcc_lo
	s_delay_alu instid0(VALU_DEP_1)
	v_and_or_b32 v16, 0x80000000, v0, v1
.LBB47_912:                             ;   in Loop: Header=BB47_17 Depth=1
	s_or_b32 exec_lo, exec_lo, s26
                                        ; implicit-def: $vgpr0_vgpr1
.LBB47_913:                             ;   in Loop: Header=BB47_17 Depth=1
	s_and_not1_saveexec_b32 s25, s25
	s_cbranch_execz .LBB47_915
; %bb.914:                              ;   in Loop: Header=BB47_17 Depth=1
	flat_load_u8 v0, v[0:1]
	s_waitcnt vmcnt(0) lgkmcnt(0)
	v_lshlrev_b32_e32 v1, 25, v0
	v_lshlrev_b16 v0, 8, v0
	s_delay_alu instid0(VALU_DEP_2) | instskip(NEXT) | instid1(VALU_DEP_2)
	v_lshrrev_b32_e32 v14, 4, v1
	v_and_or_b32 v16, 0x7f00, v0, 0.5
	v_bfe_i32 v0, v0, 0, 16
	s_delay_alu instid0(VALU_DEP_3) | instskip(NEXT) | instid1(VALU_DEP_3)
	v_or_b32_e32 v14, 0x70000000, v14
	v_add_f32_e32 v16, -0.5, v16
	s_delay_alu instid0(VALU_DEP_2) | instskip(SKIP_1) | instid1(VALU_DEP_2)
	v_mul_f32_e32 v14, 0x7800000, v14
	v_cmp_gt_u32_e32 vcc_lo, 0x8000000, v1
	v_cndmask_b32_e32 v1, v14, v16, vcc_lo
	s_delay_alu instid0(VALU_DEP_1)
	v_and_or_b32 v16, 0x80000000, v0, v1
.LBB47_915:                             ;   in Loop: Header=BB47_17 Depth=1
	s_or_b32 exec_lo, exec_lo, s25
	s_delay_alu instid0(SALU_CYCLE_1)
	s_or_b32 s25, s22, exec_lo
                                        ; implicit-def: $vgpr0_vgpr1
.LBB47_916:                             ;   in Loop: Header=BB47_17 Depth=1
	s_or_saveexec_b32 s24, s24
                                        ; implicit-def: $sgpr26
                                        ; implicit-def: $sgpr28
	s_delay_alu instid0(SALU_CYCLE_1)
	s_xor_b32 exec_lo, exec_lo, s24
	s_cbranch_execz .LBB47_926
; %bb.917:                              ;   in Loop: Header=BB47_17 Depth=1
	s_mov_b32 s27, s25
	s_mov_b32 s29, exec_lo
                                        ; implicit-def: $sgpr28
                                        ; implicit-def: $sgpr26
                                        ; implicit-def: $vgpr16
	v_cmpx_lt_i16_e32 14, v7
	s_xor_b32 s29, exec_lo, s29
	s_cbranch_execz .LBB47_921
; %bb.918:                              ;   in Loop: Header=BB47_17 Depth=1
	s_mov_b32 s27, s25
	s_mov_b32 s26, exec_lo
                                        ; implicit-def: $vgpr16
	v_cmpx_eq_u16_e32 15, v7
	s_cbranch_execz .LBB47_920
; %bb.919:                              ;   in Loop: Header=BB47_17 Depth=1
	flat_load_u16 v0, v[0:1]
	s_or_b32 s27, s25, exec_lo
	s_waitcnt vmcnt(0) lgkmcnt(0)
	v_lshlrev_b32_e32 v16, 16, v0
.LBB47_920:                             ;   in Loop: Header=BB47_17 Depth=1
	s_or_b32 exec_lo, exec_lo, s26
	s_delay_alu instid0(SALU_CYCLE_1)
	s_and_not1_b32 vcc_lo, s25, exec_lo
	s_and_b32 s27, s27, exec_lo
	s_mov_b32 s26, -1
	s_mov_b32 s28, 0
	s_or_b32 s27, vcc_lo, s27
                                        ; implicit-def: $vgpr0_vgpr1
.LBB47_921:                             ;   in Loop: Header=BB47_17 Depth=1
	s_and_not1_saveexec_b32 s29, s29
	s_cbranch_execz .LBB47_925
; %bb.922:                              ;   in Loop: Header=BB47_17 Depth=1
	s_mov_b32 vcc_hi, s27
	s_mov_b32 s30, exec_lo
                                        ; implicit-def: $vgpr16
	v_cmpx_eq_u16_e32 11, v7
	s_cbranch_execz .LBB47_924
; %bb.923:                              ;   in Loop: Header=BB47_17 Depth=1
	flat_load_u8 v0, v[0:1]
	s_waitcnt vmcnt(0) lgkmcnt(0)
	v_cmp_ne_u16_e32 vcc_lo, 0, v0
	s_or_b32 vcc_hi, s27, exec_lo
	v_cndmask_b32_e64 v16, 0, 1.0, vcc_lo
.LBB47_924:                             ;   in Loop: Header=BB47_17 Depth=1
	s_or_b32 exec_lo, exec_lo, s30
	s_delay_alu instid0(SALU_CYCLE_1)
	s_and_not1_b32 s27, s27, exec_lo
	s_and_b32 vcc_lo, vcc_hi, exec_lo
	s_and_not1_b32 s28, s28, exec_lo
	s_or_b32 s26, s26, exec_lo
	s_or_b32 s27, s27, vcc_lo
.LBB47_925:                             ;   in Loop: Header=BB47_17 Depth=1
	s_or_b32 exec_lo, exec_lo, s29
	s_delay_alu instid0(SALU_CYCLE_1)
	s_and_not1_b32 s25, s25, exec_lo
	s_and_b32 s27, s27, exec_lo
	s_and_b32 s28, s28, exec_lo
	;; [unrolled: 1-line block ×3, first 2 shown]
	s_or_b32 s25, s25, s27
.LBB47_926:                             ;   in Loop: Header=BB47_17 Depth=1
	s_or_b32 exec_lo, exec_lo, s24
	s_delay_alu instid0(SALU_CYCLE_1)
	s_and_not1_b32 s18, s18, exec_lo
	s_and_b32 s24, s28, exec_lo
	s_and_not1_b32 s23, s23, exec_lo
	s_or_b32 s18, s18, s24
	s_and_b32 s24, s26, exec_lo
	s_and_not1_b32 s22, s22, exec_lo
	s_and_b32 s25, s25, exec_lo
	s_or_b32 s23, s23, s24
	s_or_b32 s22, s22, s25
.LBB47_927:                             ;   in Loop: Header=BB47_17 Depth=1
	s_or_b32 exec_lo, exec_lo, s17
	s_delay_alu instid0(SALU_CYCLE_1)
	s_and_b32 s18, s18, exec_lo
	s_and_b32 s17, s23, exec_lo
	;; [unrolled: 1-line block ×3, first 2 shown]
                                        ; implicit-def: $vgpr0_vgpr1
	s_and_not1_saveexec_b32 s21, s21
	s_cbranch_execz .LBB47_764
.LBB47_928:                             ;   in Loop: Header=BB47_17 Depth=1
	s_mov_b32 s23, exec_lo
                                        ; implicit-def: $vgpr16
	v_cmpx_lt_i16_e32 4, v7
	s_xor_b32 s23, exec_lo, s23
	s_cbranch_execz .LBB47_950
; %bb.929:                              ;   in Loop: Header=BB47_17 Depth=1
	s_mov_b32 s24, exec_lo
                                        ; implicit-def: $vgpr16
	v_cmpx_lt_i16_e32 7, v7
	s_xor_b32 s24, exec_lo, s24
	s_cbranch_execz .LBB47_939
; %bb.930:                              ;   in Loop: Header=BB47_17 Depth=1
	;; [unrolled: 6-line block ×4, first 2 shown]
	flat_load_b64 v[0:1], v[0:1]
	s_waitcnt vmcnt(0) lgkmcnt(0)
	v_cvt_f32_f64_e32 v16, v[0:1]
                                        ; implicit-def: $vgpr0_vgpr1
.LBB47_933:                             ;   in Loop: Header=BB47_17 Depth=1
	s_and_not1_saveexec_b32 s26, s26
	s_cbranch_execz .LBB47_935
; %bb.934:                              ;   in Loop: Header=BB47_17 Depth=1
	flat_load_b32 v16, v[0:1]
.LBB47_935:                             ;   in Loop: Header=BB47_17 Depth=1
	s_or_b32 exec_lo, exec_lo, s26
                                        ; implicit-def: $vgpr0_vgpr1
.LBB47_936:                             ;   in Loop: Header=BB47_17 Depth=1
	s_and_not1_saveexec_b32 s25, s25
	s_cbranch_execz .LBB47_938
; %bb.937:                              ;   in Loop: Header=BB47_17 Depth=1
	flat_load_b32 v0, v[0:1]
	s_waitcnt vmcnt(0) lgkmcnt(0)
	v_cvt_f32_f16_e32 v16, v0
.LBB47_938:                             ;   in Loop: Header=BB47_17 Depth=1
	s_or_b32 exec_lo, exec_lo, s25
                                        ; implicit-def: $vgpr0_vgpr1
.LBB47_939:                             ;   in Loop: Header=BB47_17 Depth=1
	s_and_not1_saveexec_b32 s24, s24
	s_cbranch_execz .LBB47_949
; %bb.940:                              ;   in Loop: Header=BB47_17 Depth=1
	s_mov_b32 s25, exec_lo
                                        ; implicit-def: $vgpr16
	v_cmpx_lt_i16_e32 5, v7
	s_xor_b32 s25, exec_lo, s25
	s_cbranch_execz .LBB47_946
; %bb.941:                              ;   in Loop: Header=BB47_17 Depth=1
	s_mov_b32 s26, exec_lo
                                        ; implicit-def: $vgpr16
	v_cmpx_lt_i16_e32 6, v7
	s_xor_b32 s26, exec_lo, s26
	s_cbranch_execz .LBB47_943
; %bb.942:                              ;   in Loop: Header=BB47_17 Depth=1
	flat_load_b64 v[0:1], v[0:1]
	s_waitcnt vmcnt(0) lgkmcnt(0)
	v_cvt_f32_f64_e32 v16, v[0:1]
                                        ; implicit-def: $vgpr0_vgpr1
.LBB47_943:                             ;   in Loop: Header=BB47_17 Depth=1
	s_and_not1_saveexec_b32 s26, s26
	s_cbranch_execz .LBB47_945
; %bb.944:                              ;   in Loop: Header=BB47_17 Depth=1
	s_waitcnt vmcnt(0) lgkmcnt(0)
	flat_load_b32 v16, v[0:1]
.LBB47_945:                             ;   in Loop: Header=BB47_17 Depth=1
	s_or_b32 exec_lo, exec_lo, s26
                                        ; implicit-def: $vgpr0_vgpr1
.LBB47_946:                             ;   in Loop: Header=BB47_17 Depth=1
	s_and_not1_saveexec_b32 s25, s25
	s_cbranch_execz .LBB47_948
; %bb.947:                              ;   in Loop: Header=BB47_17 Depth=1
	flat_load_u16 v0, v[0:1]
	s_waitcnt vmcnt(0) lgkmcnt(0)
	v_cvt_f32_f16_e32 v16, v0
.LBB47_948:                             ;   in Loop: Header=BB47_17 Depth=1
	s_or_b32 exec_lo, exec_lo, s25
.LBB47_949:                             ;   in Loop: Header=BB47_17 Depth=1
	s_delay_alu instid0(SALU_CYCLE_1)
	s_or_b32 exec_lo, exec_lo, s24
                                        ; implicit-def: $vgpr0_vgpr1
.LBB47_950:                             ;   in Loop: Header=BB47_17 Depth=1
	s_and_not1_saveexec_b32 s23, s23
	s_cbranch_execz .LBB47_968
; %bb.951:                              ;   in Loop: Header=BB47_17 Depth=1
	s_mov_b32 s24, exec_lo
                                        ; implicit-def: $vgpr16
	v_cmpx_lt_i16_e32 1, v7
	s_xor_b32 s24, exec_lo, s24
	s_cbranch_execz .LBB47_961
; %bb.952:                              ;   in Loop: Header=BB47_17 Depth=1
	s_mov_b32 s25, exec_lo
                                        ; implicit-def: $vgpr16
	v_cmpx_lt_i16_e32 2, v7
	s_xor_b32 s25, exec_lo, s25
	;; [unrolled: 6-line block ×3, first 2 shown]
	s_cbranch_execz .LBB47_955
; %bb.954:                              ;   in Loop: Header=BB47_17 Depth=1
	flat_load_b64 v[0:1], v[0:1]
	s_waitcnt vmcnt(0) lgkmcnt(0)
	v_xor_b32_e32 v14, v0, v1
	v_cls_i32_e32 v16, v1
	s_delay_alu instid0(VALU_DEP_2) | instskip(NEXT) | instid1(VALU_DEP_2)
	v_ashrrev_i32_e32 v14, 31, v14
	v_add_nc_u32_e32 v16, -1, v16
	s_delay_alu instid0(VALU_DEP_2) | instskip(NEXT) | instid1(VALU_DEP_1)
	v_add_nc_u32_e32 v14, 32, v14
	v_min_u32_e32 v14, v16, v14
	s_delay_alu instid0(VALU_DEP_1) | instskip(NEXT) | instid1(VALU_DEP_1)
	v_lshlrev_b64 v[0:1], v14, v[0:1]
	v_min_u32_e32 v0, 1, v0
	s_delay_alu instid0(VALU_DEP_1) | instskip(SKIP_1) | instid1(VALU_DEP_2)
	v_or_b32_e32 v0, v1, v0
	v_sub_nc_u32_e32 v1, 32, v14
	v_cvt_f32_i32_e32 v0, v0
	s_delay_alu instid0(VALU_DEP_1)
	v_ldexp_f32 v16, v0, v1
                                        ; implicit-def: $vgpr0_vgpr1
.LBB47_955:                             ;   in Loop: Header=BB47_17 Depth=1
	s_and_not1_saveexec_b32 s26, s26
	s_cbranch_execz .LBB47_957
; %bb.956:                              ;   in Loop: Header=BB47_17 Depth=1
	flat_load_b32 v0, v[0:1]
	s_waitcnt vmcnt(0) lgkmcnt(0)
	v_cvt_f32_i32_e32 v16, v0
.LBB47_957:                             ;   in Loop: Header=BB47_17 Depth=1
	s_or_b32 exec_lo, exec_lo, s26
                                        ; implicit-def: $vgpr0_vgpr1
.LBB47_958:                             ;   in Loop: Header=BB47_17 Depth=1
	s_and_not1_saveexec_b32 s25, s25
	s_cbranch_execz .LBB47_960
; %bb.959:                              ;   in Loop: Header=BB47_17 Depth=1
	flat_load_i16 v0, v[0:1]
	s_waitcnt vmcnt(0) lgkmcnt(0)
	v_cvt_f32_i32_e32 v16, v0
.LBB47_960:                             ;   in Loop: Header=BB47_17 Depth=1
	s_or_b32 exec_lo, exec_lo, s25
                                        ; implicit-def: $vgpr0_vgpr1
.LBB47_961:                             ;   in Loop: Header=BB47_17 Depth=1
	s_and_not1_saveexec_b32 s24, s24
	s_cbranch_execz .LBB47_967
; %bb.962:                              ;   in Loop: Header=BB47_17 Depth=1
	s_mov_b32 s25, exec_lo
                                        ; implicit-def: $vgpr16
	v_cmpx_lt_i16_e32 0, v7
	s_xor_b32 s25, exec_lo, s25
	s_cbranch_execz .LBB47_964
; %bb.963:                              ;   in Loop: Header=BB47_17 Depth=1
	flat_load_i8 v0, v[0:1]
	s_waitcnt vmcnt(0) lgkmcnt(0)
	v_cvt_f32_i32_e32 v16, v0
                                        ; implicit-def: $vgpr0_vgpr1
.LBB47_964:                             ;   in Loop: Header=BB47_17 Depth=1
	s_and_not1_saveexec_b32 s25, s25
	s_cbranch_execz .LBB47_966
; %bb.965:                              ;   in Loop: Header=BB47_17 Depth=1
	flat_load_u8 v0, v[0:1]
	s_waitcnt vmcnt(0) lgkmcnt(0)
	v_cvt_f32_ubyte0_e32 v16, v0
.LBB47_966:                             ;   in Loop: Header=BB47_17 Depth=1
	s_or_b32 exec_lo, exec_lo, s25
.LBB47_967:                             ;   in Loop: Header=BB47_17 Depth=1
	s_delay_alu instid0(SALU_CYCLE_1)
	s_or_b32 exec_lo, exec_lo, s24
.LBB47_968:                             ;   in Loop: Header=BB47_17 Depth=1
	s_delay_alu instid0(SALU_CYCLE_1) | instskip(NEXT) | instid1(SALU_CYCLE_1)
	s_or_b32 exec_lo, exec_lo, s23
	s_and_not1_b32 s18, s18, exec_lo
	s_and_not1_b32 s17, s17, exec_lo
	s_or_b32 s22, s22, exec_lo
	s_or_b32 exec_lo, exec_lo, s21
	s_mov_b32 s23, 0
	s_and_saveexec_b32 s21, s22
	s_cbranch_execz .LBB47_974
.LBB47_969:                             ;   in Loop: Header=BB47_17 Depth=1
	v_add_nc_u32_e64 v14, s1, s33
	s_mov_b32 s25, 0
	s_mov_b32 s22, exec_lo
                                        ; implicit-def: $sgpr23
                                        ; implicit-def: $sgpr24
	s_delay_alu instid0(VALU_DEP_1) | instskip(SKIP_4) | instid1(VALU_DEP_2)
	v_add_nc_u32_e32 v0, 36, v14
	s_waitcnt vmcnt(0) lgkmcnt(0)
	scratch_store_b32 v0, v16, off
	v_mul_lo_u32 v0, v15, v10
	v_and_b32_e32 v16, 0xff, v8
                                        ; implicit-def: $vgpr15
	v_add_co_u32 v0, vcc_lo, v4, v0
	v_add_co_ci_u32_e32 v1, vcc_lo, 0, v5, vcc_lo
	s_delay_alu instid0(VALU_DEP_3)
	v_cmpx_lt_i16_e32 10, v16
	s_xor_b32 s22, exec_lo, s22
	s_cbranch_execnz .LBB47_992
; %bb.970:                              ;   in Loop: Header=BB47_17 Depth=1
	s_and_not1_saveexec_b32 s22, s22
	s_cbranch_execnz .LBB47_1051
.LBB47_971:                             ;   in Loop: Header=BB47_17 Depth=1
	s_or_b32 exec_lo, exec_lo, s22
	s_mov_b32 s22, 0
	s_and_saveexec_b32 s26, s25
	s_cbranch_execz .LBB47_973
.LBB47_972:                             ;   in Loop: Header=BB47_17 Depth=1
	v_add_nc_u32_e32 v0, 32, v14
	v_add_nc_u32_e32 v13, 0x200, v13
	s_mov_b32 s22, exec_lo
	s_and_not1_b32 s24, s24, exec_lo
	s_and_not1_b32 s23, s23, exec_lo
	s_waitcnt vmcnt(0) lgkmcnt(0)
	scratch_store_b32 v0, v15, off
.LBB47_973:                             ;   in Loop: Header=BB47_17 Depth=1
	s_or_b32 exec_lo, exec_lo, s26
	s_delay_alu instid0(SALU_CYCLE_1)
	s_and_not1_b32 s18, s18, exec_lo
	s_and_b32 s24, s24, exec_lo
	s_and_not1_b32 s17, s17, exec_lo
	s_and_b32 s23, s23, exec_lo
	s_or_b32 s18, s18, s24
	s_or_b32 s17, s17, s23
	s_and_b32 s23, s22, exec_lo
.LBB47_974:                             ;   in Loop: Header=BB47_17 Depth=1
	s_or_b32 exec_lo, exec_lo, s21
	s_delay_alu instid0(SALU_CYCLE_1)
	s_and_b32 s18, s18, exec_lo
	s_and_b32 s17, s17, exec_lo
	s_or_not1_b32 s21, s23, exec_lo
.LBB47_975:                             ;   in Loop: Header=BB47_17 Depth=1
	s_or_b32 exec_lo, exec_lo, s19
	s_and_saveexec_b32 s19, s21
	s_cbranch_execz .LBB47_12
; %bb.976:                              ;   in Loop: Header=BB47_17 Depth=1
	s_mov_b32 s23, -1
	s_mov_b32 s24, -1
	s_mov_b32 s22, exec_lo
                                        ; implicit-def: $sgpr20
                                        ; implicit-def: $sgpr21
	v_cmpx_lt_i32_e64 v13, v6
	s_cbranch_execz .LBB47_1198
; %bb.977:                              ;   in Loop: Header=BB47_17 Depth=1
	s_waitcnt vmcnt(0) lgkmcnt(0)
	v_add_nc_u32_e32 v15, s11, v13
	s_mov_b32 s25, 0
	s_mov_b32 s24, exec_lo
                                        ; implicit-def: $sgpr20
                                        ; implicit-def: $sgpr21
                                        ; implicit-def: $vgpr16
	s_delay_alu instid0(VALU_DEP_1) | instskip(NEXT) | instid1(VALU_DEP_1)
	v_mul_lo_u32 v0, v15, v9
	v_add_co_u32 v0, vcc_lo, v2, v0
	v_add_co_ci_u32_e32 v1, vcc_lo, 0, v3, vcc_lo
	v_cmpx_lt_i16_e32 10, v7
	s_xor_b32 s24, exec_lo, s24
	s_cbranch_execnz .LBB47_1092
; %bb.978:                              ;   in Loop: Header=BB47_17 Depth=1
	s_and_not1_saveexec_b32 s24, s24
	s_cbranch_execnz .LBB47_1151
.LBB47_979:                             ;   in Loop: Header=BB47_17 Depth=1
	s_or_b32 exec_lo, exec_lo, s24
	s_mov_b32 s26, 0
	s_and_saveexec_b32 s24, s25
	s_cbranch_execnz .LBB47_1192
	s_branch .LBB47_1197
.LBB47_980:                             ;   in Loop: Header=BB47_17 Depth=1
	s_mov_b32 s16, -1
	s_mov_b32 s19, exec_lo
                                        ; implicit-def: $sgpr17
	v_cmpx_eq_u16_e32 0x80, v0
; %bb.981:                              ;   in Loop: Header=BB47_17 Depth=1
	s_mov_b32 s17, 0x7f800001
	s_xor_b32 s16, exec_lo, -1
; %bb.982:                              ;   in Loop: Header=BB47_17 Depth=1
	s_or_b32 exec_lo, exec_lo, s19
	s_delay_alu instid0(SALU_CYCLE_1)
	s_and_b32 s16, s16, exec_lo
	s_or_saveexec_b32 s18, s18
	v_mov_b32_e32 v16, s17
	s_xor_b32 exec_lo, exec_lo, s18
	s_cbranch_execz .LBB47_59
.LBB47_983:                             ;   in Loop: Header=BB47_17 Depth=1
	v_cmp_ne_u16_e32 vcc_lo, 0, v0
	v_mov_b32_e32 v16, 0
	s_and_not1_b32 s16, s16, exec_lo
	s_and_b32 s17, vcc_lo, exec_lo
	s_delay_alu instid0(SALU_CYCLE_1)
	s_or_b32 s16, s16, s17
	s_or_b32 exec_lo, exec_lo, s18
	s_and_saveexec_b32 s17, s16
	s_cbranch_execnz .LBB47_60
	s_branch .LBB47_61
.LBB47_984:                             ;   in Loop: Header=BB47_17 Depth=1
	s_mov_b32 s18, -1
	s_mov_b32 s21, exec_lo
                                        ; implicit-def: $sgpr19
	v_cmpx_eq_u16_e32 0x80, v0
; %bb.985:                              ;   in Loop: Header=BB47_17 Depth=1
	s_mov_b32 s19, 0x7f800001
	s_xor_b32 s18, exec_lo, -1
; %bb.986:                              ;   in Loop: Header=BB47_17 Depth=1
	s_or_b32 exec_lo, exec_lo, s21
	s_delay_alu instid0(SALU_CYCLE_1)
	s_and_b32 s18, s18, exec_lo
	s_or_saveexec_b32 s20, s20
	v_mov_b32_e32 v15, s19
	s_xor_b32 exec_lo, exec_lo, s20
	s_cbranch_execz .LBB47_159
.LBB47_987:                             ;   in Loop: Header=BB47_17 Depth=1
	v_cmp_ne_u16_e32 vcc_lo, 0, v0
	v_mov_b32_e32 v15, 0
	s_and_not1_b32 s18, s18, exec_lo
	s_and_b32 s19, vcc_lo, exec_lo
	s_delay_alu instid0(SALU_CYCLE_1)
	s_or_b32 s18, s18, s19
	s_or_b32 exec_lo, exec_lo, s20
	s_and_saveexec_b32 s19, s18
	s_cbranch_execnz .LBB47_160
	s_branch .LBB47_161
.LBB47_988:                             ;   in Loop: Header=BB47_17 Depth=1
	s_mov_b32 s17, -1
	s_mov_b32 s20, exec_lo
                                        ; implicit-def: $sgpr18
	v_cmpx_eq_u16_e32 0x80, v0
; %bb.989:                              ;   in Loop: Header=BB47_17 Depth=1
	s_mov_b32 s18, 0x7f800001
	s_xor_b32 s17, exec_lo, -1
; %bb.990:                              ;   in Loop: Header=BB47_17 Depth=1
	s_or_b32 exec_lo, exec_lo, s20
	s_delay_alu instid0(SALU_CYCLE_1)
	s_and_b32 s17, s17, exec_lo
	s_or_saveexec_b32 s19, s19
	v_mov_b32_e32 v16, s18
	s_xor_b32 exec_lo, exec_lo, s19
	s_cbranch_execz .LBB47_259
.LBB47_991:                             ;   in Loop: Header=BB47_17 Depth=1
	v_cmp_ne_u16_e32 vcc_lo, 0, v0
	v_mov_b32_e32 v16, 0
	s_and_not1_b32 s17, s17, exec_lo
	s_and_b32 s18, vcc_lo, exec_lo
	s_delay_alu instid0(SALU_CYCLE_1)
	s_or_b32 s17, s17, s18
	s_or_b32 exec_lo, exec_lo, s19
	s_and_saveexec_b32 s18, s17
	s_cbranch_execnz .LBB47_260
	s_branch .LBB47_261
.LBB47_992:                             ;   in Loop: Header=BB47_17 Depth=1
	s_mov_b32 s23, exec_lo
                                        ; implicit-def: $sgpr26
                                        ; implicit-def: $sgpr24
                                        ; implicit-def: $vgpr15
	v_cmpx_lt_i16_e32 25, v16
	s_xor_b32 s23, exec_lo, s23
	s_cbranch_execz .LBB47_1024
; %bb.993:                              ;   in Loop: Header=BB47_17 Depth=1
	s_mov_b32 s24, exec_lo
                                        ; implicit-def: $sgpr26
                                        ; implicit-def: $sgpr27
                                        ; implicit-def: $vgpr15
	v_cmpx_lt_i16_e32 28, v16
	s_xor_b32 s24, exec_lo, s24
	s_cbranch_execz .LBB47_1009
; %bb.994:                              ;   in Loop: Header=BB47_17 Depth=1
	s_mov_b32 s28, 0
	s_mov_b32 s25, exec_lo
                                        ; implicit-def: $sgpr26
                                        ; implicit-def: $sgpr27
                                        ; implicit-def: $vgpr15
	v_cmpx_lt_i16_e32 43, v16
	s_xor_b32 s25, exec_lo, s25
	s_cbranch_execz .LBB47_1004
; %bb.995:                              ;   in Loop: Header=BB47_17 Depth=1
	s_mov_b32 s29, exec_lo
                                        ; implicit-def: $sgpr27
                                        ; implicit-def: $sgpr26
                                        ; implicit-def: $vgpr15
	v_cmpx_lt_i16_e32 45, v16
	s_xor_b32 s29, exec_lo, s29
	s_cbranch_execz .LBB47_999
; %bb.996:                              ;   in Loop: Header=BB47_17 Depth=1
	s_mov_b32 s26, 0
	s_mov_b32 s27, exec_lo
                                        ; implicit-def: $vgpr15
	v_cmpx_eq_u16_e32 46, v16
	s_cbranch_execz .LBB47_998
; %bb.997:                              ;   in Loop: Header=BB47_17 Depth=1
	flat_load_b32 v0, v[0:1]
	s_mov_b32 s28, exec_lo
	s_waitcnt vmcnt(0) lgkmcnt(0)
	v_lshlrev_b32_e32 v15, 16, v0
.LBB47_998:                             ;   in Loop: Header=BB47_17 Depth=1
	s_or_b32 exec_lo, exec_lo, s27
	s_mov_b32 s27, -1
	s_and_b32 s28, s28, exec_lo
                                        ; implicit-def: $vgpr16
                                        ; implicit-def: $vgpr0_vgpr1
.LBB47_999:                             ;   in Loop: Header=BB47_17 Depth=1
	s_and_not1_saveexec_b32 s29, s29
	s_cbranch_execz .LBB47_1003
; %bb.1000:                             ;   in Loop: Header=BB47_17 Depth=1
	s_mov_b32 s30, s28
	s_mov_b32 vcc_hi, exec_lo
                                        ; implicit-def: $vgpr15
	v_cmpx_eq_u16_e32 44, v16
	s_cbranch_execz .LBB47_1002
; %bb.1001:                             ;   in Loop: Header=BB47_17 Depth=1
	flat_load_u8 v0, v[0:1]
	s_or_b32 s30, s28, exec_lo
	s_waitcnt vmcnt(0) lgkmcnt(0)
	v_lshlrev_b32_e32 v1, 23, v0
	v_cmp_ne_u32_e32 vcc_lo, 0xff, v0
	s_delay_alu instid0(VALU_DEP_2) | instskip(SKIP_1) | instid1(VALU_DEP_2)
	v_cndmask_b32_e32 v1, 0x7f800001, v1, vcc_lo
	v_cmp_ne_u32_e32 vcc_lo, 0, v0
	v_cndmask_b32_e32 v15, 0x400000, v1, vcc_lo
.LBB47_1002:                            ;   in Loop: Header=BB47_17 Depth=1
	s_or_b32 exec_lo, exec_lo, vcc_hi
	s_delay_alu instid0(SALU_CYCLE_1)
	s_and_not1_b32 s28, s28, exec_lo
	s_and_b32 vcc_lo, s30, exec_lo
	s_or_b32 s27, s27, exec_lo
	s_and_not1_b32 s26, s26, exec_lo
	s_or_b32 s28, s28, vcc_lo
.LBB47_1003:                            ;   in Loop: Header=BB47_17 Depth=1
	s_or_b32 exec_lo, exec_lo, s29
	s_delay_alu instid0(SALU_CYCLE_1)
	s_and_b32 s27, s27, exec_lo
	s_and_b32 s26, s26, exec_lo
	;; [unrolled: 1-line block ×3, first 2 shown]
                                        ; implicit-def: $vgpr16
                                        ; implicit-def: $vgpr0_vgpr1
.LBB47_1004:                            ;   in Loop: Header=BB47_17 Depth=1
	s_and_not1_saveexec_b32 s25, s25
	s_cbranch_execz .LBB47_1008
; %bb.1005:                             ;   in Loop: Header=BB47_17 Depth=1
	s_mov_b32 vcc_hi, s28
	s_mov_b32 s29, exec_lo
                                        ; implicit-def: $vgpr15
	v_cmpx_eq_u16_e32 29, v16
	s_cbranch_execz .LBB47_1007
; %bb.1006:                             ;   in Loop: Header=BB47_17 Depth=1
	flat_load_b64 v[0:1], v[0:1]
	s_or_b32 vcc_hi, s28, exec_lo
	s_waitcnt vmcnt(0) lgkmcnt(0)
	v_clz_i32_u32_e32 v15, v1
	s_delay_alu instid0(VALU_DEP_1) | instskip(NEXT) | instid1(VALU_DEP_1)
	v_min_u32_e32 v15, 32, v15
	v_lshlrev_b64 v[0:1], v15, v[0:1]
	s_delay_alu instid0(VALU_DEP_1) | instskip(NEXT) | instid1(VALU_DEP_1)
	v_min_u32_e32 v0, 1, v0
	v_or_b32_e32 v0, v1, v0
	v_sub_nc_u32_e32 v1, 32, v15
	s_delay_alu instid0(VALU_DEP_2) | instskip(NEXT) | instid1(VALU_DEP_1)
	v_cvt_f32_u32_e32 v0, v0
	v_ldexp_f32 v15, v0, v1
.LBB47_1007:                            ;   in Loop: Header=BB47_17 Depth=1
	s_or_b32 exec_lo, exec_lo, s29
	s_delay_alu instid0(SALU_CYCLE_1)
	s_and_not1_b32 s28, s28, exec_lo
	s_and_b32 s29, vcc_hi, exec_lo
	s_or_b32 s27, s27, exec_lo
	s_and_not1_b32 s26, s26, exec_lo
	s_or_b32 s28, s28, s29
.LBB47_1008:                            ;   in Loop: Header=BB47_17 Depth=1
	s_or_b32 exec_lo, exec_lo, s25
	s_delay_alu instid0(SALU_CYCLE_1)
	s_and_b32 s27, s27, exec_lo
	s_and_b32 s26, s26, exec_lo
	;; [unrolled: 1-line block ×3, first 2 shown]
                                        ; implicit-def: $vgpr16
                                        ; implicit-def: $vgpr0_vgpr1
.LBB47_1009:                            ;   in Loop: Header=BB47_17 Depth=1
	s_and_not1_saveexec_b32 s24, s24
	s_cbranch_execz .LBB47_1023
; %bb.1010:                             ;   in Loop: Header=BB47_17 Depth=1
	s_mov_b32 s28, exec_lo
                                        ; implicit-def: $vgpr15
	v_cmpx_lt_i16_e32 26, v16
	s_xor_b32 s28, exec_lo, s28
	s_cbranch_execz .LBB47_1016
; %bb.1011:                             ;   in Loop: Header=BB47_17 Depth=1
	s_mov_b32 s29, exec_lo
                                        ; implicit-def: $vgpr15
	v_cmpx_lt_i16_e32 27, v16
	s_xor_b32 s29, exec_lo, s29
	s_cbranch_execz .LBB47_1013
; %bb.1012:                             ;   in Loop: Header=BB47_17 Depth=1
	flat_load_b32 v0, v[0:1]
	s_waitcnt vmcnt(0) lgkmcnt(0)
	v_cvt_f32_u32_e32 v15, v0
                                        ; implicit-def: $vgpr0_vgpr1
.LBB47_1013:                            ;   in Loop: Header=BB47_17 Depth=1
	s_and_not1_saveexec_b32 s29, s29
	s_cbranch_execz .LBB47_1015
; %bb.1014:                             ;   in Loop: Header=BB47_17 Depth=1
	flat_load_u16 v0, v[0:1]
	s_waitcnt vmcnt(0) lgkmcnt(0)
	v_cvt_f32_u32_e32 v15, v0
.LBB47_1015:                            ;   in Loop: Header=BB47_17 Depth=1
	s_or_b32 exec_lo, exec_lo, s29
                                        ; implicit-def: $vgpr0_vgpr1
.LBB47_1016:                            ;   in Loop: Header=BB47_17 Depth=1
	s_and_not1_saveexec_b32 s28, s28
	s_cbranch_execz .LBB47_1022
; %bb.1017:                             ;   in Loop: Header=BB47_17 Depth=1
	flat_load_u8 v0, v[0:1]
	s_mov_b32 s29, 0
	s_mov_b32 vcc_hi, exec_lo
                                        ; implicit-def: $sgpr30
	s_waitcnt vmcnt(0) lgkmcnt(0)
	v_cmpx_lt_i16_e32 0x7f, v0
	s_xor_b32 vcc_hi, exec_lo, vcc_hi
	s_cbranch_execnz .LBB47_1892
; %bb.1018:                             ;   in Loop: Header=BB47_17 Depth=1
	s_or_saveexec_b32 vcc_hi, vcc_hi
	v_mov_b32_e32 v15, s30
	s_xor_b32 exec_lo, exec_lo, vcc_hi
	s_cbranch_execnz .LBB47_1895
.LBB47_1019:                            ;   in Loop: Header=BB47_17 Depth=1
	s_or_b32 exec_lo, exec_lo, vcc_hi
	s_and_saveexec_b32 vcc_hi, s29
	s_cbranch_execz .LBB47_1021
.LBB47_1020:                            ;   in Loop: Header=BB47_17 Depth=1
	v_and_b32_e32 v1, 0xffff, v0
	s_delay_alu instid0(VALU_DEP_1) | instskip(NEXT) | instid1(VALU_DEP_1)
	v_and_b32_e32 v15, 7, v1
	v_clz_i32_u32_e32 v16, v15
	s_delay_alu instid0(VALU_DEP_1) | instskip(NEXT) | instid1(VALU_DEP_1)
	v_min_u32_e32 v16, 32, v16
	v_subrev_nc_u32_e32 v17, 28, v16
	v_sub_nc_u32_e32 v16, 29, v16
	s_delay_alu instid0(VALU_DEP_2) | instskip(SKIP_1) | instid1(VALU_DEP_2)
	v_lshlrev_b32_e32 v17, v17, v1
	v_bfe_u32 v1, v1, 3, 4
	v_and_b32_e32 v17, 7, v17
	s_delay_alu instid0(VALU_DEP_2) | instskip(NEXT) | instid1(VALU_DEP_2)
	v_cmp_eq_u32_e32 vcc_lo, 0, v1
	v_dual_cndmask_b32 v15, v15, v17 :: v_dual_lshlrev_b32 v0, 24, v0
	v_cndmask_b32_e32 v1, v1, v16, vcc_lo
	s_delay_alu instid0(VALU_DEP_2) | instskip(NEXT) | instid1(VALU_DEP_3)
	v_and_b32_e32 v0, 0x80000000, v0
	v_lshlrev_b32_e32 v15, 20, v15
	s_delay_alu instid0(VALU_DEP_3) | instskip(NEXT) | instid1(VALU_DEP_1)
	v_lshl_add_u32 v1, v1, 23, 0x3b800000
	v_or3_b32 v15, v0, v1, v15
.LBB47_1021:                            ;   in Loop: Header=BB47_17 Depth=1
	s_or_b32 exec_lo, exec_lo, vcc_hi
.LBB47_1022:                            ;   in Loop: Header=BB47_17 Depth=1
	s_delay_alu instid0(SALU_CYCLE_1) | instskip(NEXT) | instid1(SALU_CYCLE_1)
	s_or_b32 exec_lo, exec_lo, s28
	s_and_not1_b32 s27, s27, exec_lo
	s_and_not1_b32 s26, s26, exec_lo
	s_or_b32 s25, s25, exec_lo
.LBB47_1023:                            ;   in Loop: Header=BB47_17 Depth=1
	s_or_b32 exec_lo, exec_lo, s24
	s_delay_alu instid0(SALU_CYCLE_1)
	s_and_b32 s24, s27, exec_lo
	s_and_b32 s26, s26, exec_lo
	;; [unrolled: 1-line block ×3, first 2 shown]
                                        ; implicit-def: $vgpr16
                                        ; implicit-def: $vgpr0_vgpr1
.LBB47_1024:                            ;   in Loop: Header=BB47_17 Depth=1
	s_and_not1_saveexec_b32 s23, s23
	s_cbranch_execz .LBB47_1050
; %bb.1025:                             ;   in Loop: Header=BB47_17 Depth=1
	s_mov_b32 s28, s25
	s_mov_b32 s27, exec_lo
                                        ; implicit-def: $vgpr15
	v_cmpx_lt_i16_e32 22, v16
	s_xor_b32 s27, exec_lo, s27
	s_cbranch_execz .LBB47_1039
; %bb.1026:                             ;   in Loop: Header=BB47_17 Depth=1
	s_mov_b32 s28, exec_lo
                                        ; implicit-def: $vgpr15
	v_cmpx_lt_i16_e32 23, v16
	s_xor_b32 s28, exec_lo, s28
	s_cbranch_execz .LBB47_1036
; %bb.1027:                             ;   in Loop: Header=BB47_17 Depth=1
	;; [unrolled: 6-line block ×3, first 2 shown]
	flat_load_u8 v0, v[0:1]
	s_mov_b32 vcc_hi, 0
	s_mov_b32 s31, exec_lo
                                        ; implicit-def: $sgpr30
	s_waitcnt vmcnt(0) lgkmcnt(0)
	v_cmpx_lt_i16_e32 0x7f, v0
	s_xor_b32 s31, exec_lo, s31
	s_cbranch_execnz .LBB47_2111
; %bb.1029:                             ;   in Loop: Header=BB47_17 Depth=1
	s_or_saveexec_b32 s31, s31
	v_mov_b32_e32 v15, s30
	s_xor_b32 exec_lo, exec_lo, s31
	s_cbranch_execnz .LBB47_2114
.LBB47_1030:                            ;   in Loop: Header=BB47_17 Depth=1
	s_or_b32 exec_lo, exec_lo, s31
	s_and_saveexec_b32 s30, vcc_hi
	s_cbranch_execz .LBB47_1032
.LBB47_1031:                            ;   in Loop: Header=BB47_17 Depth=1
	v_and_b32_e32 v1, 0xffff, v0
	s_delay_alu instid0(VALU_DEP_1) | instskip(NEXT) | instid1(VALU_DEP_1)
	v_and_b32_e32 v15, 3, v1
	v_clz_i32_u32_e32 v16, v15
	s_delay_alu instid0(VALU_DEP_1) | instskip(NEXT) | instid1(VALU_DEP_1)
	v_min_u32_e32 v16, 32, v16
	v_subrev_nc_u32_e32 v17, 29, v16
	v_sub_nc_u32_e32 v16, 30, v16
	s_delay_alu instid0(VALU_DEP_2) | instskip(SKIP_1) | instid1(VALU_DEP_2)
	v_lshlrev_b32_e32 v17, v17, v1
	v_bfe_u32 v1, v1, 2, 5
	v_and_b32_e32 v17, 3, v17
	s_delay_alu instid0(VALU_DEP_2) | instskip(NEXT) | instid1(VALU_DEP_2)
	v_cmp_eq_u32_e32 vcc_lo, 0, v1
	v_dual_cndmask_b32 v15, v15, v17 :: v_dual_lshlrev_b32 v0, 24, v0
	v_cndmask_b32_e32 v1, v1, v16, vcc_lo
	s_delay_alu instid0(VALU_DEP_2) | instskip(NEXT) | instid1(VALU_DEP_3)
	v_and_b32_e32 v0, 0x80000000, v0
	v_lshlrev_b32_e32 v15, 21, v15
	s_delay_alu instid0(VALU_DEP_3) | instskip(NEXT) | instid1(VALU_DEP_1)
	v_lshl_add_u32 v1, v1, 23, 0x37800000
	v_or3_b32 v15, v0, v1, v15
.LBB47_1032:                            ;   in Loop: Header=BB47_17 Depth=1
	s_or_b32 exec_lo, exec_lo, s30
                                        ; implicit-def: $vgpr0_vgpr1
.LBB47_1033:                            ;   in Loop: Header=BB47_17 Depth=1
	s_and_not1_saveexec_b32 s29, s29
	s_cbranch_execz .LBB47_1035
; %bb.1034:                             ;   in Loop: Header=BB47_17 Depth=1
	flat_load_u8 v0, v[0:1]
	s_waitcnt vmcnt(0) lgkmcnt(0)
	v_lshlrev_b32_e32 v0, 24, v0
	s_delay_alu instid0(VALU_DEP_1) | instskip(NEXT) | instid1(VALU_DEP_1)
	v_and_b32_e32 v1, 0x7f000000, v0
	v_clz_i32_u32_e32 v15, v1
	v_add_nc_u32_e32 v17, 0x1000000, v1
	v_cmp_ne_u32_e32 vcc_lo, 0, v1
	s_delay_alu instid0(VALU_DEP_3) | instskip(NEXT) | instid1(VALU_DEP_1)
	v_min_u32_e32 v15, 32, v15
	v_sub_nc_u32_e64 v15, v15, 4 clamp
	s_delay_alu instid0(VALU_DEP_1) | instskip(SKIP_1) | instid1(VALU_DEP_2)
	v_lshlrev_b32_e32 v16, v15, v1
	v_lshlrev_b32_e32 v15, 23, v15
	v_lshrrev_b32_e32 v16, 4, v16
	s_delay_alu instid0(VALU_DEP_1) | instskip(SKIP_1) | instid1(VALU_DEP_2)
	v_sub_nc_u32_e32 v15, v16, v15
	v_ashrrev_i32_e32 v16, 8, v17
	v_add_nc_u32_e32 v15, 0x3c000000, v15
	s_delay_alu instid0(VALU_DEP_1) | instskip(NEXT) | instid1(VALU_DEP_1)
	v_and_or_b32 v15, 0x7f800000, v16, v15
	v_cndmask_b32_e32 v1, 0, v15, vcc_lo
	s_delay_alu instid0(VALU_DEP_1)
	v_and_or_b32 v15, 0x80000000, v0, v1
.LBB47_1035:                            ;   in Loop: Header=BB47_17 Depth=1
	s_or_b32 exec_lo, exec_lo, s29
                                        ; implicit-def: $vgpr0_vgpr1
.LBB47_1036:                            ;   in Loop: Header=BB47_17 Depth=1
	s_and_not1_saveexec_b32 s28, s28
	s_cbranch_execz .LBB47_1038
; %bb.1037:                             ;   in Loop: Header=BB47_17 Depth=1
	flat_load_u8 v0, v[0:1]
	s_waitcnt vmcnt(0) lgkmcnt(0)
	v_lshlrev_b32_e32 v1, 25, v0
	v_lshlrev_b16 v0, 8, v0
	s_delay_alu instid0(VALU_DEP_2) | instskip(NEXT) | instid1(VALU_DEP_2)
	v_lshrrev_b32_e32 v15, 4, v1
	v_and_or_b32 v16, 0x7f00, v0, 0.5
	v_cmp_gt_u32_e32 vcc_lo, 0x8000000, v1
	v_bfe_i32 v0, v0, 0, 16
	s_delay_alu instid0(VALU_DEP_4) | instskip(NEXT) | instid1(VALU_DEP_1)
	v_or_b32_e32 v15, 0x70000000, v15
	v_dual_add_f32 v16, -0.5, v16 :: v_dual_mul_f32 v15, 0x7800000, v15
	s_delay_alu instid0(VALU_DEP_1) | instskip(NEXT) | instid1(VALU_DEP_1)
	v_cndmask_b32_e32 v1, v15, v16, vcc_lo
	v_and_or_b32 v15, 0x80000000, v0, v1
.LBB47_1038:                            ;   in Loop: Header=BB47_17 Depth=1
	s_or_b32 exec_lo, exec_lo, s28
	s_delay_alu instid0(SALU_CYCLE_1)
	s_or_b32 s28, s25, exec_lo
                                        ; implicit-def: $vgpr16
                                        ; implicit-def: $vgpr0_vgpr1
.LBB47_1039:                            ;   in Loop: Header=BB47_17 Depth=1
	s_or_saveexec_b32 s27, s27
                                        ; implicit-def: $sgpr29
                                        ; implicit-def: $vcc_lo
	s_delay_alu instid0(SALU_CYCLE_1)
	s_xor_b32 exec_lo, exec_lo, s27
	s_cbranch_execz .LBB47_1049
; %bb.1040:                             ;   in Loop: Header=BB47_17 Depth=1
	s_mov_b32 vcc_hi, s28
	s_mov_b32 s31, exec_lo
                                        ; implicit-def: $sgpr30
                                        ; implicit-def: $sgpr29
                                        ; implicit-def: $vgpr15
	v_cmpx_lt_i16_e32 14, v16
	s_xor_b32 s31, exec_lo, s31
	s_cbranch_execz .LBB47_1044
; %bb.1041:                             ;   in Loop: Header=BB47_17 Depth=1
	s_mov_b32 vcc_hi, s28
	s_mov_b32 s29, exec_lo
                                        ; implicit-def: $vgpr15
	v_cmpx_eq_u16_e32 15, v16
	s_cbranch_execz .LBB47_1043
; %bb.1042:                             ;   in Loop: Header=BB47_17 Depth=1
	flat_load_u16 v0, v[0:1]
	s_or_b32 vcc_hi, s28, exec_lo
	s_waitcnt vmcnt(0) lgkmcnt(0)
	v_lshlrev_b32_e32 v15, 16, v0
.LBB47_1043:                            ;   in Loop: Header=BB47_17 Depth=1
	s_or_b32 exec_lo, exec_lo, s29
	s_delay_alu instid0(SALU_CYCLE_1)
	s_and_not1_b32 vcc_lo, s28, exec_lo
	s_and_b32 vcc_hi, vcc_hi, exec_lo
	s_mov_b32 s29, 0
	s_mov_b32 s30, -1
	s_or_b32 vcc_hi, vcc_lo, vcc_hi
                                        ; implicit-def: $vgpr16
                                        ; implicit-def: $vgpr0_vgpr1
.LBB47_1044:                            ;   in Loop: Header=BB47_17 Depth=1
	s_and_not1_saveexec_b32 s31, s31
	s_cbranch_execz .LBB47_1048
; %bb.1045:                             ;   in Loop: Header=BB47_17 Depth=1
	s_mov_b32 s34, vcc_hi
	s_mov_b32 s35, exec_lo
                                        ; implicit-def: $vgpr15
	v_cmpx_eq_u16_e32 11, v16
	s_cbranch_execz .LBB47_1047
; %bb.1046:                             ;   in Loop: Header=BB47_17 Depth=1
	flat_load_u8 v0, v[0:1]
	s_waitcnt vmcnt(0) lgkmcnt(0)
	v_cmp_ne_u16_e32 vcc_lo, 0, v0
	v_cndmask_b32_e64 v15, 0, 1.0, vcc_lo
	s_or_b32 s34, vcc_hi, exec_lo
.LBB47_1047:                            ;   in Loop: Header=BB47_17 Depth=1
	s_or_b32 exec_lo, exec_lo, s35
	s_delay_alu instid0(SALU_CYCLE_1)
	s_and_not1_b32 vcc_lo, vcc_hi, exec_lo
	s_and_b32 vcc_hi, s34, exec_lo
	s_or_b32 s30, s30, exec_lo
	s_and_not1_b32 s29, s29, exec_lo
	s_or_b32 vcc_hi, vcc_lo, vcc_hi
.LBB47_1048:                            ;   in Loop: Header=BB47_17 Depth=1
	s_or_b32 exec_lo, exec_lo, s31
	s_delay_alu instid0(SALU_CYCLE_1)
	s_and_not1_b32 s28, s28, exec_lo
	s_and_b32 vcc_hi, vcc_hi, exec_lo
	s_and_b32 vcc_lo, s30, exec_lo
	s_and_b32 s29, s29, exec_lo
	s_or_b32 s28, s28, vcc_hi
.LBB47_1049:                            ;   in Loop: Header=BB47_17 Depth=1
	s_or_b32 exec_lo, exec_lo, s27
	s_delay_alu instid0(SALU_CYCLE_1)
	s_and_not1_b32 s24, s24, exec_lo
	s_and_b32 s27, vcc_lo, exec_lo
	s_and_not1_b32 s26, s26, exec_lo
	s_or_b32 s24, s24, s27
	s_and_b32 s27, s29, exec_lo
	s_and_not1_b32 s25, s25, exec_lo
	s_and_b32 s28, s28, exec_lo
	s_or_b32 s26, s26, s27
	s_or_b32 s25, s25, s28
.LBB47_1050:                            ;   in Loop: Header=BB47_17 Depth=1
	s_or_b32 exec_lo, exec_lo, s23
	s_delay_alu instid0(SALU_CYCLE_1)
	s_and_b32 s24, s24, exec_lo
	s_and_b32 s23, s26, exec_lo
	;; [unrolled: 1-line block ×3, first 2 shown]
                                        ; implicit-def: $vgpr16
                                        ; implicit-def: $vgpr0_vgpr1
	s_and_not1_saveexec_b32 s22, s22
	s_cbranch_execz .LBB47_971
.LBB47_1051:                            ;   in Loop: Header=BB47_17 Depth=1
	s_mov_b32 s26, exec_lo
                                        ; implicit-def: $vgpr15
	v_cmpx_lt_i16_e32 4, v16
	s_xor_b32 s26, exec_lo, s26
	s_cbranch_execz .LBB47_1073
; %bb.1052:                             ;   in Loop: Header=BB47_17 Depth=1
	s_mov_b32 s27, exec_lo
                                        ; implicit-def: $vgpr15
	v_cmpx_lt_i16_e32 7, v16
	s_xor_b32 s27, exec_lo, s27
	s_cbranch_execz .LBB47_1062
; %bb.1053:                             ;   in Loop: Header=BB47_17 Depth=1
	;; [unrolled: 6-line block ×4, first 2 shown]
	flat_load_b64 v[0:1], v[0:1]
	s_waitcnt vmcnt(0) lgkmcnt(0)
	v_cvt_f32_f64_e32 v15, v[0:1]
                                        ; implicit-def: $vgpr0_vgpr1
.LBB47_1056:                            ;   in Loop: Header=BB47_17 Depth=1
	s_and_not1_saveexec_b32 s29, s29
	s_cbranch_execz .LBB47_1058
; %bb.1057:                             ;   in Loop: Header=BB47_17 Depth=1
	flat_load_b32 v15, v[0:1]
.LBB47_1058:                            ;   in Loop: Header=BB47_17 Depth=1
	s_or_b32 exec_lo, exec_lo, s29
                                        ; implicit-def: $vgpr0_vgpr1
.LBB47_1059:                            ;   in Loop: Header=BB47_17 Depth=1
	s_and_not1_saveexec_b32 s28, s28
	s_cbranch_execz .LBB47_1061
; %bb.1060:                             ;   in Loop: Header=BB47_17 Depth=1
	flat_load_b32 v0, v[0:1]
	s_waitcnt vmcnt(0) lgkmcnt(0)
	v_cvt_f32_f16_e32 v15, v0
.LBB47_1061:                            ;   in Loop: Header=BB47_17 Depth=1
	s_or_b32 exec_lo, exec_lo, s28
                                        ; implicit-def: $vgpr0_vgpr1
                                        ; implicit-def: $vgpr16
.LBB47_1062:                            ;   in Loop: Header=BB47_17 Depth=1
	s_and_not1_saveexec_b32 s27, s27
	s_cbranch_execz .LBB47_1072
; %bb.1063:                             ;   in Loop: Header=BB47_17 Depth=1
	s_mov_b32 s28, exec_lo
                                        ; implicit-def: $vgpr15
	v_cmpx_lt_i16_e32 5, v16
	s_xor_b32 s28, exec_lo, s28
	s_cbranch_execz .LBB47_1069
; %bb.1064:                             ;   in Loop: Header=BB47_17 Depth=1
	s_mov_b32 s29, exec_lo
                                        ; implicit-def: $vgpr15
	v_cmpx_lt_i16_e32 6, v16
	s_xor_b32 s29, exec_lo, s29
	s_cbranch_execz .LBB47_1066
; %bb.1065:                             ;   in Loop: Header=BB47_17 Depth=1
	flat_load_b64 v[0:1], v[0:1]
	s_waitcnt vmcnt(0) lgkmcnt(0)
	v_cvt_f32_f64_e32 v15, v[0:1]
                                        ; implicit-def: $vgpr0_vgpr1
.LBB47_1066:                            ;   in Loop: Header=BB47_17 Depth=1
	s_and_not1_saveexec_b32 s29, s29
	s_cbranch_execz .LBB47_1068
; %bb.1067:                             ;   in Loop: Header=BB47_17 Depth=1
	s_waitcnt vmcnt(0) lgkmcnt(0)
	flat_load_b32 v15, v[0:1]
.LBB47_1068:                            ;   in Loop: Header=BB47_17 Depth=1
	s_or_b32 exec_lo, exec_lo, s29
                                        ; implicit-def: $vgpr0_vgpr1
.LBB47_1069:                            ;   in Loop: Header=BB47_17 Depth=1
	s_and_not1_saveexec_b32 s28, s28
	s_cbranch_execz .LBB47_1071
; %bb.1070:                             ;   in Loop: Header=BB47_17 Depth=1
	flat_load_u16 v0, v[0:1]
	s_waitcnt vmcnt(0) lgkmcnt(0)
	v_cvt_f32_f16_e32 v15, v0
.LBB47_1071:                            ;   in Loop: Header=BB47_17 Depth=1
	s_or_b32 exec_lo, exec_lo, s28
.LBB47_1072:                            ;   in Loop: Header=BB47_17 Depth=1
	s_delay_alu instid0(SALU_CYCLE_1)
	s_or_b32 exec_lo, exec_lo, s27
                                        ; implicit-def: $vgpr16
                                        ; implicit-def: $vgpr0_vgpr1
.LBB47_1073:                            ;   in Loop: Header=BB47_17 Depth=1
	s_and_not1_saveexec_b32 s26, s26
	s_cbranch_execz .LBB47_1091
; %bb.1074:                             ;   in Loop: Header=BB47_17 Depth=1
	s_mov_b32 s27, exec_lo
                                        ; implicit-def: $vgpr15
	v_cmpx_lt_i16_e32 1, v16
	s_xor_b32 s27, exec_lo, s27
	s_cbranch_execz .LBB47_1084
; %bb.1075:                             ;   in Loop: Header=BB47_17 Depth=1
	s_mov_b32 s28, exec_lo
                                        ; implicit-def: $vgpr15
	v_cmpx_lt_i16_e32 2, v16
	s_xor_b32 s28, exec_lo, s28
	s_cbranch_execz .LBB47_1081
; %bb.1076:                             ;   in Loop: Header=BB47_17 Depth=1
	s_mov_b32 s29, exec_lo
                                        ; implicit-def: $vgpr15
	v_cmpx_lt_i16_e32 3, v16
	s_xor_b32 s29, exec_lo, s29
	s_cbranch_execz .LBB47_1078
; %bb.1077:                             ;   in Loop: Header=BB47_17 Depth=1
	flat_load_b64 v[0:1], v[0:1]
	s_waitcnt vmcnt(0) lgkmcnt(0)
	v_xor_b32_e32 v15, v0, v1
	v_cls_i32_e32 v16, v1
	s_delay_alu instid0(VALU_DEP_2) | instskip(NEXT) | instid1(VALU_DEP_2)
	v_ashrrev_i32_e32 v15, 31, v15
	v_add_nc_u32_e32 v16, -1, v16
	s_delay_alu instid0(VALU_DEP_2) | instskip(NEXT) | instid1(VALU_DEP_1)
	v_add_nc_u32_e32 v15, 32, v15
	v_min_u32_e32 v15, v16, v15
	s_delay_alu instid0(VALU_DEP_1) | instskip(NEXT) | instid1(VALU_DEP_1)
	v_lshlrev_b64 v[0:1], v15, v[0:1]
	v_min_u32_e32 v0, 1, v0
	s_delay_alu instid0(VALU_DEP_1) | instskip(SKIP_1) | instid1(VALU_DEP_2)
	v_or_b32_e32 v0, v1, v0
	v_sub_nc_u32_e32 v1, 32, v15
	v_cvt_f32_i32_e32 v0, v0
	s_delay_alu instid0(VALU_DEP_1)
	v_ldexp_f32 v15, v0, v1
                                        ; implicit-def: $vgpr0_vgpr1
.LBB47_1078:                            ;   in Loop: Header=BB47_17 Depth=1
	s_and_not1_saveexec_b32 s29, s29
	s_cbranch_execz .LBB47_1080
; %bb.1079:                             ;   in Loop: Header=BB47_17 Depth=1
	flat_load_b32 v0, v[0:1]
	s_waitcnt vmcnt(0) lgkmcnt(0)
	v_cvt_f32_i32_e32 v15, v0
.LBB47_1080:                            ;   in Loop: Header=BB47_17 Depth=1
	s_or_b32 exec_lo, exec_lo, s29
                                        ; implicit-def: $vgpr0_vgpr1
.LBB47_1081:                            ;   in Loop: Header=BB47_17 Depth=1
	s_and_not1_saveexec_b32 s28, s28
	s_cbranch_execz .LBB47_1083
; %bb.1082:                             ;   in Loop: Header=BB47_17 Depth=1
	flat_load_i16 v0, v[0:1]
	s_waitcnt vmcnt(0) lgkmcnt(0)
	v_cvt_f32_i32_e32 v15, v0
.LBB47_1083:                            ;   in Loop: Header=BB47_17 Depth=1
	s_or_b32 exec_lo, exec_lo, s28
                                        ; implicit-def: $vgpr0_vgpr1
                                        ; implicit-def: $vgpr16
.LBB47_1084:                            ;   in Loop: Header=BB47_17 Depth=1
	s_and_not1_saveexec_b32 s27, s27
	s_cbranch_execz .LBB47_1090
; %bb.1085:                             ;   in Loop: Header=BB47_17 Depth=1
	s_mov_b32 s28, exec_lo
                                        ; implicit-def: $vgpr15
	v_cmpx_lt_i16_e32 0, v16
	s_xor_b32 s28, exec_lo, s28
	s_cbranch_execz .LBB47_1087
; %bb.1086:                             ;   in Loop: Header=BB47_17 Depth=1
	flat_load_i8 v0, v[0:1]
	s_waitcnt vmcnt(0) lgkmcnt(0)
	v_cvt_f32_i32_e32 v15, v0
                                        ; implicit-def: $vgpr0_vgpr1
.LBB47_1087:                            ;   in Loop: Header=BB47_17 Depth=1
	s_and_not1_saveexec_b32 s28, s28
	s_cbranch_execz .LBB47_1089
; %bb.1088:                             ;   in Loop: Header=BB47_17 Depth=1
	flat_load_u8 v0, v[0:1]
	s_waitcnt vmcnt(0) lgkmcnt(0)
	v_cvt_f32_ubyte0_e32 v15, v0
.LBB47_1089:                            ;   in Loop: Header=BB47_17 Depth=1
	s_or_b32 exec_lo, exec_lo, s28
.LBB47_1090:                            ;   in Loop: Header=BB47_17 Depth=1
	s_delay_alu instid0(SALU_CYCLE_1)
	s_or_b32 exec_lo, exec_lo, s27
.LBB47_1091:                            ;   in Loop: Header=BB47_17 Depth=1
	s_delay_alu instid0(SALU_CYCLE_1) | instskip(NEXT) | instid1(SALU_CYCLE_1)
	s_or_b32 exec_lo, exec_lo, s26
	s_and_not1_b32 s24, s24, exec_lo
	s_and_not1_b32 s23, s23, exec_lo
	s_or_b32 s25, s25, exec_lo
	s_or_b32 exec_lo, exec_lo, s22
	s_mov_b32 s22, 0
	s_and_saveexec_b32 s26, s25
	s_cbranch_execnz .LBB47_972
	s_branch .LBB47_973
.LBB47_1092:                            ;   in Loop: Header=BB47_17 Depth=1
	s_mov_b32 s20, exec_lo
                                        ; implicit-def: $sgpr26
                                        ; implicit-def: $sgpr21
                                        ; implicit-def: $vgpr16
	v_cmpx_lt_i16_e32 25, v7
	s_xor_b32 s20, exec_lo, s20
	s_cbranch_execz .LBB47_1124
; %bb.1093:                             ;   in Loop: Header=BB47_17 Depth=1
	s_mov_b32 s21, exec_lo
                                        ; implicit-def: $sgpr26
                                        ; implicit-def: $sgpr27
                                        ; implicit-def: $vgpr16
	v_cmpx_lt_i16_e32 28, v7
	s_xor_b32 s21, exec_lo, s21
	s_cbranch_execz .LBB47_1109
; %bb.1094:                             ;   in Loop: Header=BB47_17 Depth=1
	s_mov_b32 s28, 0
	s_mov_b32 s25, exec_lo
                                        ; implicit-def: $sgpr26
                                        ; implicit-def: $sgpr27
                                        ; implicit-def: $vgpr16
	v_cmpx_lt_i16_e32 43, v7
	s_xor_b32 s25, exec_lo, s25
	s_cbranch_execz .LBB47_1104
; %bb.1095:                             ;   in Loop: Header=BB47_17 Depth=1
	s_mov_b32 s27, exec_lo
                                        ; implicit-def: $sgpr26
                                        ; implicit-def: $sgpr29
                                        ; implicit-def: $vgpr16
	v_cmpx_lt_i16_e32 45, v7
	s_xor_b32 s27, exec_lo, s27
	s_cbranch_execz .LBB47_1099
; %bb.1096:                             ;   in Loop: Header=BB47_17 Depth=1
	s_mov_b32 s26, 0
	s_mov_b32 s29, exec_lo
                                        ; implicit-def: $vgpr16
	v_cmpx_eq_u16_e32 46, v7
	s_cbranch_execz .LBB47_1098
; %bb.1097:                             ;   in Loop: Header=BB47_17 Depth=1
	flat_load_b32 v0, v[0:1]
	s_mov_b32 s28, exec_lo
	s_waitcnt vmcnt(0) lgkmcnt(0)
	v_lshlrev_b32_e32 v16, 16, v0
.LBB47_1098:                            ;   in Loop: Header=BB47_17 Depth=1
	s_or_b32 exec_lo, exec_lo, s29
	s_mov_b32 s29, -1
	s_and_b32 s28, s28, exec_lo
                                        ; implicit-def: $vgpr0_vgpr1
.LBB47_1099:                            ;   in Loop: Header=BB47_17 Depth=1
	s_and_not1_saveexec_b32 s27, s27
	s_cbranch_execz .LBB47_1103
; %bb.1100:                             ;   in Loop: Header=BB47_17 Depth=1
	s_mov_b32 s30, s28
	s_mov_b32 vcc_hi, exec_lo
                                        ; implicit-def: $vgpr16
	v_cmpx_eq_u16_e32 44, v7
	s_cbranch_execz .LBB47_1102
; %bb.1101:                             ;   in Loop: Header=BB47_17 Depth=1
	flat_load_u8 v0, v[0:1]
	s_or_b32 s30, s28, exec_lo
	s_waitcnt vmcnt(0) lgkmcnt(0)
	v_lshlrev_b32_e32 v1, 23, v0
	v_cmp_ne_u32_e32 vcc_lo, 0xff, v0
	s_delay_alu instid0(VALU_DEP_2) | instskip(SKIP_1) | instid1(VALU_DEP_2)
	v_cndmask_b32_e32 v1, 0x7f800001, v1, vcc_lo
	v_cmp_ne_u32_e32 vcc_lo, 0, v0
	v_cndmask_b32_e32 v16, 0x400000, v1, vcc_lo
.LBB47_1102:                            ;   in Loop: Header=BB47_17 Depth=1
	s_or_b32 exec_lo, exec_lo, vcc_hi
	s_delay_alu instid0(SALU_CYCLE_1)
	s_and_not1_b32 s28, s28, exec_lo
	s_and_b32 vcc_lo, s30, exec_lo
	s_and_not1_b32 s26, s26, exec_lo
	s_or_b32 s29, s29, exec_lo
	s_or_b32 s28, s28, vcc_lo
.LBB47_1103:                            ;   in Loop: Header=BB47_17 Depth=1
	s_or_b32 exec_lo, exec_lo, s27
	s_delay_alu instid0(SALU_CYCLE_1)
	s_and_b32 s27, s26, exec_lo
	s_and_b32 s26, s29, exec_lo
	;; [unrolled: 1-line block ×3, first 2 shown]
                                        ; implicit-def: $vgpr0_vgpr1
.LBB47_1104:                            ;   in Loop: Header=BB47_17 Depth=1
	s_and_not1_saveexec_b32 s25, s25
	s_cbranch_execz .LBB47_1108
; %bb.1105:                             ;   in Loop: Header=BB47_17 Depth=1
	s_mov_b32 vcc_hi, s28
	s_mov_b32 s29, exec_lo
                                        ; implicit-def: $vgpr16
	v_cmpx_eq_u16_e32 29, v7
	s_cbranch_execz .LBB47_1107
; %bb.1106:                             ;   in Loop: Header=BB47_17 Depth=1
	flat_load_b64 v[0:1], v[0:1]
	s_or_b32 vcc_hi, s28, exec_lo
	s_waitcnt vmcnt(0) lgkmcnt(0)
	v_clz_i32_u32_e32 v14, v1
	s_delay_alu instid0(VALU_DEP_1) | instskip(NEXT) | instid1(VALU_DEP_1)
	v_min_u32_e32 v14, 32, v14
	v_lshlrev_b64 v[0:1], v14, v[0:1]
	s_delay_alu instid0(VALU_DEP_1) | instskip(NEXT) | instid1(VALU_DEP_1)
	v_min_u32_e32 v0, 1, v0
	v_or_b32_e32 v0, v1, v0
	v_sub_nc_u32_e32 v1, 32, v14
	s_delay_alu instid0(VALU_DEP_2) | instskip(NEXT) | instid1(VALU_DEP_1)
	v_cvt_f32_u32_e32 v0, v0
	v_ldexp_f32 v16, v0, v1
.LBB47_1107:                            ;   in Loop: Header=BB47_17 Depth=1
	s_or_b32 exec_lo, exec_lo, s29
	s_delay_alu instid0(SALU_CYCLE_1)
	s_and_not1_b32 s28, s28, exec_lo
	s_and_b32 s29, vcc_hi, exec_lo
	s_and_not1_b32 s27, s27, exec_lo
	s_or_b32 s26, s26, exec_lo
	s_or_b32 s28, s28, s29
.LBB47_1108:                            ;   in Loop: Header=BB47_17 Depth=1
	s_or_b32 exec_lo, exec_lo, s25
	s_delay_alu instid0(SALU_CYCLE_1)
	s_and_b32 s27, s27, exec_lo
	s_and_b32 s26, s26, exec_lo
	;; [unrolled: 1-line block ×3, first 2 shown]
                                        ; implicit-def: $vgpr0_vgpr1
.LBB47_1109:                            ;   in Loop: Header=BB47_17 Depth=1
	s_and_not1_saveexec_b32 s21, s21
	s_cbranch_execz .LBB47_1123
; %bb.1110:                             ;   in Loop: Header=BB47_17 Depth=1
	s_mov_b32 s28, exec_lo
                                        ; implicit-def: $vgpr16
	v_cmpx_lt_i16_e32 26, v7
	s_xor_b32 s28, exec_lo, s28
	s_cbranch_execz .LBB47_1116
; %bb.1111:                             ;   in Loop: Header=BB47_17 Depth=1
	s_mov_b32 s29, exec_lo
                                        ; implicit-def: $vgpr16
	v_cmpx_lt_i16_e32 27, v7
	s_xor_b32 s29, exec_lo, s29
	s_cbranch_execz .LBB47_1113
; %bb.1112:                             ;   in Loop: Header=BB47_17 Depth=1
	flat_load_b32 v0, v[0:1]
	s_waitcnt vmcnt(0) lgkmcnt(0)
	v_cvt_f32_u32_e32 v16, v0
                                        ; implicit-def: $vgpr0_vgpr1
.LBB47_1113:                            ;   in Loop: Header=BB47_17 Depth=1
	s_and_not1_saveexec_b32 s29, s29
	s_cbranch_execz .LBB47_1115
; %bb.1114:                             ;   in Loop: Header=BB47_17 Depth=1
	flat_load_u16 v0, v[0:1]
	s_waitcnt vmcnt(0) lgkmcnt(0)
	v_cvt_f32_u32_e32 v16, v0
.LBB47_1115:                            ;   in Loop: Header=BB47_17 Depth=1
	s_or_b32 exec_lo, exec_lo, s29
                                        ; implicit-def: $vgpr0_vgpr1
.LBB47_1116:                            ;   in Loop: Header=BB47_17 Depth=1
	s_and_not1_saveexec_b32 s28, s28
	s_cbranch_execz .LBB47_1122
; %bb.1117:                             ;   in Loop: Header=BB47_17 Depth=1
	flat_load_u8 v0, v[0:1]
	s_mov_b32 s29, 0
	s_mov_b32 vcc_hi, exec_lo
                                        ; implicit-def: $sgpr30
	s_waitcnt vmcnt(0) lgkmcnt(0)
	v_cmpx_lt_i16_e32 0x7f, v0
	s_xor_b32 vcc_hi, exec_lo, vcc_hi
	s_cbranch_execnz .LBB47_1896
; %bb.1118:                             ;   in Loop: Header=BB47_17 Depth=1
	s_or_saveexec_b32 vcc_hi, vcc_hi
	v_mov_b32_e32 v16, s30
	s_xor_b32 exec_lo, exec_lo, vcc_hi
	s_cbranch_execnz .LBB47_1899
.LBB47_1119:                            ;   in Loop: Header=BB47_17 Depth=1
	s_or_b32 exec_lo, exec_lo, vcc_hi
	s_and_saveexec_b32 vcc_hi, s29
	s_cbranch_execz .LBB47_1121
.LBB47_1120:                            ;   in Loop: Header=BB47_17 Depth=1
	v_and_b32_e32 v1, 0xffff, v0
	v_lshlrev_b32_e32 v0, 24, v0
	s_delay_alu instid0(VALU_DEP_2) | instskip(NEXT) | instid1(VALU_DEP_2)
	v_and_b32_e32 v14, 7, v1
	v_and_b32_e32 v0, 0x80000000, v0
	s_delay_alu instid0(VALU_DEP_2) | instskip(NEXT) | instid1(VALU_DEP_1)
	v_clz_i32_u32_e32 v16, v14
	v_min_u32_e32 v16, 32, v16
	s_delay_alu instid0(VALU_DEP_1) | instskip(SKIP_1) | instid1(VALU_DEP_2)
	v_subrev_nc_u32_e32 v17, 28, v16
	v_sub_nc_u32_e32 v16, 29, v16
	v_lshlrev_b32_e32 v17, v17, v1
	v_bfe_u32 v1, v1, 3, 4
	s_delay_alu instid0(VALU_DEP_2) | instskip(NEXT) | instid1(VALU_DEP_2)
	v_and_b32_e32 v17, 7, v17
	v_cmp_eq_u32_e32 vcc_lo, 0, v1
	s_delay_alu instid0(VALU_DEP_2) | instskip(NEXT) | instid1(VALU_DEP_1)
	v_dual_cndmask_b32 v1, v1, v16 :: v_dual_cndmask_b32 v14, v14, v17
	v_lshl_add_u32 v1, v1, 23, 0x3b800000
	s_delay_alu instid0(VALU_DEP_2) | instskip(NEXT) | instid1(VALU_DEP_1)
	v_lshlrev_b32_e32 v14, 20, v14
	v_or3_b32 v16, v0, v1, v14
.LBB47_1121:                            ;   in Loop: Header=BB47_17 Depth=1
	s_or_b32 exec_lo, exec_lo, vcc_hi
.LBB47_1122:                            ;   in Loop: Header=BB47_17 Depth=1
	s_delay_alu instid0(SALU_CYCLE_1) | instskip(NEXT) | instid1(SALU_CYCLE_1)
	s_or_b32 exec_lo, exec_lo, s28
	s_and_not1_b32 s27, s27, exec_lo
	s_and_not1_b32 s26, s26, exec_lo
	s_or_b32 s25, s25, exec_lo
.LBB47_1123:                            ;   in Loop: Header=BB47_17 Depth=1
	s_or_b32 exec_lo, exec_lo, s21
	s_delay_alu instid0(SALU_CYCLE_1)
	s_and_b32 s21, s27, exec_lo
	s_and_b32 s26, s26, exec_lo
	;; [unrolled: 1-line block ×3, first 2 shown]
                                        ; implicit-def: $vgpr0_vgpr1
.LBB47_1124:                            ;   in Loop: Header=BB47_17 Depth=1
	s_and_not1_saveexec_b32 s20, s20
	s_cbranch_execz .LBB47_1150
; %bb.1125:                             ;   in Loop: Header=BB47_17 Depth=1
	s_mov_b32 s28, s25
	s_mov_b32 s27, exec_lo
                                        ; implicit-def: $vgpr16
	v_cmpx_lt_i16_e32 22, v7
	s_xor_b32 s27, exec_lo, s27
	s_cbranch_execz .LBB47_1139
; %bb.1126:                             ;   in Loop: Header=BB47_17 Depth=1
	s_mov_b32 s28, exec_lo
                                        ; implicit-def: $vgpr16
	v_cmpx_lt_i16_e32 23, v7
	s_xor_b32 s28, exec_lo, s28
	s_cbranch_execz .LBB47_1136
; %bb.1127:                             ;   in Loop: Header=BB47_17 Depth=1
	;; [unrolled: 6-line block ×3, first 2 shown]
	flat_load_u8 v0, v[0:1]
	s_mov_b32 vcc_hi, 0
	s_mov_b32 s31, exec_lo
                                        ; implicit-def: $sgpr30
	s_waitcnt vmcnt(0) lgkmcnt(0)
	v_cmpx_lt_i16_e32 0x7f, v0
	s_xor_b32 s31, exec_lo, s31
	s_cbranch_execnz .LBB47_2115
; %bb.1129:                             ;   in Loop: Header=BB47_17 Depth=1
	s_or_saveexec_b32 s31, s31
	v_mov_b32_e32 v16, s30
	s_xor_b32 exec_lo, exec_lo, s31
	s_cbranch_execnz .LBB47_2118
.LBB47_1130:                            ;   in Loop: Header=BB47_17 Depth=1
	s_or_b32 exec_lo, exec_lo, s31
	s_and_saveexec_b32 s30, vcc_hi
	s_cbranch_execz .LBB47_1132
.LBB47_1131:                            ;   in Loop: Header=BB47_17 Depth=1
	v_and_b32_e32 v1, 0xffff, v0
	v_lshlrev_b32_e32 v0, 24, v0
	s_delay_alu instid0(VALU_DEP_2) | instskip(NEXT) | instid1(VALU_DEP_2)
	v_and_b32_e32 v14, 3, v1
	v_and_b32_e32 v0, 0x80000000, v0
	s_delay_alu instid0(VALU_DEP_2) | instskip(NEXT) | instid1(VALU_DEP_1)
	v_clz_i32_u32_e32 v16, v14
	v_min_u32_e32 v16, 32, v16
	s_delay_alu instid0(VALU_DEP_1) | instskip(SKIP_1) | instid1(VALU_DEP_2)
	v_subrev_nc_u32_e32 v17, 29, v16
	v_sub_nc_u32_e32 v16, 30, v16
	v_lshlrev_b32_e32 v17, v17, v1
	v_bfe_u32 v1, v1, 2, 5
	s_delay_alu instid0(VALU_DEP_2) | instskip(NEXT) | instid1(VALU_DEP_2)
	v_and_b32_e32 v17, 3, v17
	v_cmp_eq_u32_e32 vcc_lo, 0, v1
	s_delay_alu instid0(VALU_DEP_2) | instskip(NEXT) | instid1(VALU_DEP_1)
	v_dual_cndmask_b32 v1, v1, v16 :: v_dual_cndmask_b32 v14, v14, v17
	v_lshl_add_u32 v1, v1, 23, 0x37800000
	s_delay_alu instid0(VALU_DEP_2) | instskip(NEXT) | instid1(VALU_DEP_1)
	v_lshlrev_b32_e32 v14, 21, v14
	v_or3_b32 v16, v0, v1, v14
.LBB47_1132:                            ;   in Loop: Header=BB47_17 Depth=1
	s_or_b32 exec_lo, exec_lo, s30
                                        ; implicit-def: $vgpr0_vgpr1
.LBB47_1133:                            ;   in Loop: Header=BB47_17 Depth=1
	s_and_not1_saveexec_b32 s29, s29
	s_cbranch_execz .LBB47_1135
; %bb.1134:                             ;   in Loop: Header=BB47_17 Depth=1
	flat_load_u8 v0, v[0:1]
	s_waitcnt vmcnt(0) lgkmcnt(0)
	v_lshlrev_b32_e32 v0, 24, v0
	s_delay_alu instid0(VALU_DEP_1) | instskip(NEXT) | instid1(VALU_DEP_1)
	v_and_b32_e32 v1, 0x7f000000, v0
	v_clz_i32_u32_e32 v14, v1
	v_add_nc_u32_e32 v17, 0x1000000, v1
	v_cmp_ne_u32_e32 vcc_lo, 0, v1
	s_delay_alu instid0(VALU_DEP_3) | instskip(NEXT) | instid1(VALU_DEP_1)
	v_min_u32_e32 v14, 32, v14
	v_sub_nc_u32_e64 v14, v14, 4 clamp
	s_delay_alu instid0(VALU_DEP_1) | instskip(SKIP_1) | instid1(VALU_DEP_2)
	v_lshlrev_b32_e32 v16, v14, v1
	v_lshlrev_b32_e32 v14, 23, v14
	v_lshrrev_b32_e32 v16, 4, v16
	s_delay_alu instid0(VALU_DEP_1) | instskip(SKIP_1) | instid1(VALU_DEP_2)
	v_sub_nc_u32_e32 v14, v16, v14
	v_ashrrev_i32_e32 v16, 8, v17
	v_add_nc_u32_e32 v14, 0x3c000000, v14
	s_delay_alu instid0(VALU_DEP_1) | instskip(NEXT) | instid1(VALU_DEP_1)
	v_and_or_b32 v14, 0x7f800000, v16, v14
	v_cndmask_b32_e32 v1, 0, v14, vcc_lo
	s_delay_alu instid0(VALU_DEP_1)
	v_and_or_b32 v16, 0x80000000, v0, v1
.LBB47_1135:                            ;   in Loop: Header=BB47_17 Depth=1
	s_or_b32 exec_lo, exec_lo, s29
                                        ; implicit-def: $vgpr0_vgpr1
.LBB47_1136:                            ;   in Loop: Header=BB47_17 Depth=1
	s_and_not1_saveexec_b32 s28, s28
	s_cbranch_execz .LBB47_1138
; %bb.1137:                             ;   in Loop: Header=BB47_17 Depth=1
	flat_load_u8 v0, v[0:1]
	s_waitcnt vmcnt(0) lgkmcnt(0)
	v_lshlrev_b32_e32 v1, 25, v0
	v_lshlrev_b16 v0, 8, v0
	s_delay_alu instid0(VALU_DEP_2) | instskip(NEXT) | instid1(VALU_DEP_2)
	v_lshrrev_b32_e32 v14, 4, v1
	v_and_or_b32 v16, 0x7f00, v0, 0.5
	v_bfe_i32 v0, v0, 0, 16
	s_delay_alu instid0(VALU_DEP_3) | instskip(NEXT) | instid1(VALU_DEP_3)
	v_or_b32_e32 v14, 0x70000000, v14
	v_add_f32_e32 v16, -0.5, v16
	s_delay_alu instid0(VALU_DEP_2) | instskip(SKIP_1) | instid1(VALU_DEP_2)
	v_mul_f32_e32 v14, 0x7800000, v14
	v_cmp_gt_u32_e32 vcc_lo, 0x8000000, v1
	v_cndmask_b32_e32 v1, v14, v16, vcc_lo
	s_delay_alu instid0(VALU_DEP_1)
	v_and_or_b32 v16, 0x80000000, v0, v1
.LBB47_1138:                            ;   in Loop: Header=BB47_17 Depth=1
	s_or_b32 exec_lo, exec_lo, s28
	s_delay_alu instid0(SALU_CYCLE_1)
	s_or_b32 s28, s25, exec_lo
                                        ; implicit-def: $vgpr0_vgpr1
.LBB47_1139:                            ;   in Loop: Header=BB47_17 Depth=1
	s_or_saveexec_b32 s27, s27
                                        ; implicit-def: $sgpr29
                                        ; implicit-def: $vcc_lo
	s_delay_alu instid0(SALU_CYCLE_1)
	s_xor_b32 exec_lo, exec_lo, s27
	s_cbranch_execz .LBB47_1149
; %bb.1140:                             ;   in Loop: Header=BB47_17 Depth=1
	s_mov_b32 vcc_hi, s28
	s_mov_b32 s31, exec_lo
                                        ; implicit-def: $sgpr30
                                        ; implicit-def: $sgpr29
                                        ; implicit-def: $vgpr16
	v_cmpx_lt_i16_e32 14, v7
	s_xor_b32 s31, exec_lo, s31
	s_cbranch_execz .LBB47_1144
; %bb.1141:                             ;   in Loop: Header=BB47_17 Depth=1
	s_mov_b32 vcc_hi, s28
	s_mov_b32 s29, exec_lo
                                        ; implicit-def: $vgpr16
	v_cmpx_eq_u16_e32 15, v7
	s_cbranch_execz .LBB47_1143
; %bb.1142:                             ;   in Loop: Header=BB47_17 Depth=1
	flat_load_u16 v0, v[0:1]
	s_or_b32 vcc_hi, s28, exec_lo
	s_waitcnt vmcnt(0) lgkmcnt(0)
	v_lshlrev_b32_e32 v16, 16, v0
.LBB47_1143:                            ;   in Loop: Header=BB47_17 Depth=1
	s_or_b32 exec_lo, exec_lo, s29
	s_delay_alu instid0(SALU_CYCLE_1)
	s_and_not1_b32 vcc_lo, s28, exec_lo
	s_and_b32 vcc_hi, vcc_hi, exec_lo
	s_mov_b32 s29, -1
	s_mov_b32 s30, 0
	s_or_b32 vcc_hi, vcc_lo, vcc_hi
                                        ; implicit-def: $vgpr0_vgpr1
.LBB47_1144:                            ;   in Loop: Header=BB47_17 Depth=1
	s_and_not1_saveexec_b32 s31, s31
	s_cbranch_execz .LBB47_1148
; %bb.1145:                             ;   in Loop: Header=BB47_17 Depth=1
	s_mov_b32 s34, vcc_hi
	s_mov_b32 s35, exec_lo
                                        ; implicit-def: $vgpr16
	v_cmpx_eq_u16_e32 11, v7
	s_cbranch_execz .LBB47_1147
; %bb.1146:                             ;   in Loop: Header=BB47_17 Depth=1
	flat_load_u8 v0, v[0:1]
	s_waitcnt vmcnt(0) lgkmcnt(0)
	v_cmp_ne_u16_e32 vcc_lo, 0, v0
	v_cndmask_b32_e64 v16, 0, 1.0, vcc_lo
	s_or_b32 s34, vcc_hi, exec_lo
.LBB47_1147:                            ;   in Loop: Header=BB47_17 Depth=1
	s_or_b32 exec_lo, exec_lo, s35
	s_delay_alu instid0(SALU_CYCLE_1)
	s_and_not1_b32 vcc_lo, vcc_hi, exec_lo
	s_and_b32 vcc_hi, s34, exec_lo
	s_and_not1_b32 s30, s30, exec_lo
	s_or_b32 s29, s29, exec_lo
	s_or_b32 vcc_hi, vcc_lo, vcc_hi
.LBB47_1148:                            ;   in Loop: Header=BB47_17 Depth=1
	s_or_b32 exec_lo, exec_lo, s31
	s_delay_alu instid0(SALU_CYCLE_1)
	s_and_not1_b32 s28, s28, exec_lo
	s_and_b32 vcc_hi, vcc_hi, exec_lo
	s_and_b32 vcc_lo, s30, exec_lo
	s_and_b32 s29, s29, exec_lo
	s_or_b32 s28, s28, vcc_hi
.LBB47_1149:                            ;   in Loop: Header=BB47_17 Depth=1
	s_or_b32 exec_lo, exec_lo, s27
	s_delay_alu instid0(SALU_CYCLE_1)
	s_and_not1_b32 s21, s21, exec_lo
	s_and_b32 s27, vcc_lo, exec_lo
	s_and_not1_b32 s26, s26, exec_lo
	s_or_b32 s21, s21, s27
	s_and_b32 s27, s29, exec_lo
	s_and_not1_b32 s25, s25, exec_lo
	s_and_b32 s28, s28, exec_lo
	s_or_b32 s26, s26, s27
	s_or_b32 s25, s25, s28
.LBB47_1150:                            ;   in Loop: Header=BB47_17 Depth=1
	s_or_b32 exec_lo, exec_lo, s20
	s_delay_alu instid0(SALU_CYCLE_1)
	s_and_b32 s21, s21, exec_lo
	s_and_b32 s20, s26, exec_lo
	;; [unrolled: 1-line block ×3, first 2 shown]
                                        ; implicit-def: $vgpr0_vgpr1
	s_and_not1_saveexec_b32 s24, s24
	s_cbranch_execz .LBB47_979
.LBB47_1151:                            ;   in Loop: Header=BB47_17 Depth=1
	s_mov_b32 s26, exec_lo
                                        ; implicit-def: $vgpr16
	v_cmpx_lt_i16_e32 4, v7
	s_xor_b32 s26, exec_lo, s26
	s_cbranch_execz .LBB47_1173
; %bb.1152:                             ;   in Loop: Header=BB47_17 Depth=1
	s_mov_b32 s27, exec_lo
                                        ; implicit-def: $vgpr16
	v_cmpx_lt_i16_e32 7, v7
	s_xor_b32 s27, exec_lo, s27
	s_cbranch_execz .LBB47_1162
; %bb.1153:                             ;   in Loop: Header=BB47_17 Depth=1
	;; [unrolled: 6-line block ×4, first 2 shown]
	flat_load_b64 v[0:1], v[0:1]
	s_waitcnt vmcnt(0) lgkmcnt(0)
	v_cvt_f32_f64_e32 v16, v[0:1]
                                        ; implicit-def: $vgpr0_vgpr1
.LBB47_1156:                            ;   in Loop: Header=BB47_17 Depth=1
	s_and_not1_saveexec_b32 s29, s29
	s_cbranch_execz .LBB47_1158
; %bb.1157:                             ;   in Loop: Header=BB47_17 Depth=1
	flat_load_b32 v16, v[0:1]
.LBB47_1158:                            ;   in Loop: Header=BB47_17 Depth=1
	s_or_b32 exec_lo, exec_lo, s29
                                        ; implicit-def: $vgpr0_vgpr1
.LBB47_1159:                            ;   in Loop: Header=BB47_17 Depth=1
	s_and_not1_saveexec_b32 s28, s28
	s_cbranch_execz .LBB47_1161
; %bb.1160:                             ;   in Loop: Header=BB47_17 Depth=1
	flat_load_b32 v0, v[0:1]
	s_waitcnt vmcnt(0) lgkmcnt(0)
	v_cvt_f32_f16_e32 v16, v0
.LBB47_1161:                            ;   in Loop: Header=BB47_17 Depth=1
	s_or_b32 exec_lo, exec_lo, s28
                                        ; implicit-def: $vgpr0_vgpr1
.LBB47_1162:                            ;   in Loop: Header=BB47_17 Depth=1
	s_and_not1_saveexec_b32 s27, s27
	s_cbranch_execz .LBB47_1172
; %bb.1163:                             ;   in Loop: Header=BB47_17 Depth=1
	s_mov_b32 s28, exec_lo
                                        ; implicit-def: $vgpr16
	v_cmpx_lt_i16_e32 5, v7
	s_xor_b32 s28, exec_lo, s28
	s_cbranch_execz .LBB47_1169
; %bb.1164:                             ;   in Loop: Header=BB47_17 Depth=1
	s_mov_b32 s29, exec_lo
                                        ; implicit-def: $vgpr16
	v_cmpx_lt_i16_e32 6, v7
	s_xor_b32 s29, exec_lo, s29
	s_cbranch_execz .LBB47_1166
; %bb.1165:                             ;   in Loop: Header=BB47_17 Depth=1
	flat_load_b64 v[0:1], v[0:1]
	s_waitcnt vmcnt(0) lgkmcnt(0)
	v_cvt_f32_f64_e32 v16, v[0:1]
                                        ; implicit-def: $vgpr0_vgpr1
.LBB47_1166:                            ;   in Loop: Header=BB47_17 Depth=1
	s_and_not1_saveexec_b32 s29, s29
	s_cbranch_execz .LBB47_1168
; %bb.1167:                             ;   in Loop: Header=BB47_17 Depth=1
	s_waitcnt vmcnt(0) lgkmcnt(0)
	flat_load_b32 v16, v[0:1]
.LBB47_1168:                            ;   in Loop: Header=BB47_17 Depth=1
	s_or_b32 exec_lo, exec_lo, s29
                                        ; implicit-def: $vgpr0_vgpr1
.LBB47_1169:                            ;   in Loop: Header=BB47_17 Depth=1
	s_and_not1_saveexec_b32 s28, s28
	s_cbranch_execz .LBB47_1171
; %bb.1170:                             ;   in Loop: Header=BB47_17 Depth=1
	flat_load_u16 v0, v[0:1]
	s_waitcnt vmcnt(0) lgkmcnt(0)
	v_cvt_f32_f16_e32 v16, v0
.LBB47_1171:                            ;   in Loop: Header=BB47_17 Depth=1
	s_or_b32 exec_lo, exec_lo, s28
.LBB47_1172:                            ;   in Loop: Header=BB47_17 Depth=1
	s_delay_alu instid0(SALU_CYCLE_1)
	s_or_b32 exec_lo, exec_lo, s27
                                        ; implicit-def: $vgpr0_vgpr1
.LBB47_1173:                            ;   in Loop: Header=BB47_17 Depth=1
	s_and_not1_saveexec_b32 s26, s26
	s_cbranch_execz .LBB47_1191
; %bb.1174:                             ;   in Loop: Header=BB47_17 Depth=1
	s_mov_b32 s27, exec_lo
                                        ; implicit-def: $vgpr16
	v_cmpx_lt_i16_e32 1, v7
	s_xor_b32 s27, exec_lo, s27
	s_cbranch_execz .LBB47_1184
; %bb.1175:                             ;   in Loop: Header=BB47_17 Depth=1
	s_mov_b32 s28, exec_lo
                                        ; implicit-def: $vgpr16
	v_cmpx_lt_i16_e32 2, v7
	s_xor_b32 s28, exec_lo, s28
	;; [unrolled: 6-line block ×3, first 2 shown]
	s_cbranch_execz .LBB47_1178
; %bb.1177:                             ;   in Loop: Header=BB47_17 Depth=1
	flat_load_b64 v[0:1], v[0:1]
	s_waitcnt vmcnt(0) lgkmcnt(0)
	v_xor_b32_e32 v14, v0, v1
	v_cls_i32_e32 v16, v1
	s_delay_alu instid0(VALU_DEP_2) | instskip(NEXT) | instid1(VALU_DEP_2)
	v_ashrrev_i32_e32 v14, 31, v14
	v_add_nc_u32_e32 v16, -1, v16
	s_delay_alu instid0(VALU_DEP_2) | instskip(NEXT) | instid1(VALU_DEP_1)
	v_add_nc_u32_e32 v14, 32, v14
	v_min_u32_e32 v14, v16, v14
	s_delay_alu instid0(VALU_DEP_1) | instskip(NEXT) | instid1(VALU_DEP_1)
	v_lshlrev_b64 v[0:1], v14, v[0:1]
	v_min_u32_e32 v0, 1, v0
	s_delay_alu instid0(VALU_DEP_1) | instskip(SKIP_1) | instid1(VALU_DEP_2)
	v_or_b32_e32 v0, v1, v0
	v_sub_nc_u32_e32 v1, 32, v14
	v_cvt_f32_i32_e32 v0, v0
	s_delay_alu instid0(VALU_DEP_1)
	v_ldexp_f32 v16, v0, v1
                                        ; implicit-def: $vgpr0_vgpr1
.LBB47_1178:                            ;   in Loop: Header=BB47_17 Depth=1
	s_and_not1_saveexec_b32 s29, s29
	s_cbranch_execz .LBB47_1180
; %bb.1179:                             ;   in Loop: Header=BB47_17 Depth=1
	flat_load_b32 v0, v[0:1]
	s_waitcnt vmcnt(0) lgkmcnt(0)
	v_cvt_f32_i32_e32 v16, v0
.LBB47_1180:                            ;   in Loop: Header=BB47_17 Depth=1
	s_or_b32 exec_lo, exec_lo, s29
                                        ; implicit-def: $vgpr0_vgpr1
.LBB47_1181:                            ;   in Loop: Header=BB47_17 Depth=1
	s_and_not1_saveexec_b32 s28, s28
	s_cbranch_execz .LBB47_1183
; %bb.1182:                             ;   in Loop: Header=BB47_17 Depth=1
	flat_load_i16 v0, v[0:1]
	s_waitcnt vmcnt(0) lgkmcnt(0)
	v_cvt_f32_i32_e32 v16, v0
.LBB47_1183:                            ;   in Loop: Header=BB47_17 Depth=1
	s_or_b32 exec_lo, exec_lo, s28
                                        ; implicit-def: $vgpr0_vgpr1
.LBB47_1184:                            ;   in Loop: Header=BB47_17 Depth=1
	s_and_not1_saveexec_b32 s27, s27
	s_cbranch_execz .LBB47_1190
; %bb.1185:                             ;   in Loop: Header=BB47_17 Depth=1
	s_mov_b32 s28, exec_lo
                                        ; implicit-def: $vgpr16
	v_cmpx_lt_i16_e32 0, v7
	s_xor_b32 s28, exec_lo, s28
	s_cbranch_execz .LBB47_1187
; %bb.1186:                             ;   in Loop: Header=BB47_17 Depth=1
	flat_load_i8 v0, v[0:1]
	s_waitcnt vmcnt(0) lgkmcnt(0)
	v_cvt_f32_i32_e32 v16, v0
                                        ; implicit-def: $vgpr0_vgpr1
.LBB47_1187:                            ;   in Loop: Header=BB47_17 Depth=1
	s_and_not1_saveexec_b32 s28, s28
	s_cbranch_execz .LBB47_1189
; %bb.1188:                             ;   in Loop: Header=BB47_17 Depth=1
	flat_load_u8 v0, v[0:1]
	s_waitcnt vmcnt(0) lgkmcnt(0)
	v_cvt_f32_ubyte0_e32 v16, v0
.LBB47_1189:                            ;   in Loop: Header=BB47_17 Depth=1
	s_or_b32 exec_lo, exec_lo, s28
.LBB47_1190:                            ;   in Loop: Header=BB47_17 Depth=1
	s_delay_alu instid0(SALU_CYCLE_1)
	s_or_b32 exec_lo, exec_lo, s27
.LBB47_1191:                            ;   in Loop: Header=BB47_17 Depth=1
	s_delay_alu instid0(SALU_CYCLE_1) | instskip(NEXT) | instid1(SALU_CYCLE_1)
	s_or_b32 exec_lo, exec_lo, s26
	s_and_not1_b32 s21, s21, exec_lo
	s_and_not1_b32 s20, s20, exec_lo
	s_or_b32 s25, s25, exec_lo
	s_or_b32 exec_lo, exec_lo, s24
	s_mov_b32 s26, 0
	s_and_saveexec_b32 s24, s25
	s_cbranch_execz .LBB47_1197
.LBB47_1192:                            ;   in Loop: Header=BB47_17 Depth=1
	v_add_nc_u32_e64 v14, s1, s33
	s_mov_b32 s28, 0
	s_mov_b32 s25, exec_lo
                                        ; implicit-def: $sgpr26
                                        ; implicit-def: $sgpr27
	s_delay_alu instid0(VALU_DEP_1) | instskip(SKIP_4) | instid1(VALU_DEP_2)
	v_add_nc_u32_e32 v0, 44, v14
	s_waitcnt vmcnt(0) lgkmcnt(0)
	scratch_store_b32 v0, v16, off
	v_mul_lo_u32 v0, v15, v10
	v_and_b32_e32 v16, 0xff, v8
                                        ; implicit-def: $vgpr15
	v_add_co_u32 v0, vcc_lo, v4, v0
	v_add_co_ci_u32_e32 v1, vcc_lo, 0, v5, vcc_lo
	s_delay_alu instid0(VALU_DEP_3)
	v_cmpx_lt_i16_e32 10, v16
	s_xor_b32 s25, exec_lo, s25
	s_cbranch_execnz .LBB47_1219
; %bb.1193:                             ;   in Loop: Header=BB47_17 Depth=1
	s_and_not1_saveexec_b32 s25, s25
	s_cbranch_execnz .LBB47_1278
.LBB47_1194:                            ;   in Loop: Header=BB47_17 Depth=1
	s_or_b32 exec_lo, exec_lo, s25
	s_mov_b32 s25, 0
	s_and_saveexec_b32 s29, s28
	s_cbranch_execz .LBB47_1196
.LBB47_1195:                            ;   in Loop: Header=BB47_17 Depth=1
	v_add_nc_u32_e32 v0, 40, v14
	v_add_nc_u32_e32 v13, 0x200, v13
	s_mov_b32 s25, exec_lo
	s_and_not1_b32 s27, s27, exec_lo
	s_and_not1_b32 s26, s26, exec_lo
	s_waitcnt vmcnt(0) lgkmcnt(0)
	scratch_store_b32 v0, v15, off
.LBB47_1196:                            ;   in Loop: Header=BB47_17 Depth=1
	s_or_b32 exec_lo, exec_lo, s29
	s_delay_alu instid0(SALU_CYCLE_1)
	s_and_not1_b32 s21, s21, exec_lo
	s_and_b32 s27, s27, exec_lo
	s_and_not1_b32 s20, s20, exec_lo
	s_and_b32 s26, s26, exec_lo
	s_or_b32 s21, s21, s27
	s_or_b32 s20, s20, s26
	s_and_b32 s26, s25, exec_lo
.LBB47_1197:                            ;   in Loop: Header=BB47_17 Depth=1
	s_or_b32 exec_lo, exec_lo, s24
	s_delay_alu instid0(SALU_CYCLE_1)
	s_and_b32 s21, s21, exec_lo
	s_and_b32 s20, s20, exec_lo
	s_or_not1_b32 s24, s26, exec_lo
.LBB47_1198:                            ;   in Loop: Header=BB47_17 Depth=1
	s_or_b32 exec_lo, exec_lo, s22
	s_and_saveexec_b32 s22, s24
	s_cbranch_execz .LBB47_11
; %bb.1199:                             ;   in Loop: Header=BB47_17 Depth=1
	s_mov_b32 s26, -1
	s_mov_b32 s27, -1
	s_mov_b32 s25, exec_lo
                                        ; implicit-def: $sgpr23
                                        ; implicit-def: $sgpr24
	v_cmpx_lt_i32_e64 v13, v6
	s_cbranch_execz .LBB47_1425
; %bb.1200:                             ;   in Loop: Header=BB47_17 Depth=1
	s_waitcnt vmcnt(0) lgkmcnt(0)
	v_add_nc_u32_e32 v15, s11, v13
	s_mov_b32 s28, 0
	s_mov_b32 s27, exec_lo
                                        ; implicit-def: $sgpr23
                                        ; implicit-def: $sgpr24
                                        ; implicit-def: $vgpr16
	s_delay_alu instid0(VALU_DEP_1) | instskip(NEXT) | instid1(VALU_DEP_1)
	v_mul_lo_u32 v0, v15, v9
	v_add_co_u32 v0, vcc_lo, v2, v0
	v_add_co_ci_u32_e32 v1, vcc_lo, 0, v3, vcc_lo
	v_cmpx_lt_i16_e32 10, v7
	s_xor_b32 s27, exec_lo, s27
	s_cbranch_execnz .LBB47_1319
; %bb.1201:                             ;   in Loop: Header=BB47_17 Depth=1
	s_and_not1_saveexec_b32 s27, s27
	s_cbranch_execnz .LBB47_1378
.LBB47_1202:                            ;   in Loop: Header=BB47_17 Depth=1
	s_or_b32 exec_lo, exec_lo, s27
	s_mov_b32 s29, 0
	s_and_saveexec_b32 s27, s28
	s_cbranch_execnz .LBB47_1419
	s_branch .LBB47_1424
.LBB47_1203:                            ;   in Loop: Header=BB47_17 Depth=1
	s_mov_b32 s19, -1
	s_mov_b32 s22, exec_lo
                                        ; implicit-def: $sgpr20
	v_cmpx_eq_u16_e32 0x80, v0
; %bb.1204:                             ;   in Loop: Header=BB47_17 Depth=1
	s_mov_b32 s20, 0x7f800001
	s_xor_b32 s19, exec_lo, -1
; %bb.1205:                             ;   in Loop: Header=BB47_17 Depth=1
	s_or_b32 exec_lo, exec_lo, s22
	s_delay_alu instid0(SALU_CYCLE_1)
	s_and_b32 s19, s19, exec_lo
	s_or_saveexec_b32 s21, s21
	v_mov_b32_e32 v15, s20
	s_xor_b32 exec_lo, exec_lo, s21
	s_cbranch_execz .LBB47_170
.LBB47_1206:                            ;   in Loop: Header=BB47_17 Depth=1
	v_cmp_ne_u16_e32 vcc_lo, 0, v0
	v_mov_b32_e32 v15, 0
	s_and_not1_b32 s19, s19, exec_lo
	s_and_b32 s20, vcc_lo, exec_lo
	s_delay_alu instid0(SALU_CYCLE_1)
	s_or_b32 s19, s19, s20
	s_or_b32 exec_lo, exec_lo, s21
	s_and_saveexec_b32 s20, s19
	s_cbranch_execnz .LBB47_171
	s_branch .LBB47_172
.LBB47_1207:                            ;   in Loop: Header=BB47_17 Depth=1
	s_mov_b32 s18, -1
	s_mov_b32 s21, exec_lo
                                        ; implicit-def: $sgpr19
	v_cmpx_eq_u16_e32 0x80, v0
; %bb.1208:                             ;   in Loop: Header=BB47_17 Depth=1
	s_mov_b32 s19, 0x7f800001
	s_xor_b32 s18, exec_lo, -1
; %bb.1209:                             ;   in Loop: Header=BB47_17 Depth=1
	s_or_b32 exec_lo, exec_lo, s21
	s_delay_alu instid0(SALU_CYCLE_1)
	s_and_b32 s18, s18, exec_lo
	s_or_saveexec_b32 s20, s20
	v_mov_b32_e32 v16, s19
	s_xor_b32 exec_lo, exec_lo, s20
	s_cbranch_execz .LBB47_270
.LBB47_1210:                            ;   in Loop: Header=BB47_17 Depth=1
	v_cmp_ne_u16_e32 vcc_lo, 0, v0
	v_mov_b32_e32 v16, 0
	s_and_not1_b32 s18, s18, exec_lo
	s_and_b32 s19, vcc_lo, exec_lo
	s_delay_alu instid0(SALU_CYCLE_1)
	s_or_b32 s18, s18, s19
	s_or_b32 exec_lo, exec_lo, s20
	s_and_saveexec_b32 s19, s18
	s_cbranch_execnz .LBB47_271
	s_branch .LBB47_272
.LBB47_1211:                            ;   in Loop: Header=BB47_17 Depth=1
	s_mov_b32 s20, -1
	s_mov_b32 s23, exec_lo
                                        ; implicit-def: $sgpr21
	v_cmpx_eq_u16_e32 0x80, v0
; %bb.1212:                             ;   in Loop: Header=BB47_17 Depth=1
	s_mov_b32 s21, 0x7f800001
	s_xor_b32 s20, exec_lo, -1
; %bb.1213:                             ;   in Loop: Header=BB47_17 Depth=1
	s_or_b32 exec_lo, exec_lo, s23
	s_delay_alu instid0(SALU_CYCLE_1)
	s_and_b32 s20, s20, exec_lo
	s_or_saveexec_b32 s22, s22
	v_mov_b32_e32 v15, s21
	s_xor_b32 exec_lo, exec_lo, s22
	s_cbranch_execz .LBB47_370
.LBB47_1214:                            ;   in Loop: Header=BB47_17 Depth=1
	v_cmp_ne_u16_e32 vcc_lo, 0, v0
	v_mov_b32_e32 v15, 0
	s_and_not1_b32 s20, s20, exec_lo
	s_and_b32 s21, vcc_lo, exec_lo
	s_delay_alu instid0(SALU_CYCLE_1)
	s_or_b32 s20, s20, s21
	s_or_b32 exec_lo, exec_lo, s22
	s_and_saveexec_b32 s21, s20
	s_cbranch_execnz .LBB47_371
	s_branch .LBB47_372
.LBB47_1215:                            ;   in Loop: Header=BB47_17 Depth=1
	s_mov_b32 s20, -1
	s_mov_b32 s23, exec_lo
                                        ; implicit-def: $sgpr21
	v_cmpx_eq_u16_e32 0x80, v0
; %bb.1216:                             ;   in Loop: Header=BB47_17 Depth=1
	s_mov_b32 s21, 0x7f800001
	s_xor_b32 s20, exec_lo, -1
; %bb.1217:                             ;   in Loop: Header=BB47_17 Depth=1
	s_or_b32 exec_lo, exec_lo, s23
	s_delay_alu instid0(SALU_CYCLE_1)
	s_and_b32 s20, s20, exec_lo
	s_or_saveexec_b32 s22, s22
	v_mov_b32_e32 v16, s21
	s_xor_b32 exec_lo, exec_lo, s22
	s_cbranch_execz .LBB47_470
.LBB47_1218:                            ;   in Loop: Header=BB47_17 Depth=1
	v_cmp_ne_u16_e32 vcc_lo, 0, v0
	v_mov_b32_e32 v16, 0
	s_and_not1_b32 s20, s20, exec_lo
	s_and_b32 s21, vcc_lo, exec_lo
	s_delay_alu instid0(SALU_CYCLE_1)
	s_or_b32 s20, s20, s21
	s_or_b32 exec_lo, exec_lo, s22
	s_and_saveexec_b32 s21, s20
	s_cbranch_execnz .LBB47_471
	s_branch .LBB47_472
.LBB47_1219:                            ;   in Loop: Header=BB47_17 Depth=1
	s_mov_b32 s26, exec_lo
                                        ; implicit-def: $sgpr29
                                        ; implicit-def: $sgpr27
                                        ; implicit-def: $vgpr15
	v_cmpx_lt_i16_e32 25, v16
	s_xor_b32 s26, exec_lo, s26
	s_cbranch_execz .LBB47_1251
; %bb.1220:                             ;   in Loop: Header=BB47_17 Depth=1
	s_mov_b32 s27, exec_lo
                                        ; implicit-def: $sgpr29
                                        ; implicit-def: $vcc_hi
                                        ; implicit-def: $vgpr15
	v_cmpx_lt_i16_e32 28, v16
	s_xor_b32 s27, exec_lo, s27
	s_cbranch_execz .LBB47_1236
; %bb.1221:                             ;   in Loop: Header=BB47_17 Depth=1
	s_mov_b32 s30, 0
	s_mov_b32 s28, exec_lo
                                        ; implicit-def: $sgpr29
                                        ; implicit-def: $vcc_hi
                                        ; implicit-def: $vgpr15
	v_cmpx_lt_i16_e32 43, v16
	s_xor_b32 s28, exec_lo, s28
	s_cbranch_execz .LBB47_1231
; %bb.1222:                             ;   in Loop: Header=BB47_17 Depth=1
	s_mov_b32 s31, exec_lo
                                        ; implicit-def: $vcc_hi
                                        ; implicit-def: $sgpr29
                                        ; implicit-def: $vgpr15
	v_cmpx_lt_i16_e32 45, v16
	s_xor_b32 s31, exec_lo, s31
	s_cbranch_execz .LBB47_1226
; %bb.1223:                             ;   in Loop: Header=BB47_17 Depth=1
	s_mov_b32 s29, 0
	s_mov_b32 vcc_hi, exec_lo
                                        ; implicit-def: $vgpr15
	v_cmpx_eq_u16_e32 46, v16
	s_cbranch_execz .LBB47_1225
; %bb.1224:                             ;   in Loop: Header=BB47_17 Depth=1
	flat_load_b32 v0, v[0:1]
	s_mov_b32 s30, exec_lo
	s_waitcnt vmcnt(0) lgkmcnt(0)
	v_lshlrev_b32_e32 v15, 16, v0
.LBB47_1225:                            ;   in Loop: Header=BB47_17 Depth=1
	s_or_b32 exec_lo, exec_lo, vcc_hi
	s_mov_b32 vcc_hi, -1
	s_and_b32 s30, s30, exec_lo
                                        ; implicit-def: $vgpr16
                                        ; implicit-def: $vgpr0_vgpr1
.LBB47_1226:                            ;   in Loop: Header=BB47_17 Depth=1
	s_and_not1_saveexec_b32 s31, s31
	s_cbranch_execz .LBB47_1230
; %bb.1227:                             ;   in Loop: Header=BB47_17 Depth=1
	s_mov_b32 s35, s30
	s_mov_b32 s34, exec_lo
                                        ; implicit-def: $vgpr15
	v_cmpx_eq_u16_e32 44, v16
	s_cbranch_execz .LBB47_1229
; %bb.1228:                             ;   in Loop: Header=BB47_17 Depth=1
	flat_load_u8 v0, v[0:1]
	s_or_b32 s35, s30, exec_lo
	s_waitcnt vmcnt(0) lgkmcnt(0)
	v_lshlrev_b32_e32 v1, 23, v0
	v_cmp_ne_u32_e32 vcc_lo, 0xff, v0
	s_delay_alu instid0(VALU_DEP_2) | instskip(SKIP_1) | instid1(VALU_DEP_2)
	v_cndmask_b32_e32 v1, 0x7f800001, v1, vcc_lo
	v_cmp_ne_u32_e32 vcc_lo, 0, v0
	v_cndmask_b32_e32 v15, 0x400000, v1, vcc_lo
.LBB47_1229:                            ;   in Loop: Header=BB47_17 Depth=1
	s_or_b32 exec_lo, exec_lo, s34
	s_delay_alu instid0(SALU_CYCLE_1)
	s_and_not1_b32 vcc_lo, s30, exec_lo
	s_and_b32 s30, s35, exec_lo
	s_or_b32 vcc_hi, vcc_hi, exec_lo
	s_and_not1_b32 s29, s29, exec_lo
	s_or_b32 s30, vcc_lo, s30
.LBB47_1230:                            ;   in Loop: Header=BB47_17 Depth=1
	s_or_b32 exec_lo, exec_lo, s31
	s_delay_alu instid0(SALU_CYCLE_1)
	s_and_b32 vcc_hi, vcc_hi, exec_lo
	s_and_b32 s29, s29, exec_lo
	s_and_b32 s30, s30, exec_lo
                                        ; implicit-def: $vgpr16
                                        ; implicit-def: $vgpr0_vgpr1
.LBB47_1231:                            ;   in Loop: Header=BB47_17 Depth=1
	s_and_not1_saveexec_b32 s28, s28
	s_cbranch_execz .LBB47_1235
; %bb.1232:                             ;   in Loop: Header=BB47_17 Depth=1
	s_mov_b32 s34, s30
	s_mov_b32 s31, exec_lo
                                        ; implicit-def: $vgpr15
	v_cmpx_eq_u16_e32 29, v16
	s_cbranch_execz .LBB47_1234
; %bb.1233:                             ;   in Loop: Header=BB47_17 Depth=1
	flat_load_b64 v[0:1], v[0:1]
	s_or_b32 s34, s30, exec_lo
	s_waitcnt vmcnt(0) lgkmcnt(0)
	v_clz_i32_u32_e32 v15, v1
	s_delay_alu instid0(VALU_DEP_1) | instskip(NEXT) | instid1(VALU_DEP_1)
	v_min_u32_e32 v15, 32, v15
	v_lshlrev_b64 v[0:1], v15, v[0:1]
	s_delay_alu instid0(VALU_DEP_1) | instskip(NEXT) | instid1(VALU_DEP_1)
	v_min_u32_e32 v0, 1, v0
	v_or_b32_e32 v0, v1, v0
	v_sub_nc_u32_e32 v1, 32, v15
	s_delay_alu instid0(VALU_DEP_2) | instskip(NEXT) | instid1(VALU_DEP_1)
	v_cvt_f32_u32_e32 v0, v0
	v_ldexp_f32 v15, v0, v1
.LBB47_1234:                            ;   in Loop: Header=BB47_17 Depth=1
	s_or_b32 exec_lo, exec_lo, s31
	s_delay_alu instid0(SALU_CYCLE_1)
	s_and_not1_b32 vcc_lo, s30, exec_lo
	s_and_b32 s30, s34, exec_lo
	s_or_b32 vcc_hi, vcc_hi, exec_lo
	s_and_not1_b32 s29, s29, exec_lo
	s_or_b32 s30, vcc_lo, s30
.LBB47_1235:                            ;   in Loop: Header=BB47_17 Depth=1
	s_or_b32 exec_lo, exec_lo, s28
	s_delay_alu instid0(SALU_CYCLE_1)
	s_and_b32 vcc_hi, vcc_hi, exec_lo
	s_and_b32 s29, s29, exec_lo
	s_and_b32 s28, s30, exec_lo
                                        ; implicit-def: $vgpr16
                                        ; implicit-def: $vgpr0_vgpr1
.LBB47_1236:                            ;   in Loop: Header=BB47_17 Depth=1
	s_and_not1_saveexec_b32 s27, s27
	s_cbranch_execz .LBB47_1250
; %bb.1237:                             ;   in Loop: Header=BB47_17 Depth=1
	s_mov_b32 s30, exec_lo
                                        ; implicit-def: $vgpr15
	v_cmpx_lt_i16_e32 26, v16
	s_xor_b32 s30, exec_lo, s30
	s_cbranch_execz .LBB47_1243
; %bb.1238:                             ;   in Loop: Header=BB47_17 Depth=1
	v_cmp_lt_i16_e32 vcc_lo, 27, v16
                                        ; implicit-def: $vgpr15
	s_and_saveexec_b32 s31, vcc_lo
	s_delay_alu instid0(SALU_CYCLE_1)
	s_xor_b32 vcc_lo, exec_lo, s31
	s_cbranch_execz .LBB47_1240
; %bb.1239:                             ;   in Loop: Header=BB47_17 Depth=1
	flat_load_b32 v0, v[0:1]
	s_waitcnt vmcnt(0) lgkmcnt(0)
	v_cvt_f32_u32_e32 v15, v0
                                        ; implicit-def: $vgpr0_vgpr1
.LBB47_1240:                            ;   in Loop: Header=BB47_17 Depth=1
	s_and_not1_saveexec_b32 vcc_lo, vcc_lo
	s_cbranch_execz .LBB47_1242
; %bb.1241:                             ;   in Loop: Header=BB47_17 Depth=1
	flat_load_u16 v0, v[0:1]
	s_waitcnt vmcnt(0) lgkmcnt(0)
	v_cvt_f32_u32_e32 v15, v0
.LBB47_1242:                            ;   in Loop: Header=BB47_17 Depth=1
	s_or_b32 exec_lo, exec_lo, vcc_lo
                                        ; implicit-def: $vgpr0_vgpr1
.LBB47_1243:                            ;   in Loop: Header=BB47_17 Depth=1
	s_and_not1_saveexec_b32 s30, s30
	s_cbranch_execz .LBB47_1249
; %bb.1244:                             ;   in Loop: Header=BB47_17 Depth=1
	flat_load_u8 v0, v[0:1]
	s_mov_b32 s31, 0
	s_mov_b32 s35, exec_lo
                                        ; implicit-def: $sgpr34
	s_waitcnt vmcnt(0) lgkmcnt(0)
	v_cmpx_lt_i16_e32 0x7f, v0
	s_xor_b32 s35, exec_lo, s35
	s_cbranch_execnz .LBB47_2119
; %bb.1245:                             ;   in Loop: Header=BB47_17 Depth=1
	s_or_saveexec_b32 s35, s35
	v_mov_b32_e32 v15, s34
	s_xor_b32 exec_lo, exec_lo, s35
	s_cbranch_execnz .LBB47_2122
.LBB47_1246:                            ;   in Loop: Header=BB47_17 Depth=1
	s_or_b32 exec_lo, exec_lo, s35
	s_and_saveexec_b32 s34, s31
	s_cbranch_execz .LBB47_1248
.LBB47_1247:                            ;   in Loop: Header=BB47_17 Depth=1
	v_and_b32_e32 v1, 0xffff, v0
	s_delay_alu instid0(VALU_DEP_1) | instskip(NEXT) | instid1(VALU_DEP_1)
	v_and_b32_e32 v15, 7, v1
	v_clz_i32_u32_e32 v16, v15
	s_delay_alu instid0(VALU_DEP_1) | instskip(NEXT) | instid1(VALU_DEP_1)
	v_min_u32_e32 v16, 32, v16
	v_subrev_nc_u32_e32 v17, 28, v16
	v_sub_nc_u32_e32 v16, 29, v16
	s_delay_alu instid0(VALU_DEP_2) | instskip(SKIP_1) | instid1(VALU_DEP_2)
	v_lshlrev_b32_e32 v17, v17, v1
	v_bfe_u32 v1, v1, 3, 4
	v_and_b32_e32 v17, 7, v17
	s_delay_alu instid0(VALU_DEP_2) | instskip(NEXT) | instid1(VALU_DEP_2)
	v_cmp_eq_u32_e32 vcc_lo, 0, v1
	v_dual_cndmask_b32 v15, v15, v17 :: v_dual_lshlrev_b32 v0, 24, v0
	v_cndmask_b32_e32 v1, v1, v16, vcc_lo
	s_delay_alu instid0(VALU_DEP_2) | instskip(NEXT) | instid1(VALU_DEP_3)
	v_and_b32_e32 v0, 0x80000000, v0
	v_lshlrev_b32_e32 v15, 20, v15
	s_delay_alu instid0(VALU_DEP_3) | instskip(NEXT) | instid1(VALU_DEP_1)
	v_lshl_add_u32 v1, v1, 23, 0x3b800000
	v_or3_b32 v15, v0, v1, v15
.LBB47_1248:                            ;   in Loop: Header=BB47_17 Depth=1
	s_or_b32 exec_lo, exec_lo, s34
.LBB47_1249:                            ;   in Loop: Header=BB47_17 Depth=1
	s_delay_alu instid0(SALU_CYCLE_1) | instskip(NEXT) | instid1(SALU_CYCLE_1)
	s_or_b32 exec_lo, exec_lo, s30
	s_and_not1_b32 vcc_hi, vcc_hi, exec_lo
	s_and_not1_b32 s29, s29, exec_lo
	s_or_b32 s28, s28, exec_lo
.LBB47_1250:                            ;   in Loop: Header=BB47_17 Depth=1
	s_or_b32 exec_lo, exec_lo, s27
	s_delay_alu instid0(SALU_CYCLE_1)
	s_and_b32 s27, vcc_hi, exec_lo
	s_and_b32 s29, s29, exec_lo
	s_and_b32 s28, s28, exec_lo
                                        ; implicit-def: $vgpr16
                                        ; implicit-def: $vgpr0_vgpr1
.LBB47_1251:                            ;   in Loop: Header=BB47_17 Depth=1
	s_and_not1_saveexec_b32 s26, s26
	s_cbranch_execz .LBB47_1277
; %bb.1252:                             ;   in Loop: Header=BB47_17 Depth=1
	s_mov_b32 s30, s28
	s_mov_b32 vcc_hi, exec_lo
                                        ; implicit-def: $vgpr15
	v_cmpx_lt_i16_e32 22, v16
	s_xor_b32 vcc_hi, exec_lo, vcc_hi
	s_cbranch_execz .LBB47_1266
; %bb.1253:                             ;   in Loop: Header=BB47_17 Depth=1
	s_mov_b32 s30, exec_lo
                                        ; implicit-def: $vgpr15
	v_cmpx_lt_i16_e32 23, v16
	s_xor_b32 s30, exec_lo, s30
	s_cbranch_execz .LBB47_1263
; %bb.1254:                             ;   in Loop: Header=BB47_17 Depth=1
	s_mov_b32 s31, exec_lo
                                        ; implicit-def: $vgpr15
	v_cmpx_lt_i16_e32 24, v16
	s_xor_b32 s31, exec_lo, s31
	s_cbranch_execz .LBB47_1260
; %bb.1255:                             ;   in Loop: Header=BB47_17 Depth=1
	flat_load_u8 v0, v[0:1]
	s_mov_b32 s34, 0
	s_mov_b32 s36, exec_lo
                                        ; implicit-def: $sgpr35
	s_waitcnt vmcnt(0) lgkmcnt(0)
	v_cmpx_lt_i16_e32 0x7f, v0
	s_xor_b32 s36, exec_lo, s36
	s_cbranch_execnz .LBB47_2338
; %bb.1256:                             ;   in Loop: Header=BB47_17 Depth=1
	s_or_saveexec_b32 s36, s36
	v_mov_b32_e32 v15, s35
	s_xor_b32 exec_lo, exec_lo, s36
	s_cbranch_execnz .LBB47_2341
.LBB47_1257:                            ;   in Loop: Header=BB47_17 Depth=1
	s_or_b32 exec_lo, exec_lo, s36
	s_and_saveexec_b32 s35, s34
	s_cbranch_execz .LBB47_1259
.LBB47_1258:                            ;   in Loop: Header=BB47_17 Depth=1
	v_and_b32_e32 v1, 0xffff, v0
	s_delay_alu instid0(VALU_DEP_1) | instskip(NEXT) | instid1(VALU_DEP_1)
	v_and_b32_e32 v15, 3, v1
	v_clz_i32_u32_e32 v16, v15
	s_delay_alu instid0(VALU_DEP_1) | instskip(NEXT) | instid1(VALU_DEP_1)
	v_min_u32_e32 v16, 32, v16
	v_subrev_nc_u32_e32 v17, 29, v16
	v_sub_nc_u32_e32 v16, 30, v16
	s_delay_alu instid0(VALU_DEP_2) | instskip(SKIP_1) | instid1(VALU_DEP_2)
	v_lshlrev_b32_e32 v17, v17, v1
	v_bfe_u32 v1, v1, 2, 5
	v_and_b32_e32 v17, 3, v17
	s_delay_alu instid0(VALU_DEP_2) | instskip(NEXT) | instid1(VALU_DEP_2)
	v_cmp_eq_u32_e32 vcc_lo, 0, v1
	v_dual_cndmask_b32 v15, v15, v17 :: v_dual_lshlrev_b32 v0, 24, v0
	v_cndmask_b32_e32 v1, v1, v16, vcc_lo
	s_delay_alu instid0(VALU_DEP_2) | instskip(NEXT) | instid1(VALU_DEP_3)
	v_and_b32_e32 v0, 0x80000000, v0
	v_lshlrev_b32_e32 v15, 21, v15
	s_delay_alu instid0(VALU_DEP_3) | instskip(NEXT) | instid1(VALU_DEP_1)
	v_lshl_add_u32 v1, v1, 23, 0x37800000
	v_or3_b32 v15, v0, v1, v15
.LBB47_1259:                            ;   in Loop: Header=BB47_17 Depth=1
	s_or_b32 exec_lo, exec_lo, s35
                                        ; implicit-def: $vgpr0_vgpr1
.LBB47_1260:                            ;   in Loop: Header=BB47_17 Depth=1
	s_and_not1_saveexec_b32 s31, s31
	s_cbranch_execz .LBB47_1262
; %bb.1261:                             ;   in Loop: Header=BB47_17 Depth=1
	flat_load_u8 v0, v[0:1]
	s_waitcnt vmcnt(0) lgkmcnt(0)
	v_lshlrev_b32_e32 v0, 24, v0
	s_delay_alu instid0(VALU_DEP_1) | instskip(NEXT) | instid1(VALU_DEP_1)
	v_and_b32_e32 v1, 0x7f000000, v0
	v_clz_i32_u32_e32 v15, v1
	v_add_nc_u32_e32 v17, 0x1000000, v1
	v_cmp_ne_u32_e32 vcc_lo, 0, v1
	s_delay_alu instid0(VALU_DEP_3) | instskip(NEXT) | instid1(VALU_DEP_1)
	v_min_u32_e32 v15, 32, v15
	v_sub_nc_u32_e64 v15, v15, 4 clamp
	s_delay_alu instid0(VALU_DEP_1) | instskip(SKIP_1) | instid1(VALU_DEP_2)
	v_lshlrev_b32_e32 v16, v15, v1
	v_lshlrev_b32_e32 v15, 23, v15
	v_lshrrev_b32_e32 v16, 4, v16
	s_delay_alu instid0(VALU_DEP_1) | instskip(SKIP_1) | instid1(VALU_DEP_2)
	v_sub_nc_u32_e32 v15, v16, v15
	v_ashrrev_i32_e32 v16, 8, v17
	v_add_nc_u32_e32 v15, 0x3c000000, v15
	s_delay_alu instid0(VALU_DEP_1) | instskip(NEXT) | instid1(VALU_DEP_1)
	v_and_or_b32 v15, 0x7f800000, v16, v15
	v_cndmask_b32_e32 v1, 0, v15, vcc_lo
	s_delay_alu instid0(VALU_DEP_1)
	v_and_or_b32 v15, 0x80000000, v0, v1
.LBB47_1262:                            ;   in Loop: Header=BB47_17 Depth=1
	s_or_b32 exec_lo, exec_lo, s31
                                        ; implicit-def: $vgpr0_vgpr1
.LBB47_1263:                            ;   in Loop: Header=BB47_17 Depth=1
	s_and_not1_saveexec_b32 s30, s30
	s_cbranch_execz .LBB47_1265
; %bb.1264:                             ;   in Loop: Header=BB47_17 Depth=1
	flat_load_u8 v0, v[0:1]
	s_waitcnt vmcnt(0) lgkmcnt(0)
	v_lshlrev_b32_e32 v1, 25, v0
	v_lshlrev_b16 v0, 8, v0
	s_delay_alu instid0(VALU_DEP_2) | instskip(NEXT) | instid1(VALU_DEP_2)
	v_lshrrev_b32_e32 v15, 4, v1
	v_and_or_b32 v16, 0x7f00, v0, 0.5
	v_cmp_gt_u32_e32 vcc_lo, 0x8000000, v1
	v_bfe_i32 v0, v0, 0, 16
	s_delay_alu instid0(VALU_DEP_4) | instskip(NEXT) | instid1(VALU_DEP_1)
	v_or_b32_e32 v15, 0x70000000, v15
	v_dual_add_f32 v16, -0.5, v16 :: v_dual_mul_f32 v15, 0x7800000, v15
	s_delay_alu instid0(VALU_DEP_1) | instskip(NEXT) | instid1(VALU_DEP_1)
	v_cndmask_b32_e32 v1, v15, v16, vcc_lo
	v_and_or_b32 v15, 0x80000000, v0, v1
.LBB47_1265:                            ;   in Loop: Header=BB47_17 Depth=1
	s_or_b32 exec_lo, exec_lo, s30
	s_delay_alu instid0(SALU_CYCLE_1)
	s_or_b32 s30, s28, exec_lo
                                        ; implicit-def: $vgpr16
                                        ; implicit-def: $vgpr0_vgpr1
.LBB47_1266:                            ;   in Loop: Header=BB47_17 Depth=1
	s_or_saveexec_b32 vcc_hi, vcc_hi
                                        ; implicit-def: $sgpr31
                                        ; implicit-def: $vcc_lo
	s_delay_alu instid0(SALU_CYCLE_1)
	s_xor_b32 exec_lo, exec_lo, vcc_hi
	s_cbranch_execz .LBB47_1276
; %bb.1267:                             ;   in Loop: Header=BB47_17 Depth=1
	s_mov_b32 s34, s30
	s_mov_b32 s36, exec_lo
                                        ; implicit-def: $sgpr35
                                        ; implicit-def: $sgpr31
                                        ; implicit-def: $vgpr15
	v_cmpx_lt_i16_e32 14, v16
	s_xor_b32 s36, exec_lo, s36
	s_cbranch_execz .LBB47_1271
; %bb.1268:                             ;   in Loop: Header=BB47_17 Depth=1
	s_mov_b32 s34, s30
	s_mov_b32 s31, exec_lo
                                        ; implicit-def: $vgpr15
	v_cmpx_eq_u16_e32 15, v16
	s_cbranch_execz .LBB47_1270
; %bb.1269:                             ;   in Loop: Header=BB47_17 Depth=1
	flat_load_u16 v0, v[0:1]
	s_or_b32 s34, s30, exec_lo
	s_waitcnt vmcnt(0) lgkmcnt(0)
	v_lshlrev_b32_e32 v15, 16, v0
.LBB47_1270:                            ;   in Loop: Header=BB47_17 Depth=1
	s_or_b32 exec_lo, exec_lo, s31
	s_delay_alu instid0(SALU_CYCLE_1)
	s_and_not1_b32 vcc_lo, s30, exec_lo
	s_and_b32 s34, s34, exec_lo
	s_mov_b32 s31, 0
	s_mov_b32 s35, -1
	s_or_b32 s34, vcc_lo, s34
                                        ; implicit-def: $vgpr16
                                        ; implicit-def: $vgpr0_vgpr1
.LBB47_1271:                            ;   in Loop: Header=BB47_17 Depth=1
	s_and_not1_saveexec_b32 s36, s36
	s_cbranch_execz .LBB47_1275
; %bb.1272:                             ;   in Loop: Header=BB47_17 Depth=1
	s_mov_b32 s37, s34
	s_mov_b32 s38, exec_lo
                                        ; implicit-def: $vgpr15
	v_cmpx_eq_u16_e32 11, v16
	s_cbranch_execz .LBB47_1274
; %bb.1273:                             ;   in Loop: Header=BB47_17 Depth=1
	flat_load_u8 v0, v[0:1]
	s_or_b32 s37, s34, exec_lo
	s_waitcnt vmcnt(0) lgkmcnt(0)
	v_cmp_ne_u16_e32 vcc_lo, 0, v0
	v_cndmask_b32_e64 v15, 0, 1.0, vcc_lo
.LBB47_1274:                            ;   in Loop: Header=BB47_17 Depth=1
	s_or_b32 exec_lo, exec_lo, s38
	s_delay_alu instid0(SALU_CYCLE_1)
	s_and_not1_b32 vcc_lo, s34, exec_lo
	s_and_b32 s34, s37, exec_lo
	s_or_b32 s35, s35, exec_lo
	s_and_not1_b32 s31, s31, exec_lo
	s_or_b32 s34, vcc_lo, s34
.LBB47_1275:                            ;   in Loop: Header=BB47_17 Depth=1
	s_or_b32 exec_lo, exec_lo, s36
	s_delay_alu instid0(SALU_CYCLE_1)
	s_and_not1_b32 s30, s30, exec_lo
	s_and_b32 s34, s34, exec_lo
	s_and_b32 vcc_lo, s35, exec_lo
	s_and_b32 s31, s31, exec_lo
	s_or_b32 s30, s30, s34
.LBB47_1276:                            ;   in Loop: Header=BB47_17 Depth=1
	s_or_b32 exec_lo, exec_lo, vcc_hi
	s_delay_alu instid0(SALU_CYCLE_1)
	s_and_not1_b32 s27, s27, exec_lo
	s_and_b32 vcc_lo, vcc_lo, exec_lo
	s_and_not1_b32 s29, s29, exec_lo
	s_or_b32 s27, s27, vcc_lo
	s_and_b32 vcc_lo, s31, exec_lo
	s_and_not1_b32 s28, s28, exec_lo
	s_and_b32 vcc_hi, s30, exec_lo
	s_or_b32 s29, s29, vcc_lo
	s_or_b32 s28, s28, vcc_hi
.LBB47_1277:                            ;   in Loop: Header=BB47_17 Depth=1
	s_or_b32 exec_lo, exec_lo, s26
	s_delay_alu instid0(SALU_CYCLE_1)
	s_and_b32 s27, s27, exec_lo
	s_and_b32 s26, s29, exec_lo
	;; [unrolled: 1-line block ×3, first 2 shown]
                                        ; implicit-def: $vgpr16
                                        ; implicit-def: $vgpr0_vgpr1
	s_and_not1_saveexec_b32 s25, s25
	s_cbranch_execz .LBB47_1194
.LBB47_1278:                            ;   in Loop: Header=BB47_17 Depth=1
	s_mov_b32 s29, exec_lo
                                        ; implicit-def: $vgpr15
	v_cmpx_lt_i16_e32 4, v16
	s_xor_b32 s29, exec_lo, s29
	s_cbranch_execz .LBB47_1300
; %bb.1279:                             ;   in Loop: Header=BB47_17 Depth=1
	s_mov_b32 vcc_hi, exec_lo
                                        ; implicit-def: $vgpr15
	v_cmpx_lt_i16_e32 7, v16
	s_xor_b32 vcc_hi, exec_lo, vcc_hi
	s_cbranch_execz .LBB47_1289
; %bb.1280:                             ;   in Loop: Header=BB47_17 Depth=1
	s_mov_b32 s30, exec_lo
                                        ; implicit-def: $vgpr15
	v_cmpx_lt_i16_e32 8, v16
	s_xor_b32 s30, exec_lo, s30
	s_cbranch_execz .LBB47_1286
; %bb.1281:                             ;   in Loop: Header=BB47_17 Depth=1
	v_cmp_lt_i16_e32 vcc_lo, 9, v16
                                        ; implicit-def: $vgpr15
	s_and_saveexec_b32 s31, vcc_lo
	s_delay_alu instid0(SALU_CYCLE_1)
	s_xor_b32 vcc_lo, exec_lo, s31
	s_cbranch_execz .LBB47_1283
; %bb.1282:                             ;   in Loop: Header=BB47_17 Depth=1
	flat_load_b64 v[0:1], v[0:1]
	s_waitcnt vmcnt(0) lgkmcnt(0)
	v_cvt_f32_f64_e32 v15, v[0:1]
                                        ; implicit-def: $vgpr0_vgpr1
.LBB47_1283:                            ;   in Loop: Header=BB47_17 Depth=1
	s_and_not1_saveexec_b32 vcc_lo, vcc_lo
	s_cbranch_execz .LBB47_1285
; %bb.1284:                             ;   in Loop: Header=BB47_17 Depth=1
	flat_load_b32 v15, v[0:1]
.LBB47_1285:                            ;   in Loop: Header=BB47_17 Depth=1
	s_or_b32 exec_lo, exec_lo, vcc_lo
                                        ; implicit-def: $vgpr0_vgpr1
.LBB47_1286:                            ;   in Loop: Header=BB47_17 Depth=1
	s_and_not1_saveexec_b32 vcc_lo, s30
	s_cbranch_execz .LBB47_1288
; %bb.1287:                             ;   in Loop: Header=BB47_17 Depth=1
	flat_load_b32 v0, v[0:1]
	s_waitcnt vmcnt(0) lgkmcnt(0)
	v_cvt_f32_f16_e32 v15, v0
.LBB47_1288:                            ;   in Loop: Header=BB47_17 Depth=1
	s_or_b32 exec_lo, exec_lo, vcc_lo
                                        ; implicit-def: $vgpr0_vgpr1
                                        ; implicit-def: $vgpr16
.LBB47_1289:                            ;   in Loop: Header=BB47_17 Depth=1
	s_and_not1_saveexec_b32 vcc_hi, vcc_hi
	s_cbranch_execz .LBB47_1299
; %bb.1290:                             ;   in Loop: Header=BB47_17 Depth=1
	s_mov_b32 s30, exec_lo
                                        ; implicit-def: $vgpr15
	v_cmpx_lt_i16_e32 5, v16
	s_xor_b32 s30, exec_lo, s30
	s_cbranch_execz .LBB47_1296
; %bb.1291:                             ;   in Loop: Header=BB47_17 Depth=1
	v_cmp_lt_i16_e32 vcc_lo, 6, v16
                                        ; implicit-def: $vgpr15
	s_and_saveexec_b32 s31, vcc_lo
	s_delay_alu instid0(SALU_CYCLE_1)
	s_xor_b32 vcc_lo, exec_lo, s31
	s_cbranch_execz .LBB47_1293
; %bb.1292:                             ;   in Loop: Header=BB47_17 Depth=1
	flat_load_b64 v[0:1], v[0:1]
	s_waitcnt vmcnt(0) lgkmcnt(0)
	v_cvt_f32_f64_e32 v15, v[0:1]
                                        ; implicit-def: $vgpr0_vgpr1
.LBB47_1293:                            ;   in Loop: Header=BB47_17 Depth=1
	s_and_not1_saveexec_b32 vcc_lo, vcc_lo
	s_cbranch_execz .LBB47_1295
; %bb.1294:                             ;   in Loop: Header=BB47_17 Depth=1
	s_waitcnt vmcnt(0) lgkmcnt(0)
	flat_load_b32 v15, v[0:1]
.LBB47_1295:                            ;   in Loop: Header=BB47_17 Depth=1
	s_or_b32 exec_lo, exec_lo, vcc_lo
                                        ; implicit-def: $vgpr0_vgpr1
.LBB47_1296:                            ;   in Loop: Header=BB47_17 Depth=1
	s_and_not1_saveexec_b32 vcc_lo, s30
	s_cbranch_execz .LBB47_1298
; %bb.1297:                             ;   in Loop: Header=BB47_17 Depth=1
	flat_load_u16 v0, v[0:1]
	s_waitcnt vmcnt(0) lgkmcnt(0)
	v_cvt_f32_f16_e32 v15, v0
.LBB47_1298:                            ;   in Loop: Header=BB47_17 Depth=1
	s_or_b32 exec_lo, exec_lo, vcc_lo
.LBB47_1299:                            ;   in Loop: Header=BB47_17 Depth=1
	s_delay_alu instid0(SALU_CYCLE_1)
	s_or_b32 exec_lo, exec_lo, vcc_hi
                                        ; implicit-def: $vgpr16
                                        ; implicit-def: $vgpr0_vgpr1
.LBB47_1300:                            ;   in Loop: Header=BB47_17 Depth=1
	s_and_not1_saveexec_b32 s29, s29
	s_cbranch_execz .LBB47_1318
; %bb.1301:                             ;   in Loop: Header=BB47_17 Depth=1
	s_mov_b32 vcc_hi, exec_lo
                                        ; implicit-def: $vgpr15
	v_cmpx_lt_i16_e32 1, v16
	s_xor_b32 vcc_hi, exec_lo, vcc_hi
	s_cbranch_execz .LBB47_1311
; %bb.1302:                             ;   in Loop: Header=BB47_17 Depth=1
	s_mov_b32 s30, exec_lo
                                        ; implicit-def: $vgpr15
	v_cmpx_lt_i16_e32 2, v16
	s_xor_b32 s30, exec_lo, s30
	s_cbranch_execz .LBB47_1308
; %bb.1303:                             ;   in Loop: Header=BB47_17 Depth=1
	v_cmp_lt_i16_e32 vcc_lo, 3, v16
                                        ; implicit-def: $vgpr15
	s_and_saveexec_b32 s31, vcc_lo
	s_delay_alu instid0(SALU_CYCLE_1)
	s_xor_b32 vcc_lo, exec_lo, s31
	s_cbranch_execz .LBB47_1305
; %bb.1304:                             ;   in Loop: Header=BB47_17 Depth=1
	flat_load_b64 v[0:1], v[0:1]
	s_waitcnt vmcnt(0) lgkmcnt(0)
	v_xor_b32_e32 v15, v0, v1
	v_cls_i32_e32 v16, v1
	s_delay_alu instid0(VALU_DEP_2) | instskip(NEXT) | instid1(VALU_DEP_2)
	v_ashrrev_i32_e32 v15, 31, v15
	v_add_nc_u32_e32 v16, -1, v16
	s_delay_alu instid0(VALU_DEP_2) | instskip(NEXT) | instid1(VALU_DEP_1)
	v_add_nc_u32_e32 v15, 32, v15
	v_min_u32_e32 v15, v16, v15
	s_delay_alu instid0(VALU_DEP_1) | instskip(NEXT) | instid1(VALU_DEP_1)
	v_lshlrev_b64 v[0:1], v15, v[0:1]
	v_min_u32_e32 v0, 1, v0
	s_delay_alu instid0(VALU_DEP_1) | instskip(SKIP_1) | instid1(VALU_DEP_2)
	v_or_b32_e32 v0, v1, v0
	v_sub_nc_u32_e32 v1, 32, v15
	v_cvt_f32_i32_e32 v0, v0
	s_delay_alu instid0(VALU_DEP_1)
	v_ldexp_f32 v15, v0, v1
                                        ; implicit-def: $vgpr0_vgpr1
.LBB47_1305:                            ;   in Loop: Header=BB47_17 Depth=1
	s_and_not1_saveexec_b32 vcc_lo, vcc_lo
	s_cbranch_execz .LBB47_1307
; %bb.1306:                             ;   in Loop: Header=BB47_17 Depth=1
	flat_load_b32 v0, v[0:1]
	s_waitcnt vmcnt(0) lgkmcnt(0)
	v_cvt_f32_i32_e32 v15, v0
.LBB47_1307:                            ;   in Loop: Header=BB47_17 Depth=1
	s_or_b32 exec_lo, exec_lo, vcc_lo
                                        ; implicit-def: $vgpr0_vgpr1
.LBB47_1308:                            ;   in Loop: Header=BB47_17 Depth=1
	s_and_not1_saveexec_b32 vcc_lo, s30
	s_cbranch_execz .LBB47_1310
; %bb.1309:                             ;   in Loop: Header=BB47_17 Depth=1
	flat_load_i16 v0, v[0:1]
	s_waitcnt vmcnt(0) lgkmcnt(0)
	v_cvt_f32_i32_e32 v15, v0
.LBB47_1310:                            ;   in Loop: Header=BB47_17 Depth=1
	s_or_b32 exec_lo, exec_lo, vcc_lo
                                        ; implicit-def: $vgpr0_vgpr1
                                        ; implicit-def: $vgpr16
.LBB47_1311:                            ;   in Loop: Header=BB47_17 Depth=1
	s_and_not1_saveexec_b32 vcc_hi, vcc_hi
	s_cbranch_execz .LBB47_1317
; %bb.1312:                             ;   in Loop: Header=BB47_17 Depth=1
	v_cmp_lt_i16_e32 vcc_lo, 0, v16
                                        ; implicit-def: $vgpr15
	s_and_saveexec_b32 s30, vcc_lo
	s_delay_alu instid0(SALU_CYCLE_1)
	s_xor_b32 vcc_lo, exec_lo, s30
	s_cbranch_execz .LBB47_1314
; %bb.1313:                             ;   in Loop: Header=BB47_17 Depth=1
	flat_load_i8 v0, v[0:1]
	s_waitcnt vmcnt(0) lgkmcnt(0)
	v_cvt_f32_i32_e32 v15, v0
                                        ; implicit-def: $vgpr0_vgpr1
.LBB47_1314:                            ;   in Loop: Header=BB47_17 Depth=1
	s_and_not1_saveexec_b32 vcc_lo, vcc_lo
	s_cbranch_execz .LBB47_1316
; %bb.1315:                             ;   in Loop: Header=BB47_17 Depth=1
	flat_load_u8 v0, v[0:1]
	s_waitcnt vmcnt(0) lgkmcnt(0)
	v_cvt_f32_ubyte0_e32 v15, v0
.LBB47_1316:                            ;   in Loop: Header=BB47_17 Depth=1
	s_or_b32 exec_lo, exec_lo, vcc_lo
.LBB47_1317:                            ;   in Loop: Header=BB47_17 Depth=1
	s_delay_alu instid0(SALU_CYCLE_1)
	s_or_b32 exec_lo, exec_lo, vcc_hi
.LBB47_1318:                            ;   in Loop: Header=BB47_17 Depth=1
	s_delay_alu instid0(SALU_CYCLE_1) | instskip(NEXT) | instid1(SALU_CYCLE_1)
	s_or_b32 exec_lo, exec_lo, s29
	s_and_not1_b32 s27, s27, exec_lo
	s_and_not1_b32 s26, s26, exec_lo
	s_or_b32 s28, s28, exec_lo
	s_or_b32 exec_lo, exec_lo, s25
	s_mov_b32 s25, 0
	s_and_saveexec_b32 s29, s28
	s_cbranch_execnz .LBB47_1195
	s_branch .LBB47_1196
.LBB47_1319:                            ;   in Loop: Header=BB47_17 Depth=1
	s_mov_b32 s23, exec_lo
                                        ; implicit-def: $sgpr29
                                        ; implicit-def: $sgpr24
                                        ; implicit-def: $vgpr16
	v_cmpx_lt_i16_e32 25, v7
	s_xor_b32 s23, exec_lo, s23
	s_cbranch_execz .LBB47_1351
; %bb.1320:                             ;   in Loop: Header=BB47_17 Depth=1
	s_mov_b32 s24, exec_lo
                                        ; implicit-def: $sgpr29
                                        ; implicit-def: $vcc_hi
                                        ; implicit-def: $vgpr16
	v_cmpx_lt_i16_e32 28, v7
	s_xor_b32 s24, exec_lo, s24
	s_cbranch_execz .LBB47_1336
; %bb.1321:                             ;   in Loop: Header=BB47_17 Depth=1
	s_mov_b32 s30, 0
	s_mov_b32 s28, exec_lo
                                        ; implicit-def: $sgpr29
                                        ; implicit-def: $vcc_hi
                                        ; implicit-def: $vgpr16
	v_cmpx_lt_i16_e32 43, v7
	s_xor_b32 s28, exec_lo, s28
	s_cbranch_execz .LBB47_1331
; %bb.1322:                             ;   in Loop: Header=BB47_17 Depth=1
	s_mov_b32 vcc_hi, exec_lo
                                        ; implicit-def: $sgpr29
                                        ; implicit-def: $sgpr31
                                        ; implicit-def: $vgpr16
	v_cmpx_lt_i16_e32 45, v7
	s_xor_b32 vcc_hi, exec_lo, vcc_hi
	s_cbranch_execz .LBB47_1326
; %bb.1323:                             ;   in Loop: Header=BB47_17 Depth=1
	s_mov_b32 s29, 0
	s_mov_b32 s31, exec_lo
                                        ; implicit-def: $vgpr16
	v_cmpx_eq_u16_e32 46, v7
	s_cbranch_execz .LBB47_1325
; %bb.1324:                             ;   in Loop: Header=BB47_17 Depth=1
	flat_load_b32 v0, v[0:1]
	s_mov_b32 s30, exec_lo
	s_waitcnt vmcnt(0) lgkmcnt(0)
	v_lshlrev_b32_e32 v16, 16, v0
.LBB47_1325:                            ;   in Loop: Header=BB47_17 Depth=1
	s_or_b32 exec_lo, exec_lo, s31
	s_mov_b32 s31, -1
	s_and_b32 s30, s30, exec_lo
                                        ; implicit-def: $vgpr0_vgpr1
.LBB47_1326:                            ;   in Loop: Header=BB47_17 Depth=1
	s_and_not1_saveexec_b32 vcc_hi, vcc_hi
	s_cbranch_execz .LBB47_1330
; %bb.1327:                             ;   in Loop: Header=BB47_17 Depth=1
	s_mov_b32 s35, s30
	s_mov_b32 s34, exec_lo
                                        ; implicit-def: $vgpr16
	v_cmpx_eq_u16_e32 44, v7
	s_cbranch_execz .LBB47_1329
; %bb.1328:                             ;   in Loop: Header=BB47_17 Depth=1
	flat_load_u8 v0, v[0:1]
	s_or_b32 s35, s30, exec_lo
	s_waitcnt vmcnt(0) lgkmcnt(0)
	v_lshlrev_b32_e32 v1, 23, v0
	v_cmp_ne_u32_e32 vcc_lo, 0xff, v0
	s_delay_alu instid0(VALU_DEP_2) | instskip(SKIP_1) | instid1(VALU_DEP_2)
	v_cndmask_b32_e32 v1, 0x7f800001, v1, vcc_lo
	v_cmp_ne_u32_e32 vcc_lo, 0, v0
	v_cndmask_b32_e32 v16, 0x400000, v1, vcc_lo
.LBB47_1329:                            ;   in Loop: Header=BB47_17 Depth=1
	s_or_b32 exec_lo, exec_lo, s34
	s_delay_alu instid0(SALU_CYCLE_1)
	s_and_not1_b32 vcc_lo, s30, exec_lo
	s_and_b32 s30, s35, exec_lo
	s_and_not1_b32 s29, s29, exec_lo
	s_or_b32 s31, s31, exec_lo
	s_or_b32 s30, vcc_lo, s30
.LBB47_1330:                            ;   in Loop: Header=BB47_17 Depth=1
	s_or_b32 exec_lo, exec_lo, vcc_hi
	s_delay_alu instid0(SALU_CYCLE_1)
	s_and_b32 vcc_hi, s29, exec_lo
	s_and_b32 s29, s31, exec_lo
	s_and_b32 s30, s30, exec_lo
                                        ; implicit-def: $vgpr0_vgpr1
.LBB47_1331:                            ;   in Loop: Header=BB47_17 Depth=1
	s_and_not1_saveexec_b32 s28, s28
	s_cbranch_execz .LBB47_1335
; %bb.1332:                             ;   in Loop: Header=BB47_17 Depth=1
	s_mov_b32 s34, s30
	s_mov_b32 s31, exec_lo
                                        ; implicit-def: $vgpr16
	v_cmpx_eq_u16_e32 29, v7
	s_cbranch_execz .LBB47_1334
; %bb.1333:                             ;   in Loop: Header=BB47_17 Depth=1
	flat_load_b64 v[0:1], v[0:1]
	s_or_b32 s34, s30, exec_lo
	s_waitcnt vmcnt(0) lgkmcnt(0)
	v_clz_i32_u32_e32 v14, v1
	s_delay_alu instid0(VALU_DEP_1) | instskip(NEXT) | instid1(VALU_DEP_1)
	v_min_u32_e32 v14, 32, v14
	v_lshlrev_b64 v[0:1], v14, v[0:1]
	s_delay_alu instid0(VALU_DEP_1) | instskip(NEXT) | instid1(VALU_DEP_1)
	v_min_u32_e32 v0, 1, v0
	v_or_b32_e32 v0, v1, v0
	v_sub_nc_u32_e32 v1, 32, v14
	s_delay_alu instid0(VALU_DEP_2) | instskip(NEXT) | instid1(VALU_DEP_1)
	v_cvt_f32_u32_e32 v0, v0
	v_ldexp_f32 v16, v0, v1
.LBB47_1334:                            ;   in Loop: Header=BB47_17 Depth=1
	s_or_b32 exec_lo, exec_lo, s31
	s_delay_alu instid0(SALU_CYCLE_1)
	s_and_not1_b32 vcc_lo, s30, exec_lo
	s_and_b32 s30, s34, exec_lo
	s_and_not1_b32 vcc_hi, vcc_hi, exec_lo
	s_or_b32 s29, s29, exec_lo
	s_or_b32 s30, vcc_lo, s30
.LBB47_1335:                            ;   in Loop: Header=BB47_17 Depth=1
	s_or_b32 exec_lo, exec_lo, s28
	s_delay_alu instid0(SALU_CYCLE_1)
	s_and_b32 vcc_hi, vcc_hi, exec_lo
	s_and_b32 s29, s29, exec_lo
	s_and_b32 s28, s30, exec_lo
                                        ; implicit-def: $vgpr0_vgpr1
.LBB47_1336:                            ;   in Loop: Header=BB47_17 Depth=1
	s_and_not1_saveexec_b32 s24, s24
	s_cbranch_execz .LBB47_1350
; %bb.1337:                             ;   in Loop: Header=BB47_17 Depth=1
	s_mov_b32 s30, exec_lo
                                        ; implicit-def: $vgpr16
	v_cmpx_lt_i16_e32 26, v7
	s_xor_b32 s30, exec_lo, s30
	s_cbranch_execz .LBB47_1343
; %bb.1338:                             ;   in Loop: Header=BB47_17 Depth=1
	v_cmp_lt_i16_e32 vcc_lo, 27, v7
                                        ; implicit-def: $vgpr16
	s_and_saveexec_b32 s31, vcc_lo
	s_delay_alu instid0(SALU_CYCLE_1)
	s_xor_b32 vcc_lo, exec_lo, s31
	s_cbranch_execz .LBB47_1340
; %bb.1339:                             ;   in Loop: Header=BB47_17 Depth=1
	flat_load_b32 v0, v[0:1]
	s_waitcnt vmcnt(0) lgkmcnt(0)
	v_cvt_f32_u32_e32 v16, v0
                                        ; implicit-def: $vgpr0_vgpr1
.LBB47_1340:                            ;   in Loop: Header=BB47_17 Depth=1
	s_and_not1_saveexec_b32 vcc_lo, vcc_lo
	s_cbranch_execz .LBB47_1342
; %bb.1341:                             ;   in Loop: Header=BB47_17 Depth=1
	flat_load_u16 v0, v[0:1]
	s_waitcnt vmcnt(0) lgkmcnt(0)
	v_cvt_f32_u32_e32 v16, v0
.LBB47_1342:                            ;   in Loop: Header=BB47_17 Depth=1
	s_or_b32 exec_lo, exec_lo, vcc_lo
                                        ; implicit-def: $vgpr0_vgpr1
.LBB47_1343:                            ;   in Loop: Header=BB47_17 Depth=1
	s_and_not1_saveexec_b32 s30, s30
	s_cbranch_execz .LBB47_1349
; %bb.1344:                             ;   in Loop: Header=BB47_17 Depth=1
	flat_load_u8 v0, v[0:1]
	s_mov_b32 s31, 0
	s_mov_b32 s35, exec_lo
                                        ; implicit-def: $sgpr34
	s_waitcnt vmcnt(0) lgkmcnt(0)
	v_cmpx_lt_i16_e32 0x7f, v0
	s_xor_b32 s35, exec_lo, s35
	s_cbranch_execnz .LBB47_2123
; %bb.1345:                             ;   in Loop: Header=BB47_17 Depth=1
	s_or_saveexec_b32 s35, s35
	v_mov_b32_e32 v16, s34
	s_xor_b32 exec_lo, exec_lo, s35
	s_cbranch_execnz .LBB47_2126
.LBB47_1346:                            ;   in Loop: Header=BB47_17 Depth=1
	s_or_b32 exec_lo, exec_lo, s35
	s_and_saveexec_b32 s34, s31
	s_cbranch_execz .LBB47_1348
.LBB47_1347:                            ;   in Loop: Header=BB47_17 Depth=1
	v_and_b32_e32 v1, 0xffff, v0
	v_lshlrev_b32_e32 v0, 24, v0
	s_delay_alu instid0(VALU_DEP_2) | instskip(NEXT) | instid1(VALU_DEP_2)
	v_and_b32_e32 v14, 7, v1
	v_and_b32_e32 v0, 0x80000000, v0
	s_delay_alu instid0(VALU_DEP_2) | instskip(NEXT) | instid1(VALU_DEP_1)
	v_clz_i32_u32_e32 v16, v14
	v_min_u32_e32 v16, 32, v16
	s_delay_alu instid0(VALU_DEP_1) | instskip(SKIP_1) | instid1(VALU_DEP_2)
	v_subrev_nc_u32_e32 v17, 28, v16
	v_sub_nc_u32_e32 v16, 29, v16
	v_lshlrev_b32_e32 v17, v17, v1
	v_bfe_u32 v1, v1, 3, 4
	s_delay_alu instid0(VALU_DEP_2) | instskip(NEXT) | instid1(VALU_DEP_2)
	v_and_b32_e32 v17, 7, v17
	v_cmp_eq_u32_e32 vcc_lo, 0, v1
	s_delay_alu instid0(VALU_DEP_2) | instskip(NEXT) | instid1(VALU_DEP_1)
	v_dual_cndmask_b32 v1, v1, v16 :: v_dual_cndmask_b32 v14, v14, v17
	v_lshl_add_u32 v1, v1, 23, 0x3b800000
	s_delay_alu instid0(VALU_DEP_2) | instskip(NEXT) | instid1(VALU_DEP_1)
	v_lshlrev_b32_e32 v14, 20, v14
	v_or3_b32 v16, v0, v1, v14
.LBB47_1348:                            ;   in Loop: Header=BB47_17 Depth=1
	s_or_b32 exec_lo, exec_lo, s34
.LBB47_1349:                            ;   in Loop: Header=BB47_17 Depth=1
	s_delay_alu instid0(SALU_CYCLE_1) | instskip(NEXT) | instid1(SALU_CYCLE_1)
	s_or_b32 exec_lo, exec_lo, s30
	s_and_not1_b32 vcc_hi, vcc_hi, exec_lo
	s_and_not1_b32 s29, s29, exec_lo
	s_or_b32 s28, s28, exec_lo
.LBB47_1350:                            ;   in Loop: Header=BB47_17 Depth=1
	s_or_b32 exec_lo, exec_lo, s24
	s_delay_alu instid0(SALU_CYCLE_1)
	s_and_b32 s24, vcc_hi, exec_lo
	s_and_b32 s29, s29, exec_lo
	s_and_b32 s28, s28, exec_lo
                                        ; implicit-def: $vgpr0_vgpr1
.LBB47_1351:                            ;   in Loop: Header=BB47_17 Depth=1
	s_and_not1_saveexec_b32 s23, s23
	s_cbranch_execz .LBB47_1377
; %bb.1352:                             ;   in Loop: Header=BB47_17 Depth=1
	s_mov_b32 s30, s28
	s_mov_b32 vcc_hi, exec_lo
                                        ; implicit-def: $vgpr16
	v_cmpx_lt_i16_e32 22, v7
	s_xor_b32 vcc_hi, exec_lo, vcc_hi
	s_cbranch_execz .LBB47_1366
; %bb.1353:                             ;   in Loop: Header=BB47_17 Depth=1
	s_mov_b32 s30, exec_lo
                                        ; implicit-def: $vgpr16
	v_cmpx_lt_i16_e32 23, v7
	s_xor_b32 s30, exec_lo, s30
	s_cbranch_execz .LBB47_1363
; %bb.1354:                             ;   in Loop: Header=BB47_17 Depth=1
	s_mov_b32 s31, exec_lo
                                        ; implicit-def: $vgpr16
	v_cmpx_lt_i16_e32 24, v7
	s_xor_b32 s31, exec_lo, s31
	s_cbranch_execz .LBB47_1360
; %bb.1355:                             ;   in Loop: Header=BB47_17 Depth=1
	flat_load_u8 v0, v[0:1]
	s_mov_b32 s34, 0
	s_mov_b32 s36, exec_lo
                                        ; implicit-def: $sgpr35
	s_waitcnt vmcnt(0) lgkmcnt(0)
	v_cmpx_lt_i16_e32 0x7f, v0
	s_xor_b32 s36, exec_lo, s36
	s_cbranch_execnz .LBB47_2342
; %bb.1356:                             ;   in Loop: Header=BB47_17 Depth=1
	s_or_saveexec_b32 s36, s36
	v_mov_b32_e32 v16, s35
	s_xor_b32 exec_lo, exec_lo, s36
	s_cbranch_execnz .LBB47_2345
.LBB47_1357:                            ;   in Loop: Header=BB47_17 Depth=1
	s_or_b32 exec_lo, exec_lo, s36
	s_and_saveexec_b32 s35, s34
	s_cbranch_execz .LBB47_1359
.LBB47_1358:                            ;   in Loop: Header=BB47_17 Depth=1
	v_and_b32_e32 v1, 0xffff, v0
	v_lshlrev_b32_e32 v0, 24, v0
	s_delay_alu instid0(VALU_DEP_2) | instskip(NEXT) | instid1(VALU_DEP_2)
	v_and_b32_e32 v14, 3, v1
	v_and_b32_e32 v0, 0x80000000, v0
	s_delay_alu instid0(VALU_DEP_2) | instskip(NEXT) | instid1(VALU_DEP_1)
	v_clz_i32_u32_e32 v16, v14
	v_min_u32_e32 v16, 32, v16
	s_delay_alu instid0(VALU_DEP_1) | instskip(SKIP_1) | instid1(VALU_DEP_2)
	v_subrev_nc_u32_e32 v17, 29, v16
	v_sub_nc_u32_e32 v16, 30, v16
	v_lshlrev_b32_e32 v17, v17, v1
	v_bfe_u32 v1, v1, 2, 5
	s_delay_alu instid0(VALU_DEP_2) | instskip(NEXT) | instid1(VALU_DEP_2)
	v_and_b32_e32 v17, 3, v17
	v_cmp_eq_u32_e32 vcc_lo, 0, v1
	s_delay_alu instid0(VALU_DEP_2) | instskip(NEXT) | instid1(VALU_DEP_1)
	v_dual_cndmask_b32 v1, v1, v16 :: v_dual_cndmask_b32 v14, v14, v17
	v_lshl_add_u32 v1, v1, 23, 0x37800000
	s_delay_alu instid0(VALU_DEP_2) | instskip(NEXT) | instid1(VALU_DEP_1)
	v_lshlrev_b32_e32 v14, 21, v14
	v_or3_b32 v16, v0, v1, v14
.LBB47_1359:                            ;   in Loop: Header=BB47_17 Depth=1
	s_or_b32 exec_lo, exec_lo, s35
                                        ; implicit-def: $vgpr0_vgpr1
.LBB47_1360:                            ;   in Loop: Header=BB47_17 Depth=1
	s_and_not1_saveexec_b32 s31, s31
	s_cbranch_execz .LBB47_1362
; %bb.1361:                             ;   in Loop: Header=BB47_17 Depth=1
	flat_load_u8 v0, v[0:1]
	s_waitcnt vmcnt(0) lgkmcnt(0)
	v_lshlrev_b32_e32 v0, 24, v0
	s_delay_alu instid0(VALU_DEP_1) | instskip(NEXT) | instid1(VALU_DEP_1)
	v_and_b32_e32 v1, 0x7f000000, v0
	v_clz_i32_u32_e32 v14, v1
	v_add_nc_u32_e32 v17, 0x1000000, v1
	v_cmp_ne_u32_e32 vcc_lo, 0, v1
	s_delay_alu instid0(VALU_DEP_3) | instskip(NEXT) | instid1(VALU_DEP_1)
	v_min_u32_e32 v14, 32, v14
	v_sub_nc_u32_e64 v14, v14, 4 clamp
	s_delay_alu instid0(VALU_DEP_1) | instskip(SKIP_1) | instid1(VALU_DEP_2)
	v_lshlrev_b32_e32 v16, v14, v1
	v_lshlrev_b32_e32 v14, 23, v14
	v_lshrrev_b32_e32 v16, 4, v16
	s_delay_alu instid0(VALU_DEP_1) | instskip(SKIP_1) | instid1(VALU_DEP_2)
	v_sub_nc_u32_e32 v14, v16, v14
	v_ashrrev_i32_e32 v16, 8, v17
	v_add_nc_u32_e32 v14, 0x3c000000, v14
	s_delay_alu instid0(VALU_DEP_1) | instskip(NEXT) | instid1(VALU_DEP_1)
	v_and_or_b32 v14, 0x7f800000, v16, v14
	v_cndmask_b32_e32 v1, 0, v14, vcc_lo
	s_delay_alu instid0(VALU_DEP_1)
	v_and_or_b32 v16, 0x80000000, v0, v1
.LBB47_1362:                            ;   in Loop: Header=BB47_17 Depth=1
	s_or_b32 exec_lo, exec_lo, s31
                                        ; implicit-def: $vgpr0_vgpr1
.LBB47_1363:                            ;   in Loop: Header=BB47_17 Depth=1
	s_and_not1_saveexec_b32 s30, s30
	s_cbranch_execz .LBB47_1365
; %bb.1364:                             ;   in Loop: Header=BB47_17 Depth=1
	flat_load_u8 v0, v[0:1]
	s_waitcnt vmcnt(0) lgkmcnt(0)
	v_lshlrev_b32_e32 v1, 25, v0
	v_lshlrev_b16 v0, 8, v0
	s_delay_alu instid0(VALU_DEP_2) | instskip(NEXT) | instid1(VALU_DEP_2)
	v_lshrrev_b32_e32 v14, 4, v1
	v_and_or_b32 v16, 0x7f00, v0, 0.5
	v_bfe_i32 v0, v0, 0, 16
	s_delay_alu instid0(VALU_DEP_3) | instskip(NEXT) | instid1(VALU_DEP_3)
	v_or_b32_e32 v14, 0x70000000, v14
	v_add_f32_e32 v16, -0.5, v16
	s_delay_alu instid0(VALU_DEP_2) | instskip(SKIP_1) | instid1(VALU_DEP_2)
	v_mul_f32_e32 v14, 0x7800000, v14
	v_cmp_gt_u32_e32 vcc_lo, 0x8000000, v1
	v_cndmask_b32_e32 v1, v14, v16, vcc_lo
	s_delay_alu instid0(VALU_DEP_1)
	v_and_or_b32 v16, 0x80000000, v0, v1
.LBB47_1365:                            ;   in Loop: Header=BB47_17 Depth=1
	s_or_b32 exec_lo, exec_lo, s30
	s_delay_alu instid0(SALU_CYCLE_1)
	s_or_b32 s30, s28, exec_lo
                                        ; implicit-def: $vgpr0_vgpr1
.LBB47_1366:                            ;   in Loop: Header=BB47_17 Depth=1
	s_or_saveexec_b32 vcc_hi, vcc_hi
                                        ; implicit-def: $sgpr31
                                        ; implicit-def: $vcc_lo
	s_delay_alu instid0(SALU_CYCLE_1)
	s_xor_b32 exec_lo, exec_lo, vcc_hi
	s_cbranch_execz .LBB47_1376
; %bb.1367:                             ;   in Loop: Header=BB47_17 Depth=1
	s_mov_b32 s34, s30
	s_mov_b32 s36, exec_lo
                                        ; implicit-def: $sgpr35
                                        ; implicit-def: $sgpr31
                                        ; implicit-def: $vgpr16
	v_cmpx_lt_i16_e32 14, v7
	s_xor_b32 s36, exec_lo, s36
	s_cbranch_execz .LBB47_1371
; %bb.1368:                             ;   in Loop: Header=BB47_17 Depth=1
	s_mov_b32 s34, s30
	s_mov_b32 s31, exec_lo
                                        ; implicit-def: $vgpr16
	v_cmpx_eq_u16_e32 15, v7
	s_cbranch_execz .LBB47_1370
; %bb.1369:                             ;   in Loop: Header=BB47_17 Depth=1
	flat_load_u16 v0, v[0:1]
	s_or_b32 s34, s30, exec_lo
	s_waitcnt vmcnt(0) lgkmcnt(0)
	v_lshlrev_b32_e32 v16, 16, v0
.LBB47_1370:                            ;   in Loop: Header=BB47_17 Depth=1
	s_or_b32 exec_lo, exec_lo, s31
	s_delay_alu instid0(SALU_CYCLE_1)
	s_and_not1_b32 vcc_lo, s30, exec_lo
	s_and_b32 s34, s34, exec_lo
	s_mov_b32 s31, -1
	s_mov_b32 s35, 0
	s_or_b32 s34, vcc_lo, s34
                                        ; implicit-def: $vgpr0_vgpr1
.LBB47_1371:                            ;   in Loop: Header=BB47_17 Depth=1
	s_and_not1_saveexec_b32 s36, s36
	s_cbranch_execz .LBB47_1375
; %bb.1372:                             ;   in Loop: Header=BB47_17 Depth=1
	s_mov_b32 s37, s34
	s_mov_b32 s38, exec_lo
                                        ; implicit-def: $vgpr16
	v_cmpx_eq_u16_e32 11, v7
	s_cbranch_execz .LBB47_1374
; %bb.1373:                             ;   in Loop: Header=BB47_17 Depth=1
	flat_load_u8 v0, v[0:1]
	s_or_b32 s37, s34, exec_lo
	s_waitcnt vmcnt(0) lgkmcnt(0)
	v_cmp_ne_u16_e32 vcc_lo, 0, v0
	v_cndmask_b32_e64 v16, 0, 1.0, vcc_lo
.LBB47_1374:                            ;   in Loop: Header=BB47_17 Depth=1
	s_or_b32 exec_lo, exec_lo, s38
	s_delay_alu instid0(SALU_CYCLE_1)
	s_and_not1_b32 vcc_lo, s34, exec_lo
	s_and_b32 s34, s37, exec_lo
	s_and_not1_b32 s35, s35, exec_lo
	s_or_b32 s31, s31, exec_lo
	s_or_b32 s34, vcc_lo, s34
.LBB47_1375:                            ;   in Loop: Header=BB47_17 Depth=1
	s_or_b32 exec_lo, exec_lo, s36
	s_delay_alu instid0(SALU_CYCLE_1)
	s_and_not1_b32 s30, s30, exec_lo
	s_and_b32 s34, s34, exec_lo
	s_and_b32 vcc_lo, s35, exec_lo
	s_and_b32 s31, s31, exec_lo
	s_or_b32 s30, s30, s34
.LBB47_1376:                            ;   in Loop: Header=BB47_17 Depth=1
	s_or_b32 exec_lo, exec_lo, vcc_hi
	s_delay_alu instid0(SALU_CYCLE_1)
	s_and_not1_b32 s24, s24, exec_lo
	s_and_b32 vcc_lo, vcc_lo, exec_lo
	s_and_not1_b32 s29, s29, exec_lo
	s_or_b32 s24, s24, vcc_lo
	s_and_b32 vcc_lo, s31, exec_lo
	s_and_not1_b32 s28, s28, exec_lo
	s_and_b32 vcc_hi, s30, exec_lo
	s_or_b32 s29, s29, vcc_lo
	s_or_b32 s28, s28, vcc_hi
.LBB47_1377:                            ;   in Loop: Header=BB47_17 Depth=1
	s_or_b32 exec_lo, exec_lo, s23
	s_delay_alu instid0(SALU_CYCLE_1)
	s_and_b32 s24, s24, exec_lo
	s_and_b32 s23, s29, exec_lo
	;; [unrolled: 1-line block ×3, first 2 shown]
                                        ; implicit-def: $vgpr0_vgpr1
	s_and_not1_saveexec_b32 s27, s27
	s_cbranch_execz .LBB47_1202
.LBB47_1378:                            ;   in Loop: Header=BB47_17 Depth=1
	s_mov_b32 s29, exec_lo
                                        ; implicit-def: $vgpr16
	v_cmpx_lt_i16_e32 4, v7
	s_xor_b32 s29, exec_lo, s29
	s_cbranch_execz .LBB47_1400
; %bb.1379:                             ;   in Loop: Header=BB47_17 Depth=1
	s_mov_b32 vcc_hi, exec_lo
                                        ; implicit-def: $vgpr16
	v_cmpx_lt_i16_e32 7, v7
	s_xor_b32 vcc_hi, exec_lo, vcc_hi
	s_cbranch_execz .LBB47_1389
; %bb.1380:                             ;   in Loop: Header=BB47_17 Depth=1
	s_mov_b32 s30, exec_lo
                                        ; implicit-def: $vgpr16
	v_cmpx_lt_i16_e32 8, v7
	s_xor_b32 s30, exec_lo, s30
	s_cbranch_execz .LBB47_1386
; %bb.1381:                             ;   in Loop: Header=BB47_17 Depth=1
	v_cmp_lt_i16_e32 vcc_lo, 9, v7
                                        ; implicit-def: $vgpr16
	s_and_saveexec_b32 s31, vcc_lo
	s_delay_alu instid0(SALU_CYCLE_1)
	s_xor_b32 vcc_lo, exec_lo, s31
	s_cbranch_execz .LBB47_1383
; %bb.1382:                             ;   in Loop: Header=BB47_17 Depth=1
	flat_load_b64 v[0:1], v[0:1]
	s_waitcnt vmcnt(0) lgkmcnt(0)
	v_cvt_f32_f64_e32 v16, v[0:1]
                                        ; implicit-def: $vgpr0_vgpr1
.LBB47_1383:                            ;   in Loop: Header=BB47_17 Depth=1
	s_and_not1_saveexec_b32 vcc_lo, vcc_lo
	s_cbranch_execz .LBB47_1385
; %bb.1384:                             ;   in Loop: Header=BB47_17 Depth=1
	flat_load_b32 v16, v[0:1]
.LBB47_1385:                            ;   in Loop: Header=BB47_17 Depth=1
	s_or_b32 exec_lo, exec_lo, vcc_lo
                                        ; implicit-def: $vgpr0_vgpr1
.LBB47_1386:                            ;   in Loop: Header=BB47_17 Depth=1
	s_and_not1_saveexec_b32 vcc_lo, s30
	s_cbranch_execz .LBB47_1388
; %bb.1387:                             ;   in Loop: Header=BB47_17 Depth=1
	flat_load_b32 v0, v[0:1]
	s_waitcnt vmcnt(0) lgkmcnt(0)
	v_cvt_f32_f16_e32 v16, v0
.LBB47_1388:                            ;   in Loop: Header=BB47_17 Depth=1
	s_or_b32 exec_lo, exec_lo, vcc_lo
                                        ; implicit-def: $vgpr0_vgpr1
.LBB47_1389:                            ;   in Loop: Header=BB47_17 Depth=1
	s_and_not1_saveexec_b32 vcc_hi, vcc_hi
	s_cbranch_execz .LBB47_1399
; %bb.1390:                             ;   in Loop: Header=BB47_17 Depth=1
	s_mov_b32 s30, exec_lo
                                        ; implicit-def: $vgpr16
	v_cmpx_lt_i16_e32 5, v7
	s_xor_b32 s30, exec_lo, s30
	s_cbranch_execz .LBB47_1396
; %bb.1391:                             ;   in Loop: Header=BB47_17 Depth=1
	v_cmp_lt_i16_e32 vcc_lo, 6, v7
                                        ; implicit-def: $vgpr16
	s_and_saveexec_b32 s31, vcc_lo
	s_delay_alu instid0(SALU_CYCLE_1)
	s_xor_b32 vcc_lo, exec_lo, s31
	s_cbranch_execz .LBB47_1393
; %bb.1392:                             ;   in Loop: Header=BB47_17 Depth=1
	flat_load_b64 v[0:1], v[0:1]
	s_waitcnt vmcnt(0) lgkmcnt(0)
	v_cvt_f32_f64_e32 v16, v[0:1]
                                        ; implicit-def: $vgpr0_vgpr1
.LBB47_1393:                            ;   in Loop: Header=BB47_17 Depth=1
	s_and_not1_saveexec_b32 vcc_lo, vcc_lo
	s_cbranch_execz .LBB47_1395
; %bb.1394:                             ;   in Loop: Header=BB47_17 Depth=1
	s_waitcnt vmcnt(0) lgkmcnt(0)
	flat_load_b32 v16, v[0:1]
.LBB47_1395:                            ;   in Loop: Header=BB47_17 Depth=1
	s_or_b32 exec_lo, exec_lo, vcc_lo
                                        ; implicit-def: $vgpr0_vgpr1
.LBB47_1396:                            ;   in Loop: Header=BB47_17 Depth=1
	s_and_not1_saveexec_b32 vcc_lo, s30
	s_cbranch_execz .LBB47_1398
; %bb.1397:                             ;   in Loop: Header=BB47_17 Depth=1
	flat_load_u16 v0, v[0:1]
	s_waitcnt vmcnt(0) lgkmcnt(0)
	v_cvt_f32_f16_e32 v16, v0
.LBB47_1398:                            ;   in Loop: Header=BB47_17 Depth=1
	s_or_b32 exec_lo, exec_lo, vcc_lo
.LBB47_1399:                            ;   in Loop: Header=BB47_17 Depth=1
	s_delay_alu instid0(SALU_CYCLE_1)
	s_or_b32 exec_lo, exec_lo, vcc_hi
                                        ; implicit-def: $vgpr0_vgpr1
.LBB47_1400:                            ;   in Loop: Header=BB47_17 Depth=1
	s_and_not1_saveexec_b32 s29, s29
	s_cbranch_execz .LBB47_1418
; %bb.1401:                             ;   in Loop: Header=BB47_17 Depth=1
	s_mov_b32 vcc_hi, exec_lo
                                        ; implicit-def: $vgpr16
	v_cmpx_lt_i16_e32 1, v7
	s_xor_b32 vcc_hi, exec_lo, vcc_hi
	s_cbranch_execz .LBB47_1411
; %bb.1402:                             ;   in Loop: Header=BB47_17 Depth=1
	s_mov_b32 s30, exec_lo
                                        ; implicit-def: $vgpr16
	v_cmpx_lt_i16_e32 2, v7
	s_xor_b32 s30, exec_lo, s30
	s_cbranch_execz .LBB47_1408
; %bb.1403:                             ;   in Loop: Header=BB47_17 Depth=1
	v_cmp_lt_i16_e32 vcc_lo, 3, v7
                                        ; implicit-def: $vgpr16
	s_and_saveexec_b32 s31, vcc_lo
	s_delay_alu instid0(SALU_CYCLE_1)
	s_xor_b32 vcc_lo, exec_lo, s31
	s_cbranch_execz .LBB47_1405
; %bb.1404:                             ;   in Loop: Header=BB47_17 Depth=1
	flat_load_b64 v[0:1], v[0:1]
	s_waitcnt vmcnt(0) lgkmcnt(0)
	v_xor_b32_e32 v14, v0, v1
	v_cls_i32_e32 v16, v1
	s_delay_alu instid0(VALU_DEP_2) | instskip(NEXT) | instid1(VALU_DEP_2)
	v_ashrrev_i32_e32 v14, 31, v14
	v_add_nc_u32_e32 v16, -1, v16
	s_delay_alu instid0(VALU_DEP_2) | instskip(NEXT) | instid1(VALU_DEP_1)
	v_add_nc_u32_e32 v14, 32, v14
	v_min_u32_e32 v14, v16, v14
	s_delay_alu instid0(VALU_DEP_1) | instskip(NEXT) | instid1(VALU_DEP_1)
	v_lshlrev_b64 v[0:1], v14, v[0:1]
	v_min_u32_e32 v0, 1, v0
	s_delay_alu instid0(VALU_DEP_1) | instskip(SKIP_1) | instid1(VALU_DEP_2)
	v_or_b32_e32 v0, v1, v0
	v_sub_nc_u32_e32 v1, 32, v14
	v_cvt_f32_i32_e32 v0, v0
	s_delay_alu instid0(VALU_DEP_1)
	v_ldexp_f32 v16, v0, v1
                                        ; implicit-def: $vgpr0_vgpr1
.LBB47_1405:                            ;   in Loop: Header=BB47_17 Depth=1
	s_and_not1_saveexec_b32 vcc_lo, vcc_lo
	s_cbranch_execz .LBB47_1407
; %bb.1406:                             ;   in Loop: Header=BB47_17 Depth=1
	flat_load_b32 v0, v[0:1]
	s_waitcnt vmcnt(0) lgkmcnt(0)
	v_cvt_f32_i32_e32 v16, v0
.LBB47_1407:                            ;   in Loop: Header=BB47_17 Depth=1
	s_or_b32 exec_lo, exec_lo, vcc_lo
                                        ; implicit-def: $vgpr0_vgpr1
.LBB47_1408:                            ;   in Loop: Header=BB47_17 Depth=1
	s_and_not1_saveexec_b32 vcc_lo, s30
	s_cbranch_execz .LBB47_1410
; %bb.1409:                             ;   in Loop: Header=BB47_17 Depth=1
	flat_load_i16 v0, v[0:1]
	s_waitcnt vmcnt(0) lgkmcnt(0)
	v_cvt_f32_i32_e32 v16, v0
.LBB47_1410:                            ;   in Loop: Header=BB47_17 Depth=1
	s_or_b32 exec_lo, exec_lo, vcc_lo
                                        ; implicit-def: $vgpr0_vgpr1
.LBB47_1411:                            ;   in Loop: Header=BB47_17 Depth=1
	s_and_not1_saveexec_b32 vcc_hi, vcc_hi
	s_cbranch_execz .LBB47_1417
; %bb.1412:                             ;   in Loop: Header=BB47_17 Depth=1
	v_cmp_lt_i16_e32 vcc_lo, 0, v7
                                        ; implicit-def: $vgpr16
	s_and_saveexec_b32 s30, vcc_lo
	s_delay_alu instid0(SALU_CYCLE_1)
	s_xor_b32 vcc_lo, exec_lo, s30
	s_cbranch_execz .LBB47_1414
; %bb.1413:                             ;   in Loop: Header=BB47_17 Depth=1
	flat_load_i8 v0, v[0:1]
	s_waitcnt vmcnt(0) lgkmcnt(0)
	v_cvt_f32_i32_e32 v16, v0
                                        ; implicit-def: $vgpr0_vgpr1
.LBB47_1414:                            ;   in Loop: Header=BB47_17 Depth=1
	s_and_not1_saveexec_b32 vcc_lo, vcc_lo
	s_cbranch_execz .LBB47_1416
; %bb.1415:                             ;   in Loop: Header=BB47_17 Depth=1
	flat_load_u8 v0, v[0:1]
	s_waitcnt vmcnt(0) lgkmcnt(0)
	v_cvt_f32_ubyte0_e32 v16, v0
.LBB47_1416:                            ;   in Loop: Header=BB47_17 Depth=1
	s_or_b32 exec_lo, exec_lo, vcc_lo
.LBB47_1417:                            ;   in Loop: Header=BB47_17 Depth=1
	s_delay_alu instid0(SALU_CYCLE_1)
	s_or_b32 exec_lo, exec_lo, vcc_hi
.LBB47_1418:                            ;   in Loop: Header=BB47_17 Depth=1
	s_delay_alu instid0(SALU_CYCLE_1) | instskip(NEXT) | instid1(SALU_CYCLE_1)
	s_or_b32 exec_lo, exec_lo, s29
	s_and_not1_b32 s24, s24, exec_lo
	s_and_not1_b32 s23, s23, exec_lo
	s_or_b32 s28, s28, exec_lo
	s_or_b32 exec_lo, exec_lo, s27
	s_mov_b32 s29, 0
	s_and_saveexec_b32 s27, s28
	s_cbranch_execz .LBB47_1424
.LBB47_1419:                            ;   in Loop: Header=BB47_17 Depth=1
	v_add_nc_u32_e64 v14, s1, s33
	s_mov_b32 s30, 0
	s_mov_b32 s28, exec_lo
                                        ; implicit-def: $sgpr29
                                        ; implicit-def: $vcc_hi
	s_delay_alu instid0(VALU_DEP_1) | instskip(SKIP_4) | instid1(VALU_DEP_2)
	v_add_nc_u32_e32 v0, 52, v14
	s_waitcnt vmcnt(0) lgkmcnt(0)
	scratch_store_b32 v0, v16, off
	v_mul_lo_u32 v0, v15, v10
	v_and_b32_e32 v16, 0xff, v8
                                        ; implicit-def: $vgpr15
	v_add_co_u32 v0, vcc_lo, v4, v0
	v_add_co_ci_u32_e32 v1, vcc_lo, 0, v5, vcc_lo
	s_delay_alu instid0(VALU_DEP_3)
	v_cmpx_lt_i16_e32 10, v16
	s_xor_b32 s28, exec_lo, s28
	s_cbranch_execnz .LBB47_1446
; %bb.1420:                             ;   in Loop: Header=BB47_17 Depth=1
	s_and_not1_saveexec_b32 s28, s28
	s_cbranch_execnz .LBB47_1505
.LBB47_1421:                            ;   in Loop: Header=BB47_17 Depth=1
	s_or_b32 exec_lo, exec_lo, s28
	s_mov_b32 s28, 0
	s_and_saveexec_b32 vcc_lo, s30
	s_cbranch_execz .LBB47_1423
.LBB47_1422:                            ;   in Loop: Header=BB47_17 Depth=1
	v_add_nc_u32_e32 v0, 48, v14
	v_add_nc_u32_e32 v13, 0x200, v13
	s_mov_b32 s28, exec_lo
	s_and_not1_b32 vcc_hi, vcc_hi, exec_lo
	s_and_not1_b32 s29, s29, exec_lo
	s_waitcnt vmcnt(0) lgkmcnt(0)
	scratch_store_b32 v0, v15, off
.LBB47_1423:                            ;   in Loop: Header=BB47_17 Depth=1
	s_or_b32 exec_lo, exec_lo, vcc_lo
	s_delay_alu instid0(SALU_CYCLE_1)
	s_and_not1_b32 s24, s24, exec_lo
	s_and_b32 vcc_lo, vcc_hi, exec_lo
	s_and_not1_b32 s23, s23, exec_lo
	s_and_b32 s29, s29, exec_lo
	s_or_b32 s24, s24, vcc_lo
	s_or_b32 s23, s23, s29
	s_and_b32 s29, s28, exec_lo
.LBB47_1424:                            ;   in Loop: Header=BB47_17 Depth=1
	s_or_b32 exec_lo, exec_lo, s27
	s_delay_alu instid0(SALU_CYCLE_1)
	s_and_b32 s24, s24, exec_lo
	s_and_b32 s23, s23, exec_lo
	s_or_not1_b32 s27, s29, exec_lo
.LBB47_1425:                            ;   in Loop: Header=BB47_17 Depth=1
	s_or_b32 exec_lo, exec_lo, s25
	s_and_saveexec_b32 s25, s27
	s_cbranch_execz .LBB47_10
; %bb.1426:                             ;   in Loop: Header=BB47_17 Depth=1
	s_mov_b32 s29, -1
	s_mov_b32 vcc_hi, -1
	s_mov_b32 s28, exec_lo
                                        ; implicit-def: $sgpr26
                                        ; implicit-def: $sgpr27
	v_cmpx_lt_i32_e64 v13, v6
	s_cbranch_execz .LBB47_1652
; %bb.1427:                             ;   in Loop: Header=BB47_17 Depth=1
	s_waitcnt vmcnt(0) lgkmcnt(0)
	v_add_nc_u32_e32 v15, s11, v13
	s_mov_b32 s30, 0
	s_mov_b32 vcc_hi, exec_lo
                                        ; implicit-def: $sgpr26
                                        ; implicit-def: $sgpr27
                                        ; implicit-def: $vgpr16
	s_delay_alu instid0(VALU_DEP_1) | instskip(NEXT) | instid1(VALU_DEP_1)
	v_mul_lo_u32 v0, v15, v9
	v_add_co_u32 v0, vcc_lo, v2, v0
	v_add_co_ci_u32_e32 v1, vcc_lo, 0, v3, vcc_lo
	v_cmpx_lt_i16_e32 10, v7
	s_xor_b32 vcc_hi, exec_lo, vcc_hi
	s_cbranch_execnz .LBB47_1546
; %bb.1428:                             ;   in Loop: Header=BB47_17 Depth=1
	s_and_not1_saveexec_b32 vcc_hi, vcc_hi
	s_cbranch_execnz .LBB47_1605
.LBB47_1429:                            ;   in Loop: Header=BB47_17 Depth=1
	s_or_b32 exec_lo, exec_lo, vcc_hi
	s_mov_b32 vcc_lo, 0
	s_and_saveexec_b32 vcc_hi, s30
	s_cbranch_execnz .LBB47_1646
	s_branch .LBB47_1651
.LBB47_1430:                            ;   in Loop: Header=BB47_17 Depth=1
	s_mov_b32 s21, -1
	s_mov_b32 s24, exec_lo
                                        ; implicit-def: $sgpr22
	v_cmpx_eq_u16_e32 0x80, v0
; %bb.1431:                             ;   in Loop: Header=BB47_17 Depth=1
	s_mov_b32 s22, 0x7f800001
	s_xor_b32 s21, exec_lo, -1
; %bb.1432:                             ;   in Loop: Header=BB47_17 Depth=1
	s_or_b32 exec_lo, exec_lo, s24
	s_delay_alu instid0(SALU_CYCLE_1)
	s_and_b32 s21, s21, exec_lo
	s_or_saveexec_b32 s23, s23
	v_mov_b32_e32 v15, s22
	s_xor_b32 exec_lo, exec_lo, s23
	s_cbranch_execz .LBB47_381
.LBB47_1433:                            ;   in Loop: Header=BB47_17 Depth=1
	v_cmp_ne_u16_e32 vcc_lo, 0, v0
	v_mov_b32_e32 v15, 0
	s_and_not1_b32 s21, s21, exec_lo
	s_and_b32 s22, vcc_lo, exec_lo
	s_delay_alu instid0(SALU_CYCLE_1)
	s_or_b32 s21, s21, s22
	s_or_b32 exec_lo, exec_lo, s23
	s_and_saveexec_b32 s22, s21
	s_cbranch_execnz .LBB47_382
	s_branch .LBB47_383
.LBB47_1434:                            ;   in Loop: Header=BB47_17 Depth=1
	s_mov_b32 s21, -1
	s_mov_b32 s24, exec_lo
                                        ; implicit-def: $sgpr22
	v_cmpx_eq_u16_e32 0x80, v0
; %bb.1435:                             ;   in Loop: Header=BB47_17 Depth=1
	s_mov_b32 s22, 0x7f800001
	s_xor_b32 s21, exec_lo, -1
; %bb.1436:                             ;   in Loop: Header=BB47_17 Depth=1
	s_or_b32 exec_lo, exec_lo, s24
	s_delay_alu instid0(SALU_CYCLE_1)
	s_and_b32 s21, s21, exec_lo
	s_or_saveexec_b32 s23, s23
	v_mov_b32_e32 v16, s22
	s_xor_b32 exec_lo, exec_lo, s23
	s_cbranch_execz .LBB47_481
.LBB47_1437:                            ;   in Loop: Header=BB47_17 Depth=1
	v_cmp_ne_u16_e32 vcc_lo, 0, v0
	v_mov_b32_e32 v16, 0
	s_and_not1_b32 s21, s21, exec_lo
	s_and_b32 s22, vcc_lo, exec_lo
	s_delay_alu instid0(SALU_CYCLE_1)
	s_or_b32 s21, s21, s22
	s_or_b32 exec_lo, exec_lo, s23
	s_and_saveexec_b32 s22, s21
	s_cbranch_execnz .LBB47_482
	s_branch .LBB47_483
.LBB47_1438:                            ;   in Loop: Header=BB47_17 Depth=1
	s_mov_b32 s23, -1
	s_mov_b32 s26, exec_lo
                                        ; implicit-def: $sgpr24
	v_cmpx_eq_u16_e32 0x80, v0
; %bb.1439:                             ;   in Loop: Header=BB47_17 Depth=1
	s_mov_b32 s24, 0x7f800001
	s_xor_b32 s23, exec_lo, -1
; %bb.1440:                             ;   in Loop: Header=BB47_17 Depth=1
	s_or_b32 exec_lo, exec_lo, s26
	s_delay_alu instid0(SALU_CYCLE_1)
	s_and_b32 s23, s23, exec_lo
	s_or_saveexec_b32 s25, s25
	v_mov_b32_e32 v15, s24
	s_xor_b32 exec_lo, exec_lo, s25
	s_cbranch_execz .LBB47_581
.LBB47_1441:                            ;   in Loop: Header=BB47_17 Depth=1
	v_cmp_ne_u16_e32 vcc_lo, 0, v0
	v_mov_b32_e32 v15, 0
	s_and_not1_b32 s23, s23, exec_lo
	s_and_b32 s24, vcc_lo, exec_lo
	s_delay_alu instid0(SALU_CYCLE_1)
	s_or_b32 s23, s23, s24
	s_or_b32 exec_lo, exec_lo, s25
	s_and_saveexec_b32 s24, s23
	s_cbranch_execnz .LBB47_582
	s_branch .LBB47_583
.LBB47_1442:                            ;   in Loop: Header=BB47_17 Depth=1
	s_mov_b32 s23, -1
	s_mov_b32 s26, exec_lo
                                        ; implicit-def: $sgpr24
	v_cmpx_eq_u16_e32 0x80, v0
; %bb.1443:                             ;   in Loop: Header=BB47_17 Depth=1
	s_mov_b32 s24, 0x7f800001
	s_xor_b32 s23, exec_lo, -1
; %bb.1444:                             ;   in Loop: Header=BB47_17 Depth=1
	s_or_b32 exec_lo, exec_lo, s26
	s_delay_alu instid0(SALU_CYCLE_1)
	s_and_b32 s23, s23, exec_lo
	s_or_saveexec_b32 s25, s25
	v_mov_b32_e32 v16, s24
	s_xor_b32 exec_lo, exec_lo, s25
	s_cbranch_execz .LBB47_681
.LBB47_1445:                            ;   in Loop: Header=BB47_17 Depth=1
	v_cmp_ne_u16_e32 vcc_lo, 0, v0
	v_mov_b32_e32 v16, 0
	s_and_not1_b32 s23, s23, exec_lo
	s_and_b32 s24, vcc_lo, exec_lo
	s_delay_alu instid0(SALU_CYCLE_1)
	s_or_b32 s23, s23, s24
	s_or_b32 exec_lo, exec_lo, s25
	s_and_saveexec_b32 s24, s23
	s_cbranch_execnz .LBB47_682
	s_branch .LBB47_683
.LBB47_1446:                            ;   in Loop: Header=BB47_17 Depth=1
	s_mov_b32 s29, exec_lo
                                        ; implicit-def: $sgpr31
                                        ; implicit-def: $vcc_hi
                                        ; implicit-def: $vgpr15
	v_cmpx_lt_i16_e32 25, v16
	s_xor_b32 s29, exec_lo, s29
	s_cbranch_execz .LBB47_1478
; %bb.1447:                             ;   in Loop: Header=BB47_17 Depth=1
	s_mov_b32 vcc_hi, exec_lo
                                        ; implicit-def: $sgpr31
                                        ; implicit-def: $sgpr34
                                        ; implicit-def: $vgpr15
	v_cmpx_lt_i16_e32 28, v16
	s_xor_b32 vcc_hi, exec_lo, vcc_hi
	s_cbranch_execz .LBB47_1463
; %bb.1448:                             ;   in Loop: Header=BB47_17 Depth=1
	s_mov_b32 s35, 0
	s_mov_b32 s30, exec_lo
                                        ; implicit-def: $sgpr31
                                        ; implicit-def: $sgpr34
                                        ; implicit-def: $vgpr15
	v_cmpx_lt_i16_e32 43, v16
	s_xor_b32 s30, exec_lo, s30
	s_cbranch_execz .LBB47_1458
; %bb.1449:                             ;   in Loop: Header=BB47_17 Depth=1
	s_mov_b32 s36, exec_lo
                                        ; implicit-def: $sgpr34
                                        ; implicit-def: $sgpr31
                                        ; implicit-def: $vgpr15
	v_cmpx_lt_i16_e32 45, v16
	s_xor_b32 s36, exec_lo, s36
	s_cbranch_execz .LBB47_1453
; %bb.1450:                             ;   in Loop: Header=BB47_17 Depth=1
	s_mov_b32 s31, 0
	s_mov_b32 s34, exec_lo
                                        ; implicit-def: $vgpr15
	v_cmpx_eq_u16_e32 46, v16
	s_cbranch_execz .LBB47_1452
; %bb.1451:                             ;   in Loop: Header=BB47_17 Depth=1
	flat_load_b32 v0, v[0:1]
	s_mov_b32 s35, exec_lo
	s_waitcnt vmcnt(0) lgkmcnt(0)
	v_lshlrev_b32_e32 v15, 16, v0
.LBB47_1452:                            ;   in Loop: Header=BB47_17 Depth=1
	s_or_b32 exec_lo, exec_lo, s34
	s_mov_b32 s34, -1
	s_and_b32 s35, s35, exec_lo
                                        ; implicit-def: $vgpr16
                                        ; implicit-def: $vgpr0_vgpr1
.LBB47_1453:                            ;   in Loop: Header=BB47_17 Depth=1
	s_and_not1_saveexec_b32 s36, s36
	s_cbranch_execz .LBB47_1457
; %bb.1454:                             ;   in Loop: Header=BB47_17 Depth=1
	s_mov_b32 s38, s35
	s_mov_b32 s37, exec_lo
                                        ; implicit-def: $vgpr15
	v_cmpx_eq_u16_e32 44, v16
	s_cbranch_execz .LBB47_1456
; %bb.1455:                             ;   in Loop: Header=BB47_17 Depth=1
	flat_load_u8 v0, v[0:1]
	s_or_b32 s38, s35, exec_lo
	s_waitcnt vmcnt(0) lgkmcnt(0)
	v_lshlrev_b32_e32 v1, 23, v0
	v_cmp_ne_u32_e32 vcc_lo, 0xff, v0
	s_delay_alu instid0(VALU_DEP_2) | instskip(SKIP_1) | instid1(VALU_DEP_2)
	v_cndmask_b32_e32 v1, 0x7f800001, v1, vcc_lo
	v_cmp_ne_u32_e32 vcc_lo, 0, v0
	v_cndmask_b32_e32 v15, 0x400000, v1, vcc_lo
.LBB47_1456:                            ;   in Loop: Header=BB47_17 Depth=1
	s_or_b32 exec_lo, exec_lo, s37
	s_delay_alu instid0(SALU_CYCLE_1)
	s_and_not1_b32 vcc_lo, s35, exec_lo
	s_and_b32 s35, s38, exec_lo
	s_or_b32 s34, s34, exec_lo
	s_and_not1_b32 s31, s31, exec_lo
	s_or_b32 s35, vcc_lo, s35
.LBB47_1457:                            ;   in Loop: Header=BB47_17 Depth=1
	s_or_b32 exec_lo, exec_lo, s36
	s_delay_alu instid0(SALU_CYCLE_1)
	s_and_b32 s34, s34, exec_lo
	s_and_b32 s31, s31, exec_lo
	;; [unrolled: 1-line block ×3, first 2 shown]
                                        ; implicit-def: $vgpr16
                                        ; implicit-def: $vgpr0_vgpr1
.LBB47_1458:                            ;   in Loop: Header=BB47_17 Depth=1
	s_and_not1_saveexec_b32 s30, s30
	s_cbranch_execz .LBB47_1462
; %bb.1459:                             ;   in Loop: Header=BB47_17 Depth=1
	s_mov_b32 s37, s35
	s_mov_b32 s36, exec_lo
                                        ; implicit-def: $vgpr15
	v_cmpx_eq_u16_e32 29, v16
	s_cbranch_execz .LBB47_1461
; %bb.1460:                             ;   in Loop: Header=BB47_17 Depth=1
	flat_load_b64 v[0:1], v[0:1]
	s_or_b32 s37, s35, exec_lo
	s_waitcnt vmcnt(0) lgkmcnt(0)
	v_clz_i32_u32_e32 v15, v1
	s_delay_alu instid0(VALU_DEP_1) | instskip(NEXT) | instid1(VALU_DEP_1)
	v_min_u32_e32 v15, 32, v15
	v_lshlrev_b64 v[0:1], v15, v[0:1]
	s_delay_alu instid0(VALU_DEP_1) | instskip(NEXT) | instid1(VALU_DEP_1)
	v_min_u32_e32 v0, 1, v0
	v_or_b32_e32 v0, v1, v0
	v_sub_nc_u32_e32 v1, 32, v15
	s_delay_alu instid0(VALU_DEP_2) | instskip(NEXT) | instid1(VALU_DEP_1)
	v_cvt_f32_u32_e32 v0, v0
	v_ldexp_f32 v15, v0, v1
.LBB47_1461:                            ;   in Loop: Header=BB47_17 Depth=1
	s_or_b32 exec_lo, exec_lo, s36
	s_delay_alu instid0(SALU_CYCLE_1)
	s_and_not1_b32 vcc_lo, s35, exec_lo
	s_and_b32 s35, s37, exec_lo
	s_or_b32 s34, s34, exec_lo
	s_and_not1_b32 s31, s31, exec_lo
	s_or_b32 s35, vcc_lo, s35
.LBB47_1462:                            ;   in Loop: Header=BB47_17 Depth=1
	s_or_b32 exec_lo, exec_lo, s30
	s_delay_alu instid0(SALU_CYCLE_1)
	s_and_b32 s34, s34, exec_lo
	s_and_b32 s31, s31, exec_lo
	;; [unrolled: 1-line block ×3, first 2 shown]
                                        ; implicit-def: $vgpr16
                                        ; implicit-def: $vgpr0_vgpr1
.LBB47_1463:                            ;   in Loop: Header=BB47_17 Depth=1
	s_and_not1_saveexec_b32 vcc_hi, vcc_hi
	s_cbranch_execz .LBB47_1477
; %bb.1464:                             ;   in Loop: Header=BB47_17 Depth=1
	s_mov_b32 s35, exec_lo
                                        ; implicit-def: $vgpr15
	v_cmpx_lt_i16_e32 26, v16
	s_xor_b32 s35, exec_lo, s35
	s_cbranch_execz .LBB47_1470
; %bb.1465:                             ;   in Loop: Header=BB47_17 Depth=1
	v_cmp_lt_i16_e32 vcc_lo, 27, v16
                                        ; implicit-def: $vgpr15
	s_and_saveexec_b32 s36, vcc_lo
	s_delay_alu instid0(SALU_CYCLE_1)
	s_xor_b32 vcc_lo, exec_lo, s36
	s_cbranch_execz .LBB47_1467
; %bb.1466:                             ;   in Loop: Header=BB47_17 Depth=1
	flat_load_b32 v0, v[0:1]
	s_waitcnt vmcnt(0) lgkmcnt(0)
	v_cvt_f32_u32_e32 v15, v0
                                        ; implicit-def: $vgpr0_vgpr1
.LBB47_1467:                            ;   in Loop: Header=BB47_17 Depth=1
	s_and_not1_saveexec_b32 vcc_lo, vcc_lo
	s_cbranch_execz .LBB47_1469
; %bb.1468:                             ;   in Loop: Header=BB47_17 Depth=1
	flat_load_u16 v0, v[0:1]
	s_waitcnt vmcnt(0) lgkmcnt(0)
	v_cvt_f32_u32_e32 v15, v0
.LBB47_1469:                            ;   in Loop: Header=BB47_17 Depth=1
	s_or_b32 exec_lo, exec_lo, vcc_lo
                                        ; implicit-def: $vgpr0_vgpr1
.LBB47_1470:                            ;   in Loop: Header=BB47_17 Depth=1
	s_and_not1_saveexec_b32 s35, s35
	s_cbranch_execz .LBB47_1476
; %bb.1471:                             ;   in Loop: Header=BB47_17 Depth=1
	flat_load_u8 v0, v[0:1]
	s_mov_b32 s36, 0
	s_mov_b32 s38, exec_lo
                                        ; implicit-def: $sgpr37
	s_waitcnt vmcnt(0) lgkmcnt(0)
	v_cmpx_lt_i16_e32 0x7f, v0
	s_xor_b32 s38, exec_lo, s38
	s_cbranch_execnz .LBB47_2346
; %bb.1472:                             ;   in Loop: Header=BB47_17 Depth=1
	s_or_saveexec_b32 s38, s38
	v_mov_b32_e32 v15, s37
	s_xor_b32 exec_lo, exec_lo, s38
	s_cbranch_execnz .LBB47_2349
.LBB47_1473:                            ;   in Loop: Header=BB47_17 Depth=1
	s_or_b32 exec_lo, exec_lo, s38
	s_and_saveexec_b32 s37, s36
	s_cbranch_execz .LBB47_1475
.LBB47_1474:                            ;   in Loop: Header=BB47_17 Depth=1
	v_and_b32_e32 v1, 0xffff, v0
	s_delay_alu instid0(VALU_DEP_1) | instskip(NEXT) | instid1(VALU_DEP_1)
	v_and_b32_e32 v15, 7, v1
	v_clz_i32_u32_e32 v16, v15
	s_delay_alu instid0(VALU_DEP_1) | instskip(NEXT) | instid1(VALU_DEP_1)
	v_min_u32_e32 v16, 32, v16
	v_subrev_nc_u32_e32 v17, 28, v16
	v_sub_nc_u32_e32 v16, 29, v16
	s_delay_alu instid0(VALU_DEP_2) | instskip(SKIP_1) | instid1(VALU_DEP_2)
	v_lshlrev_b32_e32 v17, v17, v1
	v_bfe_u32 v1, v1, 3, 4
	v_and_b32_e32 v17, 7, v17
	s_delay_alu instid0(VALU_DEP_2) | instskip(NEXT) | instid1(VALU_DEP_2)
	v_cmp_eq_u32_e32 vcc_lo, 0, v1
	v_dual_cndmask_b32 v15, v15, v17 :: v_dual_lshlrev_b32 v0, 24, v0
	v_cndmask_b32_e32 v1, v1, v16, vcc_lo
	s_delay_alu instid0(VALU_DEP_2) | instskip(NEXT) | instid1(VALU_DEP_3)
	v_and_b32_e32 v0, 0x80000000, v0
	v_lshlrev_b32_e32 v15, 20, v15
	s_delay_alu instid0(VALU_DEP_3) | instskip(NEXT) | instid1(VALU_DEP_1)
	v_lshl_add_u32 v1, v1, 23, 0x3b800000
	v_or3_b32 v15, v0, v1, v15
.LBB47_1475:                            ;   in Loop: Header=BB47_17 Depth=1
	s_or_b32 exec_lo, exec_lo, s37
.LBB47_1476:                            ;   in Loop: Header=BB47_17 Depth=1
	s_delay_alu instid0(SALU_CYCLE_1) | instskip(NEXT) | instid1(SALU_CYCLE_1)
	s_or_b32 exec_lo, exec_lo, s35
	s_and_not1_b32 s34, s34, exec_lo
	s_and_not1_b32 s31, s31, exec_lo
	s_or_b32 s30, s30, exec_lo
.LBB47_1477:                            ;   in Loop: Header=BB47_17 Depth=1
	s_or_b32 exec_lo, exec_lo, vcc_hi
	s_delay_alu instid0(SALU_CYCLE_1)
	s_and_b32 vcc_hi, s34, exec_lo
	s_and_b32 s31, s31, exec_lo
	s_and_b32 s30, s30, exec_lo
                                        ; implicit-def: $vgpr16
                                        ; implicit-def: $vgpr0_vgpr1
.LBB47_1478:                            ;   in Loop: Header=BB47_17 Depth=1
	s_and_not1_saveexec_b32 s29, s29
	s_cbranch_execz .LBB47_1504
; %bb.1479:                             ;   in Loop: Header=BB47_17 Depth=1
	s_mov_b32 s35, s30
	s_mov_b32 s34, exec_lo
                                        ; implicit-def: $vgpr15
	v_cmpx_lt_i16_e32 22, v16
	s_xor_b32 s34, exec_lo, s34
	s_cbranch_execz .LBB47_1493
; %bb.1480:                             ;   in Loop: Header=BB47_17 Depth=1
	s_mov_b32 s35, exec_lo
                                        ; implicit-def: $vgpr15
	v_cmpx_lt_i16_e32 23, v16
	s_xor_b32 s35, exec_lo, s35
	s_cbranch_execz .LBB47_1490
; %bb.1481:                             ;   in Loop: Header=BB47_17 Depth=1
	;; [unrolled: 6-line block ×3, first 2 shown]
	flat_load_u8 v0, v[0:1]
	s_mov_b32 s37, 0
	s_mov_b32 s39, exec_lo
                                        ; implicit-def: $sgpr38
	s_waitcnt vmcnt(0) lgkmcnt(0)
	v_cmpx_lt_i16_e32 0x7f, v0
	s_xor_b32 s39, exec_lo, s39
	s_cbranch_execnz .LBB47_2565
; %bb.1483:                             ;   in Loop: Header=BB47_17 Depth=1
	s_or_saveexec_b32 s39, s39
	v_mov_b32_e32 v15, s38
	s_xor_b32 exec_lo, exec_lo, s39
	s_cbranch_execnz .LBB47_2568
.LBB47_1484:                            ;   in Loop: Header=BB47_17 Depth=1
	s_or_b32 exec_lo, exec_lo, s39
	s_and_saveexec_b32 s38, s37
	s_cbranch_execz .LBB47_1486
.LBB47_1485:                            ;   in Loop: Header=BB47_17 Depth=1
	v_and_b32_e32 v1, 0xffff, v0
	s_delay_alu instid0(VALU_DEP_1) | instskip(NEXT) | instid1(VALU_DEP_1)
	v_and_b32_e32 v15, 3, v1
	v_clz_i32_u32_e32 v16, v15
	s_delay_alu instid0(VALU_DEP_1) | instskip(NEXT) | instid1(VALU_DEP_1)
	v_min_u32_e32 v16, 32, v16
	v_subrev_nc_u32_e32 v17, 29, v16
	v_sub_nc_u32_e32 v16, 30, v16
	s_delay_alu instid0(VALU_DEP_2) | instskip(SKIP_1) | instid1(VALU_DEP_2)
	v_lshlrev_b32_e32 v17, v17, v1
	v_bfe_u32 v1, v1, 2, 5
	v_and_b32_e32 v17, 3, v17
	s_delay_alu instid0(VALU_DEP_2) | instskip(NEXT) | instid1(VALU_DEP_2)
	v_cmp_eq_u32_e32 vcc_lo, 0, v1
	v_dual_cndmask_b32 v15, v15, v17 :: v_dual_lshlrev_b32 v0, 24, v0
	v_cndmask_b32_e32 v1, v1, v16, vcc_lo
	s_delay_alu instid0(VALU_DEP_2) | instskip(NEXT) | instid1(VALU_DEP_3)
	v_and_b32_e32 v0, 0x80000000, v0
	v_lshlrev_b32_e32 v15, 21, v15
	s_delay_alu instid0(VALU_DEP_3) | instskip(NEXT) | instid1(VALU_DEP_1)
	v_lshl_add_u32 v1, v1, 23, 0x37800000
	v_or3_b32 v15, v0, v1, v15
.LBB47_1486:                            ;   in Loop: Header=BB47_17 Depth=1
	s_or_b32 exec_lo, exec_lo, s38
                                        ; implicit-def: $vgpr0_vgpr1
.LBB47_1487:                            ;   in Loop: Header=BB47_17 Depth=1
	s_and_not1_saveexec_b32 s36, s36
	s_cbranch_execz .LBB47_1489
; %bb.1488:                             ;   in Loop: Header=BB47_17 Depth=1
	flat_load_u8 v0, v[0:1]
	s_waitcnt vmcnt(0) lgkmcnt(0)
	v_lshlrev_b32_e32 v0, 24, v0
	s_delay_alu instid0(VALU_DEP_1) | instskip(NEXT) | instid1(VALU_DEP_1)
	v_and_b32_e32 v1, 0x7f000000, v0
	v_clz_i32_u32_e32 v15, v1
	v_add_nc_u32_e32 v17, 0x1000000, v1
	v_cmp_ne_u32_e32 vcc_lo, 0, v1
	s_delay_alu instid0(VALU_DEP_3) | instskip(NEXT) | instid1(VALU_DEP_1)
	v_min_u32_e32 v15, 32, v15
	v_sub_nc_u32_e64 v15, v15, 4 clamp
	s_delay_alu instid0(VALU_DEP_1) | instskip(SKIP_1) | instid1(VALU_DEP_2)
	v_lshlrev_b32_e32 v16, v15, v1
	v_lshlrev_b32_e32 v15, 23, v15
	v_lshrrev_b32_e32 v16, 4, v16
	s_delay_alu instid0(VALU_DEP_1) | instskip(SKIP_1) | instid1(VALU_DEP_2)
	v_sub_nc_u32_e32 v15, v16, v15
	v_ashrrev_i32_e32 v16, 8, v17
	v_add_nc_u32_e32 v15, 0x3c000000, v15
	s_delay_alu instid0(VALU_DEP_1) | instskip(NEXT) | instid1(VALU_DEP_1)
	v_and_or_b32 v15, 0x7f800000, v16, v15
	v_cndmask_b32_e32 v1, 0, v15, vcc_lo
	s_delay_alu instid0(VALU_DEP_1)
	v_and_or_b32 v15, 0x80000000, v0, v1
.LBB47_1489:                            ;   in Loop: Header=BB47_17 Depth=1
	s_or_b32 exec_lo, exec_lo, s36
                                        ; implicit-def: $vgpr0_vgpr1
.LBB47_1490:                            ;   in Loop: Header=BB47_17 Depth=1
	s_and_not1_saveexec_b32 s35, s35
	s_cbranch_execz .LBB47_1492
; %bb.1491:                             ;   in Loop: Header=BB47_17 Depth=1
	flat_load_u8 v0, v[0:1]
	s_waitcnt vmcnt(0) lgkmcnt(0)
	v_lshlrev_b32_e32 v1, 25, v0
	v_lshlrev_b16 v0, 8, v0
	s_delay_alu instid0(VALU_DEP_2) | instskip(NEXT) | instid1(VALU_DEP_2)
	v_lshrrev_b32_e32 v15, 4, v1
	v_and_or_b32 v16, 0x7f00, v0, 0.5
	v_cmp_gt_u32_e32 vcc_lo, 0x8000000, v1
	v_bfe_i32 v0, v0, 0, 16
	s_delay_alu instid0(VALU_DEP_4) | instskip(NEXT) | instid1(VALU_DEP_1)
	v_or_b32_e32 v15, 0x70000000, v15
	v_dual_add_f32 v16, -0.5, v16 :: v_dual_mul_f32 v15, 0x7800000, v15
	s_delay_alu instid0(VALU_DEP_1) | instskip(NEXT) | instid1(VALU_DEP_1)
	v_cndmask_b32_e32 v1, v15, v16, vcc_lo
	v_and_or_b32 v15, 0x80000000, v0, v1
.LBB47_1492:                            ;   in Loop: Header=BB47_17 Depth=1
	s_or_b32 exec_lo, exec_lo, s35
	s_delay_alu instid0(SALU_CYCLE_1)
	s_or_b32 s35, s30, exec_lo
                                        ; implicit-def: $vgpr16
                                        ; implicit-def: $vgpr0_vgpr1
.LBB47_1493:                            ;   in Loop: Header=BB47_17 Depth=1
	s_or_saveexec_b32 s34, s34
                                        ; implicit-def: $sgpr36
                                        ; implicit-def: $vcc_lo
	s_delay_alu instid0(SALU_CYCLE_1)
	s_xor_b32 exec_lo, exec_lo, s34
	s_cbranch_execz .LBB47_1503
; %bb.1494:                             ;   in Loop: Header=BB47_17 Depth=1
	s_mov_b32 s37, s35
	s_mov_b32 s39, exec_lo
                                        ; implicit-def: $sgpr38
                                        ; implicit-def: $sgpr36
                                        ; implicit-def: $vgpr15
	v_cmpx_lt_i16_e32 14, v16
	s_xor_b32 s39, exec_lo, s39
	s_cbranch_execz .LBB47_1498
; %bb.1495:                             ;   in Loop: Header=BB47_17 Depth=1
	s_mov_b32 s37, s35
	s_mov_b32 s36, exec_lo
                                        ; implicit-def: $vgpr15
	v_cmpx_eq_u16_e32 15, v16
	s_cbranch_execz .LBB47_1497
; %bb.1496:                             ;   in Loop: Header=BB47_17 Depth=1
	flat_load_u16 v0, v[0:1]
	s_or_b32 s37, s35, exec_lo
	s_waitcnt vmcnt(0) lgkmcnt(0)
	v_lshlrev_b32_e32 v15, 16, v0
.LBB47_1497:                            ;   in Loop: Header=BB47_17 Depth=1
	s_or_b32 exec_lo, exec_lo, s36
	s_delay_alu instid0(SALU_CYCLE_1)
	s_and_not1_b32 vcc_lo, s35, exec_lo
	s_and_b32 s37, s37, exec_lo
	s_mov_b32 s36, 0
	s_mov_b32 s38, -1
	s_or_b32 s37, vcc_lo, s37
                                        ; implicit-def: $vgpr16
                                        ; implicit-def: $vgpr0_vgpr1
.LBB47_1498:                            ;   in Loop: Header=BB47_17 Depth=1
	s_and_not1_saveexec_b32 s39, s39
	s_cbranch_execz .LBB47_1502
; %bb.1499:                             ;   in Loop: Header=BB47_17 Depth=1
	s_mov_b32 s40, s37
	s_mov_b32 s41, exec_lo
                                        ; implicit-def: $vgpr15
	v_cmpx_eq_u16_e32 11, v16
	s_cbranch_execz .LBB47_1501
; %bb.1500:                             ;   in Loop: Header=BB47_17 Depth=1
	flat_load_u8 v0, v[0:1]
	s_or_b32 s40, s37, exec_lo
	s_waitcnt vmcnt(0) lgkmcnt(0)
	v_cmp_ne_u16_e32 vcc_lo, 0, v0
	v_cndmask_b32_e64 v15, 0, 1.0, vcc_lo
.LBB47_1501:                            ;   in Loop: Header=BB47_17 Depth=1
	s_or_b32 exec_lo, exec_lo, s41
	s_delay_alu instid0(SALU_CYCLE_1)
	s_and_not1_b32 vcc_lo, s37, exec_lo
	s_and_b32 s37, s40, exec_lo
	s_or_b32 s38, s38, exec_lo
	s_and_not1_b32 s36, s36, exec_lo
	s_or_b32 s37, vcc_lo, s37
.LBB47_1502:                            ;   in Loop: Header=BB47_17 Depth=1
	s_or_b32 exec_lo, exec_lo, s39
	s_delay_alu instid0(SALU_CYCLE_1)
	s_and_not1_b32 s35, s35, exec_lo
	s_and_b32 s37, s37, exec_lo
	s_and_b32 vcc_lo, s38, exec_lo
	s_and_b32 s36, s36, exec_lo
	s_or_b32 s35, s35, s37
.LBB47_1503:                            ;   in Loop: Header=BB47_17 Depth=1
	s_or_b32 exec_lo, exec_lo, s34
	s_delay_alu instid0(SALU_CYCLE_1)
	s_and_not1_b32 vcc_hi, vcc_hi, exec_lo
	s_and_b32 vcc_lo, vcc_lo, exec_lo
	s_and_not1_b32 s30, s30, exec_lo
	s_or_b32 vcc_hi, vcc_hi, vcc_lo
	s_and_not1_b32 vcc_lo, s31, exec_lo
	s_and_b32 s31, s36, exec_lo
	s_and_b32 s34, s35, exec_lo
	s_or_b32 s31, vcc_lo, s31
	s_or_b32 s30, s30, s34
.LBB47_1504:                            ;   in Loop: Header=BB47_17 Depth=1
	s_or_b32 exec_lo, exec_lo, s29
	s_delay_alu instid0(SALU_CYCLE_1)
	s_and_b32 vcc_hi, vcc_hi, exec_lo
	s_and_b32 s29, s31, exec_lo
	s_and_b32 s30, s30, exec_lo
                                        ; implicit-def: $vgpr16
                                        ; implicit-def: $vgpr0_vgpr1
	s_and_not1_saveexec_b32 s28, s28
	s_cbranch_execz .LBB47_1421
.LBB47_1505:                            ;   in Loop: Header=BB47_17 Depth=1
	s_mov_b32 s31, exec_lo
                                        ; implicit-def: $vgpr15
	v_cmpx_lt_i16_e32 4, v16
	s_xor_b32 s31, exec_lo, s31
	s_cbranch_execz .LBB47_1527
; %bb.1506:                             ;   in Loop: Header=BB47_17 Depth=1
	s_mov_b32 s34, exec_lo
                                        ; implicit-def: $vgpr15
	v_cmpx_lt_i16_e32 7, v16
	s_xor_b32 s34, exec_lo, s34
	s_cbranch_execz .LBB47_1516
; %bb.1507:                             ;   in Loop: Header=BB47_17 Depth=1
	;; [unrolled: 6-line block ×3, first 2 shown]
	v_cmp_lt_i16_e32 vcc_lo, 9, v16
                                        ; implicit-def: $vgpr15
	s_and_saveexec_b32 s36, vcc_lo
	s_delay_alu instid0(SALU_CYCLE_1)
	s_xor_b32 vcc_lo, exec_lo, s36
	s_cbranch_execz .LBB47_1510
; %bb.1509:                             ;   in Loop: Header=BB47_17 Depth=1
	flat_load_b64 v[0:1], v[0:1]
	s_waitcnt vmcnt(0) lgkmcnt(0)
	v_cvt_f32_f64_e32 v15, v[0:1]
                                        ; implicit-def: $vgpr0_vgpr1
.LBB47_1510:                            ;   in Loop: Header=BB47_17 Depth=1
	s_and_not1_saveexec_b32 vcc_lo, vcc_lo
	s_cbranch_execz .LBB47_1512
; %bb.1511:                             ;   in Loop: Header=BB47_17 Depth=1
	flat_load_b32 v15, v[0:1]
.LBB47_1512:                            ;   in Loop: Header=BB47_17 Depth=1
	s_or_b32 exec_lo, exec_lo, vcc_lo
                                        ; implicit-def: $vgpr0_vgpr1
.LBB47_1513:                            ;   in Loop: Header=BB47_17 Depth=1
	s_and_not1_saveexec_b32 vcc_lo, s35
	s_cbranch_execz .LBB47_1515
; %bb.1514:                             ;   in Loop: Header=BB47_17 Depth=1
	flat_load_b32 v0, v[0:1]
	s_waitcnt vmcnt(0) lgkmcnt(0)
	v_cvt_f32_f16_e32 v15, v0
.LBB47_1515:                            ;   in Loop: Header=BB47_17 Depth=1
	s_or_b32 exec_lo, exec_lo, vcc_lo
                                        ; implicit-def: $vgpr0_vgpr1
                                        ; implicit-def: $vgpr16
.LBB47_1516:                            ;   in Loop: Header=BB47_17 Depth=1
	s_and_not1_saveexec_b32 s34, s34
	s_cbranch_execz .LBB47_1526
; %bb.1517:                             ;   in Loop: Header=BB47_17 Depth=1
	s_mov_b32 s35, exec_lo
                                        ; implicit-def: $vgpr15
	v_cmpx_lt_i16_e32 5, v16
	s_xor_b32 s35, exec_lo, s35
	s_cbranch_execz .LBB47_1523
; %bb.1518:                             ;   in Loop: Header=BB47_17 Depth=1
	v_cmp_lt_i16_e32 vcc_lo, 6, v16
                                        ; implicit-def: $vgpr15
	s_and_saveexec_b32 s36, vcc_lo
	s_delay_alu instid0(SALU_CYCLE_1)
	s_xor_b32 vcc_lo, exec_lo, s36
	s_cbranch_execz .LBB47_1520
; %bb.1519:                             ;   in Loop: Header=BB47_17 Depth=1
	flat_load_b64 v[0:1], v[0:1]
	s_waitcnt vmcnt(0) lgkmcnt(0)
	v_cvt_f32_f64_e32 v15, v[0:1]
                                        ; implicit-def: $vgpr0_vgpr1
.LBB47_1520:                            ;   in Loop: Header=BB47_17 Depth=1
	s_and_not1_saveexec_b32 vcc_lo, vcc_lo
	s_cbranch_execz .LBB47_1522
; %bb.1521:                             ;   in Loop: Header=BB47_17 Depth=1
	s_waitcnt vmcnt(0) lgkmcnt(0)
	flat_load_b32 v15, v[0:1]
.LBB47_1522:                            ;   in Loop: Header=BB47_17 Depth=1
	s_or_b32 exec_lo, exec_lo, vcc_lo
                                        ; implicit-def: $vgpr0_vgpr1
.LBB47_1523:                            ;   in Loop: Header=BB47_17 Depth=1
	s_and_not1_saveexec_b32 vcc_lo, s35
	s_cbranch_execz .LBB47_1525
; %bb.1524:                             ;   in Loop: Header=BB47_17 Depth=1
	flat_load_u16 v0, v[0:1]
	s_waitcnt vmcnt(0) lgkmcnt(0)
	v_cvt_f32_f16_e32 v15, v0
.LBB47_1525:                            ;   in Loop: Header=BB47_17 Depth=1
	s_or_b32 exec_lo, exec_lo, vcc_lo
.LBB47_1526:                            ;   in Loop: Header=BB47_17 Depth=1
	s_delay_alu instid0(SALU_CYCLE_1)
	s_or_b32 exec_lo, exec_lo, s34
                                        ; implicit-def: $vgpr16
                                        ; implicit-def: $vgpr0_vgpr1
.LBB47_1527:                            ;   in Loop: Header=BB47_17 Depth=1
	s_and_not1_saveexec_b32 s31, s31
	s_cbranch_execz .LBB47_1545
; %bb.1528:                             ;   in Loop: Header=BB47_17 Depth=1
	s_mov_b32 s34, exec_lo
                                        ; implicit-def: $vgpr15
	v_cmpx_lt_i16_e32 1, v16
	s_xor_b32 s34, exec_lo, s34
	s_cbranch_execz .LBB47_1538
; %bb.1529:                             ;   in Loop: Header=BB47_17 Depth=1
	s_mov_b32 s35, exec_lo
                                        ; implicit-def: $vgpr15
	v_cmpx_lt_i16_e32 2, v16
	s_xor_b32 s35, exec_lo, s35
	s_cbranch_execz .LBB47_1535
; %bb.1530:                             ;   in Loop: Header=BB47_17 Depth=1
	v_cmp_lt_i16_e32 vcc_lo, 3, v16
                                        ; implicit-def: $vgpr15
	s_and_saveexec_b32 s36, vcc_lo
	s_delay_alu instid0(SALU_CYCLE_1)
	s_xor_b32 vcc_lo, exec_lo, s36
	s_cbranch_execz .LBB47_1532
; %bb.1531:                             ;   in Loop: Header=BB47_17 Depth=1
	flat_load_b64 v[0:1], v[0:1]
	s_waitcnt vmcnt(0) lgkmcnt(0)
	v_xor_b32_e32 v15, v0, v1
	v_cls_i32_e32 v16, v1
	s_delay_alu instid0(VALU_DEP_2) | instskip(NEXT) | instid1(VALU_DEP_2)
	v_ashrrev_i32_e32 v15, 31, v15
	v_add_nc_u32_e32 v16, -1, v16
	s_delay_alu instid0(VALU_DEP_2) | instskip(NEXT) | instid1(VALU_DEP_1)
	v_add_nc_u32_e32 v15, 32, v15
	v_min_u32_e32 v15, v16, v15
	s_delay_alu instid0(VALU_DEP_1) | instskip(NEXT) | instid1(VALU_DEP_1)
	v_lshlrev_b64 v[0:1], v15, v[0:1]
	v_min_u32_e32 v0, 1, v0
	s_delay_alu instid0(VALU_DEP_1) | instskip(SKIP_1) | instid1(VALU_DEP_2)
	v_or_b32_e32 v0, v1, v0
	v_sub_nc_u32_e32 v1, 32, v15
	v_cvt_f32_i32_e32 v0, v0
	s_delay_alu instid0(VALU_DEP_1)
	v_ldexp_f32 v15, v0, v1
                                        ; implicit-def: $vgpr0_vgpr1
.LBB47_1532:                            ;   in Loop: Header=BB47_17 Depth=1
	s_and_not1_saveexec_b32 vcc_lo, vcc_lo
	s_cbranch_execz .LBB47_1534
; %bb.1533:                             ;   in Loop: Header=BB47_17 Depth=1
	flat_load_b32 v0, v[0:1]
	s_waitcnt vmcnt(0) lgkmcnt(0)
	v_cvt_f32_i32_e32 v15, v0
.LBB47_1534:                            ;   in Loop: Header=BB47_17 Depth=1
	s_or_b32 exec_lo, exec_lo, vcc_lo
                                        ; implicit-def: $vgpr0_vgpr1
.LBB47_1535:                            ;   in Loop: Header=BB47_17 Depth=1
	s_and_not1_saveexec_b32 vcc_lo, s35
	s_cbranch_execz .LBB47_1537
; %bb.1536:                             ;   in Loop: Header=BB47_17 Depth=1
	flat_load_i16 v0, v[0:1]
	s_waitcnt vmcnt(0) lgkmcnt(0)
	v_cvt_f32_i32_e32 v15, v0
.LBB47_1537:                            ;   in Loop: Header=BB47_17 Depth=1
	s_or_b32 exec_lo, exec_lo, vcc_lo
                                        ; implicit-def: $vgpr0_vgpr1
                                        ; implicit-def: $vgpr16
.LBB47_1538:                            ;   in Loop: Header=BB47_17 Depth=1
	s_and_not1_saveexec_b32 s34, s34
	s_cbranch_execz .LBB47_1544
; %bb.1539:                             ;   in Loop: Header=BB47_17 Depth=1
	v_cmp_lt_i16_e32 vcc_lo, 0, v16
                                        ; implicit-def: $vgpr15
	s_and_saveexec_b32 s35, vcc_lo
	s_delay_alu instid0(SALU_CYCLE_1)
	s_xor_b32 vcc_lo, exec_lo, s35
	s_cbranch_execz .LBB47_1541
; %bb.1540:                             ;   in Loop: Header=BB47_17 Depth=1
	flat_load_i8 v0, v[0:1]
	s_waitcnt vmcnt(0) lgkmcnt(0)
	v_cvt_f32_i32_e32 v15, v0
                                        ; implicit-def: $vgpr0_vgpr1
.LBB47_1541:                            ;   in Loop: Header=BB47_17 Depth=1
	s_and_not1_saveexec_b32 vcc_lo, vcc_lo
	s_cbranch_execz .LBB47_1543
; %bb.1542:                             ;   in Loop: Header=BB47_17 Depth=1
	flat_load_u8 v0, v[0:1]
	s_waitcnt vmcnt(0) lgkmcnt(0)
	v_cvt_f32_ubyte0_e32 v15, v0
.LBB47_1543:                            ;   in Loop: Header=BB47_17 Depth=1
	s_or_b32 exec_lo, exec_lo, vcc_lo
.LBB47_1544:                            ;   in Loop: Header=BB47_17 Depth=1
	s_delay_alu instid0(SALU_CYCLE_1)
	s_or_b32 exec_lo, exec_lo, s34
.LBB47_1545:                            ;   in Loop: Header=BB47_17 Depth=1
	s_delay_alu instid0(SALU_CYCLE_1) | instskip(NEXT) | instid1(SALU_CYCLE_1)
	s_or_b32 exec_lo, exec_lo, s31
	s_and_not1_b32 vcc_hi, vcc_hi, exec_lo
	s_and_not1_b32 s29, s29, exec_lo
	s_or_b32 s30, s30, exec_lo
	s_or_b32 exec_lo, exec_lo, s28
	s_mov_b32 s28, 0
	s_and_saveexec_b32 vcc_lo, s30
	s_cbranch_execnz .LBB47_1422
	s_branch .LBB47_1423
.LBB47_1546:                            ;   in Loop: Header=BB47_17 Depth=1
	s_mov_b32 s26, exec_lo
                                        ; implicit-def: $sgpr31
                                        ; implicit-def: $sgpr27
                                        ; implicit-def: $vgpr16
	v_cmpx_lt_i16_e32 25, v7
	s_xor_b32 s26, exec_lo, s26
	s_cbranch_execz .LBB47_1578
; %bb.1547:                             ;   in Loop: Header=BB47_17 Depth=1
	s_mov_b32 s27, exec_lo
                                        ; implicit-def: $sgpr31
                                        ; implicit-def: $sgpr34
                                        ; implicit-def: $vgpr16
	v_cmpx_lt_i16_e32 28, v7
	s_xor_b32 s27, exec_lo, s27
	s_cbranch_execz .LBB47_1563
; %bb.1548:                             ;   in Loop: Header=BB47_17 Depth=1
	s_mov_b32 s35, 0
	s_mov_b32 s30, exec_lo
                                        ; implicit-def: $sgpr31
                                        ; implicit-def: $sgpr34
                                        ; implicit-def: $vgpr16
	v_cmpx_lt_i16_e32 43, v7
	s_xor_b32 s30, exec_lo, s30
	s_cbranch_execz .LBB47_1558
; %bb.1549:                             ;   in Loop: Header=BB47_17 Depth=1
	s_mov_b32 s34, exec_lo
                                        ; implicit-def: $sgpr31
                                        ; implicit-def: $sgpr36
                                        ; implicit-def: $vgpr16
	v_cmpx_lt_i16_e32 45, v7
	s_xor_b32 s34, exec_lo, s34
	s_cbranch_execz .LBB47_1553
; %bb.1550:                             ;   in Loop: Header=BB47_17 Depth=1
	s_mov_b32 s31, 0
	s_mov_b32 s36, exec_lo
                                        ; implicit-def: $vgpr16
	v_cmpx_eq_u16_e32 46, v7
	s_cbranch_execz .LBB47_1552
; %bb.1551:                             ;   in Loop: Header=BB47_17 Depth=1
	flat_load_b32 v0, v[0:1]
	s_mov_b32 s35, exec_lo
	s_waitcnt vmcnt(0) lgkmcnt(0)
	v_lshlrev_b32_e32 v16, 16, v0
.LBB47_1552:                            ;   in Loop: Header=BB47_17 Depth=1
	s_or_b32 exec_lo, exec_lo, s36
	s_mov_b32 s36, -1
	s_and_b32 s35, s35, exec_lo
                                        ; implicit-def: $vgpr0_vgpr1
.LBB47_1553:                            ;   in Loop: Header=BB47_17 Depth=1
	s_and_not1_saveexec_b32 s34, s34
	s_cbranch_execz .LBB47_1557
; %bb.1554:                             ;   in Loop: Header=BB47_17 Depth=1
	s_mov_b32 s38, s35
	s_mov_b32 s37, exec_lo
                                        ; implicit-def: $vgpr16
	v_cmpx_eq_u16_e32 44, v7
	s_cbranch_execz .LBB47_1556
; %bb.1555:                             ;   in Loop: Header=BB47_17 Depth=1
	flat_load_u8 v0, v[0:1]
	s_or_b32 s38, s35, exec_lo
	s_waitcnt vmcnt(0) lgkmcnt(0)
	v_lshlrev_b32_e32 v1, 23, v0
	v_cmp_ne_u32_e32 vcc_lo, 0xff, v0
	s_delay_alu instid0(VALU_DEP_2) | instskip(SKIP_1) | instid1(VALU_DEP_2)
	v_cndmask_b32_e32 v1, 0x7f800001, v1, vcc_lo
	v_cmp_ne_u32_e32 vcc_lo, 0, v0
	v_cndmask_b32_e32 v16, 0x400000, v1, vcc_lo
.LBB47_1556:                            ;   in Loop: Header=BB47_17 Depth=1
	s_or_b32 exec_lo, exec_lo, s37
	s_delay_alu instid0(SALU_CYCLE_1)
	s_and_not1_b32 vcc_lo, s35, exec_lo
	s_and_b32 s35, s38, exec_lo
	s_and_not1_b32 s31, s31, exec_lo
	s_or_b32 s36, s36, exec_lo
	s_or_b32 s35, vcc_lo, s35
.LBB47_1557:                            ;   in Loop: Header=BB47_17 Depth=1
	s_or_b32 exec_lo, exec_lo, s34
	s_delay_alu instid0(SALU_CYCLE_1)
	s_and_b32 s34, s31, exec_lo
	s_and_b32 s31, s36, exec_lo
	;; [unrolled: 1-line block ×3, first 2 shown]
                                        ; implicit-def: $vgpr0_vgpr1
.LBB47_1558:                            ;   in Loop: Header=BB47_17 Depth=1
	s_and_not1_saveexec_b32 s30, s30
	s_cbranch_execz .LBB47_1562
; %bb.1559:                             ;   in Loop: Header=BB47_17 Depth=1
	s_mov_b32 s37, s35
	s_mov_b32 s36, exec_lo
                                        ; implicit-def: $vgpr16
	v_cmpx_eq_u16_e32 29, v7
	s_cbranch_execz .LBB47_1561
; %bb.1560:                             ;   in Loop: Header=BB47_17 Depth=1
	flat_load_b64 v[0:1], v[0:1]
	s_or_b32 s37, s35, exec_lo
	s_waitcnt vmcnt(0) lgkmcnt(0)
	v_clz_i32_u32_e32 v14, v1
	s_delay_alu instid0(VALU_DEP_1) | instskip(NEXT) | instid1(VALU_DEP_1)
	v_min_u32_e32 v14, 32, v14
	v_lshlrev_b64 v[0:1], v14, v[0:1]
	s_delay_alu instid0(VALU_DEP_1) | instskip(NEXT) | instid1(VALU_DEP_1)
	v_min_u32_e32 v0, 1, v0
	v_or_b32_e32 v0, v1, v0
	v_sub_nc_u32_e32 v1, 32, v14
	s_delay_alu instid0(VALU_DEP_2) | instskip(NEXT) | instid1(VALU_DEP_1)
	v_cvt_f32_u32_e32 v0, v0
	v_ldexp_f32 v16, v0, v1
.LBB47_1561:                            ;   in Loop: Header=BB47_17 Depth=1
	s_or_b32 exec_lo, exec_lo, s36
	s_delay_alu instid0(SALU_CYCLE_1)
	s_and_not1_b32 vcc_lo, s35, exec_lo
	s_and_b32 s35, s37, exec_lo
	s_and_not1_b32 s34, s34, exec_lo
	s_or_b32 s31, s31, exec_lo
	s_or_b32 s35, vcc_lo, s35
.LBB47_1562:                            ;   in Loop: Header=BB47_17 Depth=1
	s_or_b32 exec_lo, exec_lo, s30
	s_delay_alu instid0(SALU_CYCLE_1)
	s_and_b32 s34, s34, exec_lo
	s_and_b32 s31, s31, exec_lo
	;; [unrolled: 1-line block ×3, first 2 shown]
                                        ; implicit-def: $vgpr0_vgpr1
.LBB47_1563:                            ;   in Loop: Header=BB47_17 Depth=1
	s_and_not1_saveexec_b32 s27, s27
	s_cbranch_execz .LBB47_1577
; %bb.1564:                             ;   in Loop: Header=BB47_17 Depth=1
	s_mov_b32 s35, exec_lo
                                        ; implicit-def: $vgpr16
	v_cmpx_lt_i16_e32 26, v7
	s_xor_b32 s35, exec_lo, s35
	s_cbranch_execz .LBB47_1570
; %bb.1565:                             ;   in Loop: Header=BB47_17 Depth=1
	v_cmp_lt_i16_e32 vcc_lo, 27, v7
                                        ; implicit-def: $vgpr16
	s_and_saveexec_b32 s36, vcc_lo
	s_delay_alu instid0(SALU_CYCLE_1)
	s_xor_b32 vcc_lo, exec_lo, s36
	s_cbranch_execz .LBB47_1567
; %bb.1566:                             ;   in Loop: Header=BB47_17 Depth=1
	flat_load_b32 v0, v[0:1]
	s_waitcnt vmcnt(0) lgkmcnt(0)
	v_cvt_f32_u32_e32 v16, v0
                                        ; implicit-def: $vgpr0_vgpr1
.LBB47_1567:                            ;   in Loop: Header=BB47_17 Depth=1
	s_and_not1_saveexec_b32 vcc_lo, vcc_lo
	s_cbranch_execz .LBB47_1569
; %bb.1568:                             ;   in Loop: Header=BB47_17 Depth=1
	flat_load_u16 v0, v[0:1]
	s_waitcnt vmcnt(0) lgkmcnt(0)
	v_cvt_f32_u32_e32 v16, v0
.LBB47_1569:                            ;   in Loop: Header=BB47_17 Depth=1
	s_or_b32 exec_lo, exec_lo, vcc_lo
                                        ; implicit-def: $vgpr0_vgpr1
.LBB47_1570:                            ;   in Loop: Header=BB47_17 Depth=1
	s_and_not1_saveexec_b32 s35, s35
	s_cbranch_execz .LBB47_1576
; %bb.1571:                             ;   in Loop: Header=BB47_17 Depth=1
	flat_load_u8 v0, v[0:1]
	s_mov_b32 s36, 0
	s_mov_b32 s38, exec_lo
                                        ; implicit-def: $sgpr37
	s_waitcnt vmcnt(0) lgkmcnt(0)
	v_cmpx_lt_i16_e32 0x7f, v0
	s_xor_b32 s38, exec_lo, s38
	s_cbranch_execnz .LBB47_2350
; %bb.1572:                             ;   in Loop: Header=BB47_17 Depth=1
	s_or_saveexec_b32 s38, s38
	v_mov_b32_e32 v16, s37
	s_xor_b32 exec_lo, exec_lo, s38
	s_cbranch_execnz .LBB47_2353
.LBB47_1573:                            ;   in Loop: Header=BB47_17 Depth=1
	s_or_b32 exec_lo, exec_lo, s38
	s_and_saveexec_b32 s37, s36
	s_cbranch_execz .LBB47_1575
.LBB47_1574:                            ;   in Loop: Header=BB47_17 Depth=1
	v_and_b32_e32 v1, 0xffff, v0
	v_lshlrev_b32_e32 v0, 24, v0
	s_delay_alu instid0(VALU_DEP_2) | instskip(NEXT) | instid1(VALU_DEP_2)
	v_and_b32_e32 v14, 7, v1
	v_and_b32_e32 v0, 0x80000000, v0
	s_delay_alu instid0(VALU_DEP_2) | instskip(NEXT) | instid1(VALU_DEP_1)
	v_clz_i32_u32_e32 v16, v14
	v_min_u32_e32 v16, 32, v16
	s_delay_alu instid0(VALU_DEP_1) | instskip(SKIP_1) | instid1(VALU_DEP_2)
	v_subrev_nc_u32_e32 v17, 28, v16
	v_sub_nc_u32_e32 v16, 29, v16
	v_lshlrev_b32_e32 v17, v17, v1
	v_bfe_u32 v1, v1, 3, 4
	s_delay_alu instid0(VALU_DEP_2) | instskip(NEXT) | instid1(VALU_DEP_2)
	v_and_b32_e32 v17, 7, v17
	v_cmp_eq_u32_e32 vcc_lo, 0, v1
	s_delay_alu instid0(VALU_DEP_2) | instskip(NEXT) | instid1(VALU_DEP_1)
	v_dual_cndmask_b32 v1, v1, v16 :: v_dual_cndmask_b32 v14, v14, v17
	v_lshl_add_u32 v1, v1, 23, 0x3b800000
	s_delay_alu instid0(VALU_DEP_2) | instskip(NEXT) | instid1(VALU_DEP_1)
	v_lshlrev_b32_e32 v14, 20, v14
	v_or3_b32 v16, v0, v1, v14
.LBB47_1575:                            ;   in Loop: Header=BB47_17 Depth=1
	s_or_b32 exec_lo, exec_lo, s37
.LBB47_1576:                            ;   in Loop: Header=BB47_17 Depth=1
	s_delay_alu instid0(SALU_CYCLE_1) | instskip(NEXT) | instid1(SALU_CYCLE_1)
	s_or_b32 exec_lo, exec_lo, s35
	s_and_not1_b32 s34, s34, exec_lo
	s_and_not1_b32 s31, s31, exec_lo
	s_or_b32 s30, s30, exec_lo
.LBB47_1577:                            ;   in Loop: Header=BB47_17 Depth=1
	s_or_b32 exec_lo, exec_lo, s27
	s_delay_alu instid0(SALU_CYCLE_1)
	s_and_b32 s27, s34, exec_lo
	s_and_b32 s31, s31, exec_lo
	s_and_b32 s30, s30, exec_lo
                                        ; implicit-def: $vgpr0_vgpr1
.LBB47_1578:                            ;   in Loop: Header=BB47_17 Depth=1
	s_and_not1_saveexec_b32 s26, s26
	s_cbranch_execz .LBB47_1604
; %bb.1579:                             ;   in Loop: Header=BB47_17 Depth=1
	s_mov_b32 s35, s30
	s_mov_b32 s34, exec_lo
                                        ; implicit-def: $vgpr16
	v_cmpx_lt_i16_e32 22, v7
	s_xor_b32 s34, exec_lo, s34
	s_cbranch_execz .LBB47_1593
; %bb.1580:                             ;   in Loop: Header=BB47_17 Depth=1
	s_mov_b32 s35, exec_lo
                                        ; implicit-def: $vgpr16
	v_cmpx_lt_i16_e32 23, v7
	s_xor_b32 s35, exec_lo, s35
	s_cbranch_execz .LBB47_1590
; %bb.1581:                             ;   in Loop: Header=BB47_17 Depth=1
	;; [unrolled: 6-line block ×3, first 2 shown]
	flat_load_u8 v0, v[0:1]
	s_mov_b32 s37, 0
	s_mov_b32 s39, exec_lo
                                        ; implicit-def: $sgpr38
	s_waitcnt vmcnt(0) lgkmcnt(0)
	v_cmpx_lt_i16_e32 0x7f, v0
	s_xor_b32 s39, exec_lo, s39
	s_cbranch_execnz .LBB47_2569
; %bb.1583:                             ;   in Loop: Header=BB47_17 Depth=1
	s_or_saveexec_b32 s39, s39
	v_mov_b32_e32 v16, s38
	s_xor_b32 exec_lo, exec_lo, s39
	s_cbranch_execnz .LBB47_2572
.LBB47_1584:                            ;   in Loop: Header=BB47_17 Depth=1
	s_or_b32 exec_lo, exec_lo, s39
	s_and_saveexec_b32 s38, s37
	s_cbranch_execz .LBB47_1586
.LBB47_1585:                            ;   in Loop: Header=BB47_17 Depth=1
	v_and_b32_e32 v1, 0xffff, v0
	v_lshlrev_b32_e32 v0, 24, v0
	s_delay_alu instid0(VALU_DEP_2) | instskip(NEXT) | instid1(VALU_DEP_2)
	v_and_b32_e32 v14, 3, v1
	v_and_b32_e32 v0, 0x80000000, v0
	s_delay_alu instid0(VALU_DEP_2) | instskip(NEXT) | instid1(VALU_DEP_1)
	v_clz_i32_u32_e32 v16, v14
	v_min_u32_e32 v16, 32, v16
	s_delay_alu instid0(VALU_DEP_1) | instskip(SKIP_1) | instid1(VALU_DEP_2)
	v_subrev_nc_u32_e32 v17, 29, v16
	v_sub_nc_u32_e32 v16, 30, v16
	v_lshlrev_b32_e32 v17, v17, v1
	v_bfe_u32 v1, v1, 2, 5
	s_delay_alu instid0(VALU_DEP_2) | instskip(NEXT) | instid1(VALU_DEP_2)
	v_and_b32_e32 v17, 3, v17
	v_cmp_eq_u32_e32 vcc_lo, 0, v1
	s_delay_alu instid0(VALU_DEP_2) | instskip(NEXT) | instid1(VALU_DEP_1)
	v_dual_cndmask_b32 v1, v1, v16 :: v_dual_cndmask_b32 v14, v14, v17
	v_lshl_add_u32 v1, v1, 23, 0x37800000
	s_delay_alu instid0(VALU_DEP_2) | instskip(NEXT) | instid1(VALU_DEP_1)
	v_lshlrev_b32_e32 v14, 21, v14
	v_or3_b32 v16, v0, v1, v14
.LBB47_1586:                            ;   in Loop: Header=BB47_17 Depth=1
	s_or_b32 exec_lo, exec_lo, s38
                                        ; implicit-def: $vgpr0_vgpr1
.LBB47_1587:                            ;   in Loop: Header=BB47_17 Depth=1
	s_and_not1_saveexec_b32 s36, s36
	s_cbranch_execz .LBB47_1589
; %bb.1588:                             ;   in Loop: Header=BB47_17 Depth=1
	flat_load_u8 v0, v[0:1]
	s_waitcnt vmcnt(0) lgkmcnt(0)
	v_lshlrev_b32_e32 v0, 24, v0
	s_delay_alu instid0(VALU_DEP_1) | instskip(NEXT) | instid1(VALU_DEP_1)
	v_and_b32_e32 v1, 0x7f000000, v0
	v_clz_i32_u32_e32 v14, v1
	v_add_nc_u32_e32 v17, 0x1000000, v1
	v_cmp_ne_u32_e32 vcc_lo, 0, v1
	s_delay_alu instid0(VALU_DEP_3) | instskip(NEXT) | instid1(VALU_DEP_1)
	v_min_u32_e32 v14, 32, v14
	v_sub_nc_u32_e64 v14, v14, 4 clamp
	s_delay_alu instid0(VALU_DEP_1) | instskip(SKIP_1) | instid1(VALU_DEP_2)
	v_lshlrev_b32_e32 v16, v14, v1
	v_lshlrev_b32_e32 v14, 23, v14
	v_lshrrev_b32_e32 v16, 4, v16
	s_delay_alu instid0(VALU_DEP_1) | instskip(SKIP_1) | instid1(VALU_DEP_2)
	v_sub_nc_u32_e32 v14, v16, v14
	v_ashrrev_i32_e32 v16, 8, v17
	v_add_nc_u32_e32 v14, 0x3c000000, v14
	s_delay_alu instid0(VALU_DEP_1) | instskip(NEXT) | instid1(VALU_DEP_1)
	v_and_or_b32 v14, 0x7f800000, v16, v14
	v_cndmask_b32_e32 v1, 0, v14, vcc_lo
	s_delay_alu instid0(VALU_DEP_1)
	v_and_or_b32 v16, 0x80000000, v0, v1
.LBB47_1589:                            ;   in Loop: Header=BB47_17 Depth=1
	s_or_b32 exec_lo, exec_lo, s36
                                        ; implicit-def: $vgpr0_vgpr1
.LBB47_1590:                            ;   in Loop: Header=BB47_17 Depth=1
	s_and_not1_saveexec_b32 s35, s35
	s_cbranch_execz .LBB47_1592
; %bb.1591:                             ;   in Loop: Header=BB47_17 Depth=1
	flat_load_u8 v0, v[0:1]
	s_waitcnt vmcnt(0) lgkmcnt(0)
	v_lshlrev_b32_e32 v1, 25, v0
	v_lshlrev_b16 v0, 8, v0
	s_delay_alu instid0(VALU_DEP_2) | instskip(NEXT) | instid1(VALU_DEP_2)
	v_lshrrev_b32_e32 v14, 4, v1
	v_and_or_b32 v16, 0x7f00, v0, 0.5
	v_bfe_i32 v0, v0, 0, 16
	s_delay_alu instid0(VALU_DEP_3) | instskip(NEXT) | instid1(VALU_DEP_3)
	v_or_b32_e32 v14, 0x70000000, v14
	v_add_f32_e32 v16, -0.5, v16
	s_delay_alu instid0(VALU_DEP_2) | instskip(SKIP_1) | instid1(VALU_DEP_2)
	v_mul_f32_e32 v14, 0x7800000, v14
	v_cmp_gt_u32_e32 vcc_lo, 0x8000000, v1
	v_cndmask_b32_e32 v1, v14, v16, vcc_lo
	s_delay_alu instid0(VALU_DEP_1)
	v_and_or_b32 v16, 0x80000000, v0, v1
.LBB47_1592:                            ;   in Loop: Header=BB47_17 Depth=1
	s_or_b32 exec_lo, exec_lo, s35
	s_delay_alu instid0(SALU_CYCLE_1)
	s_or_b32 s35, s30, exec_lo
                                        ; implicit-def: $vgpr0_vgpr1
.LBB47_1593:                            ;   in Loop: Header=BB47_17 Depth=1
	s_or_saveexec_b32 s34, s34
                                        ; implicit-def: $sgpr36
                                        ; implicit-def: $vcc_lo
	s_delay_alu instid0(SALU_CYCLE_1)
	s_xor_b32 exec_lo, exec_lo, s34
	s_cbranch_execz .LBB47_1603
; %bb.1594:                             ;   in Loop: Header=BB47_17 Depth=1
	s_mov_b32 s37, s35
	s_mov_b32 s39, exec_lo
                                        ; implicit-def: $sgpr38
                                        ; implicit-def: $sgpr36
                                        ; implicit-def: $vgpr16
	v_cmpx_lt_i16_e32 14, v7
	s_xor_b32 s39, exec_lo, s39
	s_cbranch_execz .LBB47_1598
; %bb.1595:                             ;   in Loop: Header=BB47_17 Depth=1
	s_mov_b32 s37, s35
	s_mov_b32 s36, exec_lo
                                        ; implicit-def: $vgpr16
	v_cmpx_eq_u16_e32 15, v7
	s_cbranch_execz .LBB47_1597
; %bb.1596:                             ;   in Loop: Header=BB47_17 Depth=1
	flat_load_u16 v0, v[0:1]
	s_or_b32 s37, s35, exec_lo
	s_waitcnt vmcnt(0) lgkmcnt(0)
	v_lshlrev_b32_e32 v16, 16, v0
.LBB47_1597:                            ;   in Loop: Header=BB47_17 Depth=1
	s_or_b32 exec_lo, exec_lo, s36
	s_delay_alu instid0(SALU_CYCLE_1)
	s_and_not1_b32 vcc_lo, s35, exec_lo
	s_and_b32 s37, s37, exec_lo
	s_mov_b32 s36, -1
	s_mov_b32 s38, 0
	s_or_b32 s37, vcc_lo, s37
                                        ; implicit-def: $vgpr0_vgpr1
.LBB47_1598:                            ;   in Loop: Header=BB47_17 Depth=1
	s_and_not1_saveexec_b32 s39, s39
	s_cbranch_execz .LBB47_1602
; %bb.1599:                             ;   in Loop: Header=BB47_17 Depth=1
	s_mov_b32 s40, s37
	s_mov_b32 s41, exec_lo
                                        ; implicit-def: $vgpr16
	v_cmpx_eq_u16_e32 11, v7
	s_cbranch_execz .LBB47_1601
; %bb.1600:                             ;   in Loop: Header=BB47_17 Depth=1
	flat_load_u8 v0, v[0:1]
	s_or_b32 s40, s37, exec_lo
	s_waitcnt vmcnt(0) lgkmcnt(0)
	v_cmp_ne_u16_e32 vcc_lo, 0, v0
	v_cndmask_b32_e64 v16, 0, 1.0, vcc_lo
.LBB47_1601:                            ;   in Loop: Header=BB47_17 Depth=1
	s_or_b32 exec_lo, exec_lo, s41
	s_delay_alu instid0(SALU_CYCLE_1)
	s_and_not1_b32 vcc_lo, s37, exec_lo
	s_and_b32 s37, s40, exec_lo
	s_and_not1_b32 s38, s38, exec_lo
	s_or_b32 s36, s36, exec_lo
	s_or_b32 s37, vcc_lo, s37
.LBB47_1602:                            ;   in Loop: Header=BB47_17 Depth=1
	s_or_b32 exec_lo, exec_lo, s39
	s_delay_alu instid0(SALU_CYCLE_1)
	s_and_not1_b32 s35, s35, exec_lo
	s_and_b32 s37, s37, exec_lo
	s_and_b32 vcc_lo, s38, exec_lo
	s_and_b32 s36, s36, exec_lo
	s_or_b32 s35, s35, s37
.LBB47_1603:                            ;   in Loop: Header=BB47_17 Depth=1
	s_or_b32 exec_lo, exec_lo, s34
	s_delay_alu instid0(SALU_CYCLE_1)
	s_and_not1_b32 s27, s27, exec_lo
	s_and_b32 vcc_lo, vcc_lo, exec_lo
	s_and_not1_b32 s30, s30, exec_lo
	s_or_b32 s27, s27, vcc_lo
	s_and_not1_b32 vcc_lo, s31, exec_lo
	s_and_b32 s31, s36, exec_lo
	s_and_b32 s34, s35, exec_lo
	s_or_b32 s31, vcc_lo, s31
	s_or_b32 s30, s30, s34
.LBB47_1604:                            ;   in Loop: Header=BB47_17 Depth=1
	s_or_b32 exec_lo, exec_lo, s26
	s_delay_alu instid0(SALU_CYCLE_1)
	s_and_b32 s27, s27, exec_lo
	s_and_b32 s26, s31, exec_lo
	;; [unrolled: 1-line block ×3, first 2 shown]
                                        ; implicit-def: $vgpr0_vgpr1
	s_and_not1_saveexec_b32 vcc_hi, vcc_hi
	s_cbranch_execz .LBB47_1429
.LBB47_1605:                            ;   in Loop: Header=BB47_17 Depth=1
	s_mov_b32 s31, exec_lo
                                        ; implicit-def: $vgpr16
	v_cmpx_lt_i16_e32 4, v7
	s_xor_b32 s31, exec_lo, s31
	s_cbranch_execz .LBB47_1627
; %bb.1606:                             ;   in Loop: Header=BB47_17 Depth=1
	s_mov_b32 s34, exec_lo
                                        ; implicit-def: $vgpr16
	v_cmpx_lt_i16_e32 7, v7
	s_xor_b32 s34, exec_lo, s34
	s_cbranch_execz .LBB47_1616
; %bb.1607:                             ;   in Loop: Header=BB47_17 Depth=1
	;; [unrolled: 6-line block ×3, first 2 shown]
	v_cmp_lt_i16_e32 vcc_lo, 9, v7
                                        ; implicit-def: $vgpr16
	s_and_saveexec_b32 s36, vcc_lo
	s_delay_alu instid0(SALU_CYCLE_1)
	s_xor_b32 vcc_lo, exec_lo, s36
	s_cbranch_execz .LBB47_1610
; %bb.1609:                             ;   in Loop: Header=BB47_17 Depth=1
	flat_load_b64 v[0:1], v[0:1]
	s_waitcnt vmcnt(0) lgkmcnt(0)
	v_cvt_f32_f64_e32 v16, v[0:1]
                                        ; implicit-def: $vgpr0_vgpr1
.LBB47_1610:                            ;   in Loop: Header=BB47_17 Depth=1
	s_and_not1_saveexec_b32 vcc_lo, vcc_lo
	s_cbranch_execz .LBB47_1612
; %bb.1611:                             ;   in Loop: Header=BB47_17 Depth=1
	flat_load_b32 v16, v[0:1]
.LBB47_1612:                            ;   in Loop: Header=BB47_17 Depth=1
	s_or_b32 exec_lo, exec_lo, vcc_lo
                                        ; implicit-def: $vgpr0_vgpr1
.LBB47_1613:                            ;   in Loop: Header=BB47_17 Depth=1
	s_and_not1_saveexec_b32 vcc_lo, s35
	s_cbranch_execz .LBB47_1615
; %bb.1614:                             ;   in Loop: Header=BB47_17 Depth=1
	flat_load_b32 v0, v[0:1]
	s_waitcnt vmcnt(0) lgkmcnt(0)
	v_cvt_f32_f16_e32 v16, v0
.LBB47_1615:                            ;   in Loop: Header=BB47_17 Depth=1
	s_or_b32 exec_lo, exec_lo, vcc_lo
                                        ; implicit-def: $vgpr0_vgpr1
.LBB47_1616:                            ;   in Loop: Header=BB47_17 Depth=1
	s_and_not1_saveexec_b32 s34, s34
	s_cbranch_execz .LBB47_1626
; %bb.1617:                             ;   in Loop: Header=BB47_17 Depth=1
	s_mov_b32 s35, exec_lo
                                        ; implicit-def: $vgpr16
	v_cmpx_lt_i16_e32 5, v7
	s_xor_b32 s35, exec_lo, s35
	s_cbranch_execz .LBB47_1623
; %bb.1618:                             ;   in Loop: Header=BB47_17 Depth=1
	v_cmp_lt_i16_e32 vcc_lo, 6, v7
                                        ; implicit-def: $vgpr16
	s_and_saveexec_b32 s36, vcc_lo
	s_delay_alu instid0(SALU_CYCLE_1)
	s_xor_b32 vcc_lo, exec_lo, s36
	s_cbranch_execz .LBB47_1620
; %bb.1619:                             ;   in Loop: Header=BB47_17 Depth=1
	flat_load_b64 v[0:1], v[0:1]
	s_waitcnt vmcnt(0) lgkmcnt(0)
	v_cvt_f32_f64_e32 v16, v[0:1]
                                        ; implicit-def: $vgpr0_vgpr1
.LBB47_1620:                            ;   in Loop: Header=BB47_17 Depth=1
	s_and_not1_saveexec_b32 vcc_lo, vcc_lo
	s_cbranch_execz .LBB47_1622
; %bb.1621:                             ;   in Loop: Header=BB47_17 Depth=1
	s_waitcnt vmcnt(0) lgkmcnt(0)
	flat_load_b32 v16, v[0:1]
.LBB47_1622:                            ;   in Loop: Header=BB47_17 Depth=1
	s_or_b32 exec_lo, exec_lo, vcc_lo
                                        ; implicit-def: $vgpr0_vgpr1
.LBB47_1623:                            ;   in Loop: Header=BB47_17 Depth=1
	s_and_not1_saveexec_b32 vcc_lo, s35
	s_cbranch_execz .LBB47_1625
; %bb.1624:                             ;   in Loop: Header=BB47_17 Depth=1
	flat_load_u16 v0, v[0:1]
	s_waitcnt vmcnt(0) lgkmcnt(0)
	v_cvt_f32_f16_e32 v16, v0
.LBB47_1625:                            ;   in Loop: Header=BB47_17 Depth=1
	s_or_b32 exec_lo, exec_lo, vcc_lo
.LBB47_1626:                            ;   in Loop: Header=BB47_17 Depth=1
	s_delay_alu instid0(SALU_CYCLE_1)
	s_or_b32 exec_lo, exec_lo, s34
                                        ; implicit-def: $vgpr0_vgpr1
.LBB47_1627:                            ;   in Loop: Header=BB47_17 Depth=1
	s_and_not1_saveexec_b32 s31, s31
	s_cbranch_execz .LBB47_1645
; %bb.1628:                             ;   in Loop: Header=BB47_17 Depth=1
	s_mov_b32 s34, exec_lo
                                        ; implicit-def: $vgpr16
	v_cmpx_lt_i16_e32 1, v7
	s_xor_b32 s34, exec_lo, s34
	s_cbranch_execz .LBB47_1638
; %bb.1629:                             ;   in Loop: Header=BB47_17 Depth=1
	s_mov_b32 s35, exec_lo
                                        ; implicit-def: $vgpr16
	v_cmpx_lt_i16_e32 2, v7
	s_xor_b32 s35, exec_lo, s35
	s_cbranch_execz .LBB47_1635
; %bb.1630:                             ;   in Loop: Header=BB47_17 Depth=1
	v_cmp_lt_i16_e32 vcc_lo, 3, v7
                                        ; implicit-def: $vgpr16
	s_and_saveexec_b32 s36, vcc_lo
	s_delay_alu instid0(SALU_CYCLE_1)
	s_xor_b32 vcc_lo, exec_lo, s36
	s_cbranch_execz .LBB47_1632
; %bb.1631:                             ;   in Loop: Header=BB47_17 Depth=1
	flat_load_b64 v[0:1], v[0:1]
	s_waitcnt vmcnt(0) lgkmcnt(0)
	v_xor_b32_e32 v14, v0, v1
	v_cls_i32_e32 v16, v1
	s_delay_alu instid0(VALU_DEP_2) | instskip(NEXT) | instid1(VALU_DEP_2)
	v_ashrrev_i32_e32 v14, 31, v14
	v_add_nc_u32_e32 v16, -1, v16
	s_delay_alu instid0(VALU_DEP_2) | instskip(NEXT) | instid1(VALU_DEP_1)
	v_add_nc_u32_e32 v14, 32, v14
	v_min_u32_e32 v14, v16, v14
	s_delay_alu instid0(VALU_DEP_1) | instskip(NEXT) | instid1(VALU_DEP_1)
	v_lshlrev_b64 v[0:1], v14, v[0:1]
	v_min_u32_e32 v0, 1, v0
	s_delay_alu instid0(VALU_DEP_1) | instskip(SKIP_1) | instid1(VALU_DEP_2)
	v_or_b32_e32 v0, v1, v0
	v_sub_nc_u32_e32 v1, 32, v14
	v_cvt_f32_i32_e32 v0, v0
	s_delay_alu instid0(VALU_DEP_1)
	v_ldexp_f32 v16, v0, v1
                                        ; implicit-def: $vgpr0_vgpr1
.LBB47_1632:                            ;   in Loop: Header=BB47_17 Depth=1
	s_and_not1_saveexec_b32 vcc_lo, vcc_lo
	s_cbranch_execz .LBB47_1634
; %bb.1633:                             ;   in Loop: Header=BB47_17 Depth=1
	flat_load_b32 v0, v[0:1]
	s_waitcnt vmcnt(0) lgkmcnt(0)
	v_cvt_f32_i32_e32 v16, v0
.LBB47_1634:                            ;   in Loop: Header=BB47_17 Depth=1
	s_or_b32 exec_lo, exec_lo, vcc_lo
                                        ; implicit-def: $vgpr0_vgpr1
.LBB47_1635:                            ;   in Loop: Header=BB47_17 Depth=1
	s_and_not1_saveexec_b32 vcc_lo, s35
	s_cbranch_execz .LBB47_1637
; %bb.1636:                             ;   in Loop: Header=BB47_17 Depth=1
	flat_load_i16 v0, v[0:1]
	s_waitcnt vmcnt(0) lgkmcnt(0)
	v_cvt_f32_i32_e32 v16, v0
.LBB47_1637:                            ;   in Loop: Header=BB47_17 Depth=1
	s_or_b32 exec_lo, exec_lo, vcc_lo
                                        ; implicit-def: $vgpr0_vgpr1
.LBB47_1638:                            ;   in Loop: Header=BB47_17 Depth=1
	s_and_not1_saveexec_b32 s34, s34
	s_cbranch_execz .LBB47_1644
; %bb.1639:                             ;   in Loop: Header=BB47_17 Depth=1
	v_cmp_lt_i16_e32 vcc_lo, 0, v7
                                        ; implicit-def: $vgpr16
	s_and_saveexec_b32 s35, vcc_lo
	s_delay_alu instid0(SALU_CYCLE_1)
	s_xor_b32 vcc_lo, exec_lo, s35
	s_cbranch_execz .LBB47_1641
; %bb.1640:                             ;   in Loop: Header=BB47_17 Depth=1
	flat_load_i8 v0, v[0:1]
	s_waitcnt vmcnt(0) lgkmcnt(0)
	v_cvt_f32_i32_e32 v16, v0
                                        ; implicit-def: $vgpr0_vgpr1
.LBB47_1641:                            ;   in Loop: Header=BB47_17 Depth=1
	s_and_not1_saveexec_b32 vcc_lo, vcc_lo
	s_cbranch_execz .LBB47_1643
; %bb.1642:                             ;   in Loop: Header=BB47_17 Depth=1
	flat_load_u8 v0, v[0:1]
	s_waitcnt vmcnt(0) lgkmcnt(0)
	v_cvt_f32_ubyte0_e32 v16, v0
.LBB47_1643:                            ;   in Loop: Header=BB47_17 Depth=1
	s_or_b32 exec_lo, exec_lo, vcc_lo
.LBB47_1644:                            ;   in Loop: Header=BB47_17 Depth=1
	s_delay_alu instid0(SALU_CYCLE_1)
	s_or_b32 exec_lo, exec_lo, s34
.LBB47_1645:                            ;   in Loop: Header=BB47_17 Depth=1
	s_delay_alu instid0(SALU_CYCLE_1) | instskip(NEXT) | instid1(SALU_CYCLE_1)
	s_or_b32 exec_lo, exec_lo, s31
	s_and_not1_b32 s27, s27, exec_lo
	s_and_not1_b32 s26, s26, exec_lo
	s_or_b32 s30, s30, exec_lo
	s_or_b32 exec_lo, exec_lo, vcc_hi
	s_mov_b32 vcc_lo, 0
	s_and_saveexec_b32 vcc_hi, s30
	s_cbranch_execz .LBB47_1651
.LBB47_1646:                            ;   in Loop: Header=BB47_17 Depth=1
	v_add_nc_u32_e64 v14, s1, s33
	s_mov_b32 s35, 0
	s_mov_b32 s30, exec_lo
                                        ; implicit-def: $sgpr31
                                        ; implicit-def: $sgpr34
	s_delay_alu instid0(VALU_DEP_1) | instskip(SKIP_4) | instid1(VALU_DEP_2)
	v_add_nc_u32_e32 v0, 60, v14
	s_waitcnt vmcnt(0) lgkmcnt(0)
	scratch_store_b32 v0, v16, off
	v_mul_lo_u32 v0, v15, v10
	v_and_b32_e32 v16, 0xff, v8
                                        ; implicit-def: $vgpr15
	v_add_co_u32 v0, vcc_lo, v4, v0
	v_add_co_ci_u32_e32 v1, vcc_lo, 0, v5, vcc_lo
	s_delay_alu instid0(VALU_DEP_3)
	v_cmpx_lt_i16_e32 10, v16
	s_xor_b32 s30, exec_lo, s30
	s_cbranch_execnz .LBB47_1673
; %bb.1647:                             ;   in Loop: Header=BB47_17 Depth=1
	s_and_not1_saveexec_b32 s30, s30
	s_cbranch_execnz .LBB47_1732
.LBB47_1648:                            ;   in Loop: Header=BB47_17 Depth=1
	s_or_b32 exec_lo, exec_lo, s30
	s_mov_b32 vcc_lo, 0
	s_and_saveexec_b32 s30, s35
	s_cbranch_execz .LBB47_1650
.LBB47_1649:                            ;   in Loop: Header=BB47_17 Depth=1
	v_add_nc_u32_e32 v0, 56, v14
	v_add_nc_u32_e32 v13, 0x200, v13
	s_mov_b32 vcc_lo, exec_lo
	s_and_not1_b32 s34, s34, exec_lo
	s_and_not1_b32 s31, s31, exec_lo
	s_waitcnt vmcnt(0) lgkmcnt(0)
	scratch_store_b32 v0, v15, off
.LBB47_1650:                            ;   in Loop: Header=BB47_17 Depth=1
	s_or_b32 exec_lo, exec_lo, s30
	s_delay_alu instid0(SALU_CYCLE_1)
	s_and_not1_b32 s27, s27, exec_lo
	s_and_b32 s30, s34, exec_lo
	s_and_not1_b32 s26, s26, exec_lo
	s_and_b32 s31, s31, exec_lo
	s_or_b32 s27, s27, s30
	s_or_b32 s26, s26, s31
	s_and_b32 vcc_lo, vcc_lo, exec_lo
.LBB47_1651:                            ;   in Loop: Header=BB47_17 Depth=1
	s_or_b32 exec_lo, exec_lo, vcc_hi
	s_delay_alu instid0(SALU_CYCLE_1)
	s_and_b32 s27, s27, exec_lo
	s_and_b32 s26, s26, exec_lo
	s_or_not1_b32 vcc_hi, vcc_lo, exec_lo
.LBB47_1652:                            ;   in Loop: Header=BB47_17 Depth=1
	s_or_b32 exec_lo, exec_lo, s28
	s_and_saveexec_b32 s28, vcc_hi
	s_cbranch_execz .LBB47_9
; %bb.1653:                             ;   in Loop: Header=BB47_17 Depth=1
	s_mov_b32 s31, -1
	s_mov_b32 s34, -1
	s_mov_b32 s30, exec_lo
                                        ; implicit-def: $sgpr29
                                        ; implicit-def: $vcc_hi
	v_cmpx_lt_i32_e64 v13, v6
	s_cbranch_execz .LBB47_1879
; %bb.1654:                             ;   in Loop: Header=BB47_17 Depth=1
	s_waitcnt vmcnt(0) lgkmcnt(0)
	v_add_nc_u32_e32 v15, s11, v13
	s_mov_b32 s35, 0
	s_mov_b32 s34, exec_lo
                                        ; implicit-def: $sgpr29
                                        ; implicit-def: $vcc_hi
                                        ; implicit-def: $vgpr16
	s_delay_alu instid0(VALU_DEP_1) | instskip(NEXT) | instid1(VALU_DEP_1)
	v_mul_lo_u32 v0, v15, v9
	v_add_co_u32 v0, vcc_lo, v2, v0
	v_add_co_ci_u32_e32 v1, vcc_lo, 0, v3, vcc_lo
	v_cmpx_lt_i16_e32 10, v7
	s_xor_b32 s34, exec_lo, s34
	s_cbranch_execnz .LBB47_1773
; %bb.1655:                             ;   in Loop: Header=BB47_17 Depth=1
	s_and_not1_saveexec_b32 s34, s34
	s_cbranch_execnz .LBB47_1832
.LBB47_1656:                            ;   in Loop: Header=BB47_17 Depth=1
	s_or_b32 exec_lo, exec_lo, s34
	s_mov_b32 vcc_lo, 0
	s_and_saveexec_b32 s34, s35
	s_cbranch_execnz .LBB47_1873
	s_branch .LBB47_1878
.LBB47_1657:                            ;   in Loop: Header=BB47_17 Depth=1
	s_mov_b32 s24, -1
	s_mov_b32 s27, exec_lo
                                        ; implicit-def: $sgpr25
	v_cmpx_eq_u16_e32 0x80, v0
; %bb.1658:                             ;   in Loop: Header=BB47_17 Depth=1
	s_mov_b32 s25, 0x7f800001
	s_xor_b32 s24, exec_lo, -1
; %bb.1659:                             ;   in Loop: Header=BB47_17 Depth=1
	s_or_b32 exec_lo, exec_lo, s27
	s_delay_alu instid0(SALU_CYCLE_1)
	s_and_b32 s24, s24, exec_lo
	s_or_saveexec_b32 s26, s26
	v_mov_b32_e32 v15, s25
	s_xor_b32 exec_lo, exec_lo, s26
	s_cbranch_execz .LBB47_592
.LBB47_1660:                            ;   in Loop: Header=BB47_17 Depth=1
	v_cmp_ne_u16_e32 vcc_lo, 0, v0
	v_mov_b32_e32 v15, 0
	s_and_not1_b32 s24, s24, exec_lo
	s_and_b32 s25, vcc_lo, exec_lo
	s_delay_alu instid0(SALU_CYCLE_1)
	s_or_b32 s24, s24, s25
	s_or_b32 exec_lo, exec_lo, s26
	s_and_saveexec_b32 s25, s24
	s_cbranch_execnz .LBB47_593
	s_branch .LBB47_594
.LBB47_1661:                            ;   in Loop: Header=BB47_17 Depth=1
	s_mov_b32 s24, -1
	s_mov_b32 s27, exec_lo
                                        ; implicit-def: $sgpr25
	v_cmpx_eq_u16_e32 0x80, v0
; %bb.1662:                             ;   in Loop: Header=BB47_17 Depth=1
	s_mov_b32 s25, 0x7f800001
	s_xor_b32 s24, exec_lo, -1
; %bb.1663:                             ;   in Loop: Header=BB47_17 Depth=1
	s_or_b32 exec_lo, exec_lo, s27
	s_delay_alu instid0(SALU_CYCLE_1)
	s_and_b32 s24, s24, exec_lo
	s_or_saveexec_b32 s26, s26
	v_mov_b32_e32 v16, s25
	s_xor_b32 exec_lo, exec_lo, s26
	s_cbranch_execz .LBB47_692
.LBB47_1664:                            ;   in Loop: Header=BB47_17 Depth=1
	v_cmp_ne_u16_e32 vcc_lo, 0, v0
	v_mov_b32_e32 v16, 0
	s_and_not1_b32 s24, s24, exec_lo
	s_and_b32 s25, vcc_lo, exec_lo
	s_delay_alu instid0(SALU_CYCLE_1)
	s_or_b32 s24, s24, s25
	s_or_b32 exec_lo, exec_lo, s26
	s_and_saveexec_b32 s25, s24
	s_cbranch_execnz .LBB47_693
	s_branch .LBB47_694
.LBB47_1665:                            ;   in Loop: Header=BB47_17 Depth=1
	s_mov_b32 s26, -1
	s_mov_b32 s29, exec_lo
                                        ; implicit-def: $sgpr27
	v_cmpx_eq_u16_e32 0x80, v0
; %bb.1666:                             ;   in Loop: Header=BB47_17 Depth=1
	s_mov_b32 s27, 0x7f800001
	s_xor_b32 s26, exec_lo, -1
; %bb.1667:                             ;   in Loop: Header=BB47_17 Depth=1
	s_or_b32 exec_lo, exec_lo, s29
	s_delay_alu instid0(SALU_CYCLE_1)
	s_and_b32 s26, s26, exec_lo
	s_or_saveexec_b32 s28, s28
	v_mov_b32_e32 v15, s27
	s_xor_b32 exec_lo, exec_lo, s28
	s_cbranch_execz .LBB47_796
.LBB47_1668:                            ;   in Loop: Header=BB47_17 Depth=1
	v_cmp_ne_u16_e32 vcc_lo, 0, v0
	v_mov_b32_e32 v15, 0
	s_and_not1_b32 s26, s26, exec_lo
	s_and_b32 s27, vcc_lo, exec_lo
	s_delay_alu instid0(SALU_CYCLE_1)
	s_or_b32 s26, s26, s27
	s_or_b32 exec_lo, exec_lo, s28
	s_and_saveexec_b32 s27, s26
	s_cbranch_execnz .LBB47_797
	s_branch .LBB47_798
.LBB47_1669:                            ;   in Loop: Header=BB47_17 Depth=1
	s_mov_b32 s26, -1
	s_mov_b32 s29, exec_lo
                                        ; implicit-def: $sgpr27
	v_cmpx_eq_u16_e32 0x80, v0
; %bb.1670:                             ;   in Loop: Header=BB47_17 Depth=1
	s_mov_b32 s27, 0x7f800001
	s_xor_b32 s26, exec_lo, -1
; %bb.1671:                             ;   in Loop: Header=BB47_17 Depth=1
	s_or_b32 exec_lo, exec_lo, s29
	s_delay_alu instid0(SALU_CYCLE_1)
	s_and_b32 s26, s26, exec_lo
	s_or_saveexec_b32 s28, s28
	v_mov_b32_e32 v16, s27
	s_xor_b32 exec_lo, exec_lo, s28
	s_cbranch_execz .LBB47_896
.LBB47_1672:                            ;   in Loop: Header=BB47_17 Depth=1
	v_cmp_ne_u16_e32 vcc_lo, 0, v0
	v_mov_b32_e32 v16, 0
	s_and_not1_b32 s26, s26, exec_lo
	s_and_b32 s27, vcc_lo, exec_lo
	s_delay_alu instid0(SALU_CYCLE_1)
	s_or_b32 s26, s26, s27
	s_or_b32 exec_lo, exec_lo, s28
	s_and_saveexec_b32 s27, s26
	s_cbranch_execnz .LBB47_897
	s_branch .LBB47_898
.LBB47_1673:                            ;   in Loop: Header=BB47_17 Depth=1
	s_mov_b32 s31, exec_lo
                                        ; implicit-def: $sgpr36
                                        ; implicit-def: $sgpr34
                                        ; implicit-def: $vgpr15
	v_cmpx_lt_i16_e32 25, v16
	s_xor_b32 s31, exec_lo, s31
	s_cbranch_execz .LBB47_1705
; %bb.1674:                             ;   in Loop: Header=BB47_17 Depth=1
	s_mov_b32 s34, exec_lo
                                        ; implicit-def: $sgpr36
                                        ; implicit-def: $sgpr37
                                        ; implicit-def: $vgpr15
	v_cmpx_lt_i16_e32 28, v16
	s_xor_b32 s34, exec_lo, s34
	s_cbranch_execz .LBB47_1690
; %bb.1675:                             ;   in Loop: Header=BB47_17 Depth=1
	s_mov_b32 s38, 0
	s_mov_b32 s35, exec_lo
                                        ; implicit-def: $sgpr36
                                        ; implicit-def: $sgpr37
                                        ; implicit-def: $vgpr15
	v_cmpx_lt_i16_e32 43, v16
	s_xor_b32 s35, exec_lo, s35
	s_cbranch_execz .LBB47_1685
; %bb.1676:                             ;   in Loop: Header=BB47_17 Depth=1
	s_mov_b32 s39, exec_lo
                                        ; implicit-def: $sgpr37
                                        ; implicit-def: $sgpr36
                                        ; implicit-def: $vgpr15
	v_cmpx_lt_i16_e32 45, v16
	s_xor_b32 s39, exec_lo, s39
	s_cbranch_execz .LBB47_1680
; %bb.1677:                             ;   in Loop: Header=BB47_17 Depth=1
	s_mov_b32 s36, 0
	s_mov_b32 s37, exec_lo
                                        ; implicit-def: $vgpr15
	v_cmpx_eq_u16_e32 46, v16
	s_cbranch_execz .LBB47_1679
; %bb.1678:                             ;   in Loop: Header=BB47_17 Depth=1
	flat_load_b32 v0, v[0:1]
	s_mov_b32 s38, exec_lo
	s_waitcnt vmcnt(0) lgkmcnt(0)
	v_lshlrev_b32_e32 v15, 16, v0
.LBB47_1679:                            ;   in Loop: Header=BB47_17 Depth=1
	s_or_b32 exec_lo, exec_lo, s37
	s_mov_b32 s37, -1
	s_and_b32 s38, s38, exec_lo
                                        ; implicit-def: $vgpr16
                                        ; implicit-def: $vgpr0_vgpr1
.LBB47_1680:                            ;   in Loop: Header=BB47_17 Depth=1
	s_and_not1_saveexec_b32 s39, s39
	s_cbranch_execz .LBB47_1684
; %bb.1681:                             ;   in Loop: Header=BB47_17 Depth=1
	s_mov_b32 s41, s38
	s_mov_b32 s40, exec_lo
                                        ; implicit-def: $vgpr15
	v_cmpx_eq_u16_e32 44, v16
	s_cbranch_execz .LBB47_1683
; %bb.1682:                             ;   in Loop: Header=BB47_17 Depth=1
	flat_load_u8 v0, v[0:1]
	s_or_b32 s41, s38, exec_lo
	s_waitcnt vmcnt(0) lgkmcnt(0)
	v_lshlrev_b32_e32 v1, 23, v0
	v_cmp_ne_u32_e32 vcc_lo, 0xff, v0
	s_delay_alu instid0(VALU_DEP_2) | instskip(SKIP_1) | instid1(VALU_DEP_2)
	v_cndmask_b32_e32 v1, 0x7f800001, v1, vcc_lo
	v_cmp_ne_u32_e32 vcc_lo, 0, v0
	v_cndmask_b32_e32 v15, 0x400000, v1, vcc_lo
.LBB47_1683:                            ;   in Loop: Header=BB47_17 Depth=1
	s_or_b32 exec_lo, exec_lo, s40
	s_delay_alu instid0(SALU_CYCLE_1)
	s_and_not1_b32 vcc_lo, s38, exec_lo
	s_and_b32 s38, s41, exec_lo
	s_or_b32 s37, s37, exec_lo
	s_and_not1_b32 s36, s36, exec_lo
	s_or_b32 s38, vcc_lo, s38
.LBB47_1684:                            ;   in Loop: Header=BB47_17 Depth=1
	s_or_b32 exec_lo, exec_lo, s39
	s_delay_alu instid0(SALU_CYCLE_1)
	s_and_b32 s37, s37, exec_lo
	s_and_b32 s36, s36, exec_lo
	;; [unrolled: 1-line block ×3, first 2 shown]
                                        ; implicit-def: $vgpr16
                                        ; implicit-def: $vgpr0_vgpr1
.LBB47_1685:                            ;   in Loop: Header=BB47_17 Depth=1
	s_and_not1_saveexec_b32 s35, s35
	s_cbranch_execz .LBB47_1689
; %bb.1686:                             ;   in Loop: Header=BB47_17 Depth=1
	s_mov_b32 s40, s38
	s_mov_b32 s39, exec_lo
                                        ; implicit-def: $vgpr15
	v_cmpx_eq_u16_e32 29, v16
	s_cbranch_execz .LBB47_1688
; %bb.1687:                             ;   in Loop: Header=BB47_17 Depth=1
	flat_load_b64 v[0:1], v[0:1]
	s_or_b32 s40, s38, exec_lo
	s_waitcnt vmcnt(0) lgkmcnt(0)
	v_clz_i32_u32_e32 v15, v1
	s_delay_alu instid0(VALU_DEP_1) | instskip(NEXT) | instid1(VALU_DEP_1)
	v_min_u32_e32 v15, 32, v15
	v_lshlrev_b64 v[0:1], v15, v[0:1]
	s_delay_alu instid0(VALU_DEP_1) | instskip(NEXT) | instid1(VALU_DEP_1)
	v_min_u32_e32 v0, 1, v0
	v_or_b32_e32 v0, v1, v0
	v_sub_nc_u32_e32 v1, 32, v15
	s_delay_alu instid0(VALU_DEP_2) | instskip(NEXT) | instid1(VALU_DEP_1)
	v_cvt_f32_u32_e32 v0, v0
	v_ldexp_f32 v15, v0, v1
.LBB47_1688:                            ;   in Loop: Header=BB47_17 Depth=1
	s_or_b32 exec_lo, exec_lo, s39
	s_delay_alu instid0(SALU_CYCLE_1)
	s_and_not1_b32 vcc_lo, s38, exec_lo
	s_and_b32 s38, s40, exec_lo
	s_or_b32 s37, s37, exec_lo
	s_and_not1_b32 s36, s36, exec_lo
	s_or_b32 s38, vcc_lo, s38
.LBB47_1689:                            ;   in Loop: Header=BB47_17 Depth=1
	s_or_b32 exec_lo, exec_lo, s35
	s_delay_alu instid0(SALU_CYCLE_1)
	s_and_b32 s37, s37, exec_lo
	s_and_b32 s36, s36, exec_lo
	;; [unrolled: 1-line block ×3, first 2 shown]
                                        ; implicit-def: $vgpr16
                                        ; implicit-def: $vgpr0_vgpr1
.LBB47_1690:                            ;   in Loop: Header=BB47_17 Depth=1
	s_and_not1_saveexec_b32 s34, s34
	s_cbranch_execz .LBB47_1704
; %bb.1691:                             ;   in Loop: Header=BB47_17 Depth=1
	s_mov_b32 s38, exec_lo
                                        ; implicit-def: $vgpr15
	v_cmpx_lt_i16_e32 26, v16
	s_xor_b32 s38, exec_lo, s38
	s_cbranch_execz .LBB47_1697
; %bb.1692:                             ;   in Loop: Header=BB47_17 Depth=1
	v_cmp_lt_i16_e32 vcc_lo, 27, v16
                                        ; implicit-def: $vgpr15
	s_and_saveexec_b32 s39, vcc_lo
	s_delay_alu instid0(SALU_CYCLE_1)
	s_xor_b32 vcc_lo, exec_lo, s39
	s_cbranch_execz .LBB47_1694
; %bb.1693:                             ;   in Loop: Header=BB47_17 Depth=1
	flat_load_b32 v0, v[0:1]
	s_waitcnt vmcnt(0) lgkmcnt(0)
	v_cvt_f32_u32_e32 v15, v0
                                        ; implicit-def: $vgpr0_vgpr1
.LBB47_1694:                            ;   in Loop: Header=BB47_17 Depth=1
	s_and_not1_saveexec_b32 vcc_lo, vcc_lo
	s_cbranch_execz .LBB47_1696
; %bb.1695:                             ;   in Loop: Header=BB47_17 Depth=1
	flat_load_u16 v0, v[0:1]
	s_waitcnt vmcnt(0) lgkmcnt(0)
	v_cvt_f32_u32_e32 v15, v0
.LBB47_1696:                            ;   in Loop: Header=BB47_17 Depth=1
	s_or_b32 exec_lo, exec_lo, vcc_lo
                                        ; implicit-def: $vgpr0_vgpr1
.LBB47_1697:                            ;   in Loop: Header=BB47_17 Depth=1
	s_and_not1_saveexec_b32 s38, s38
	s_cbranch_execz .LBB47_1703
; %bb.1698:                             ;   in Loop: Header=BB47_17 Depth=1
	flat_load_u8 v0, v[0:1]
	s_mov_b32 s39, 0
	s_mov_b32 s41, exec_lo
                                        ; implicit-def: $sgpr40
	s_waitcnt vmcnt(0) lgkmcnt(0)
	v_cmpx_lt_i16_e32 0x7f, v0
	s_xor_b32 s41, exec_lo, s41
	s_cbranch_execnz .LBB47_2573
; %bb.1699:                             ;   in Loop: Header=BB47_17 Depth=1
	s_or_saveexec_b32 s41, s41
	v_mov_b32_e32 v15, s40
	s_xor_b32 exec_lo, exec_lo, s41
	s_cbranch_execnz .LBB47_2576
.LBB47_1700:                            ;   in Loop: Header=BB47_17 Depth=1
	s_or_b32 exec_lo, exec_lo, s41
	s_and_saveexec_b32 s40, s39
	s_cbranch_execz .LBB47_1702
.LBB47_1701:                            ;   in Loop: Header=BB47_17 Depth=1
	v_and_b32_e32 v1, 0xffff, v0
	s_delay_alu instid0(VALU_DEP_1) | instskip(NEXT) | instid1(VALU_DEP_1)
	v_and_b32_e32 v15, 7, v1
	v_clz_i32_u32_e32 v16, v15
	s_delay_alu instid0(VALU_DEP_1) | instskip(NEXT) | instid1(VALU_DEP_1)
	v_min_u32_e32 v16, 32, v16
	v_subrev_nc_u32_e32 v17, 28, v16
	v_sub_nc_u32_e32 v16, 29, v16
	s_delay_alu instid0(VALU_DEP_2) | instskip(SKIP_1) | instid1(VALU_DEP_2)
	v_lshlrev_b32_e32 v17, v17, v1
	v_bfe_u32 v1, v1, 3, 4
	v_and_b32_e32 v17, 7, v17
	s_delay_alu instid0(VALU_DEP_2) | instskip(NEXT) | instid1(VALU_DEP_2)
	v_cmp_eq_u32_e32 vcc_lo, 0, v1
	v_dual_cndmask_b32 v15, v15, v17 :: v_dual_lshlrev_b32 v0, 24, v0
	v_cndmask_b32_e32 v1, v1, v16, vcc_lo
	s_delay_alu instid0(VALU_DEP_2) | instskip(NEXT) | instid1(VALU_DEP_3)
	v_and_b32_e32 v0, 0x80000000, v0
	v_lshlrev_b32_e32 v15, 20, v15
	s_delay_alu instid0(VALU_DEP_3) | instskip(NEXT) | instid1(VALU_DEP_1)
	v_lshl_add_u32 v1, v1, 23, 0x3b800000
	v_or3_b32 v15, v0, v1, v15
.LBB47_1702:                            ;   in Loop: Header=BB47_17 Depth=1
	s_or_b32 exec_lo, exec_lo, s40
.LBB47_1703:                            ;   in Loop: Header=BB47_17 Depth=1
	s_delay_alu instid0(SALU_CYCLE_1) | instskip(NEXT) | instid1(SALU_CYCLE_1)
	s_or_b32 exec_lo, exec_lo, s38
	s_and_not1_b32 s37, s37, exec_lo
	s_and_not1_b32 s36, s36, exec_lo
	s_or_b32 s35, s35, exec_lo
.LBB47_1704:                            ;   in Loop: Header=BB47_17 Depth=1
	s_or_b32 exec_lo, exec_lo, s34
	s_delay_alu instid0(SALU_CYCLE_1)
	s_and_b32 s34, s37, exec_lo
	s_and_b32 s36, s36, exec_lo
	s_and_b32 s35, s35, exec_lo
                                        ; implicit-def: $vgpr16
                                        ; implicit-def: $vgpr0_vgpr1
.LBB47_1705:                            ;   in Loop: Header=BB47_17 Depth=1
	s_and_not1_saveexec_b32 s31, s31
	s_cbranch_execz .LBB47_1731
; %bb.1706:                             ;   in Loop: Header=BB47_17 Depth=1
	s_mov_b32 s38, s35
	s_mov_b32 s37, exec_lo
                                        ; implicit-def: $vgpr15
	v_cmpx_lt_i16_e32 22, v16
	s_xor_b32 s37, exec_lo, s37
	s_cbranch_execz .LBB47_1720
; %bb.1707:                             ;   in Loop: Header=BB47_17 Depth=1
	s_mov_b32 s38, exec_lo
                                        ; implicit-def: $vgpr15
	v_cmpx_lt_i16_e32 23, v16
	s_xor_b32 s38, exec_lo, s38
	s_cbranch_execz .LBB47_1717
; %bb.1708:                             ;   in Loop: Header=BB47_17 Depth=1
	;; [unrolled: 6-line block ×3, first 2 shown]
	flat_load_u8 v0, v[0:1]
	s_mov_b32 s40, 0
	s_mov_b32 s42, exec_lo
                                        ; implicit-def: $sgpr41
	s_waitcnt vmcnt(0) lgkmcnt(0)
	v_cmpx_lt_i16_e32 0x7f, v0
	s_xor_b32 s42, exec_lo, s42
	s_cbranch_execnz .LBB47_2792
; %bb.1710:                             ;   in Loop: Header=BB47_17 Depth=1
	s_or_saveexec_b32 s42, s42
	v_mov_b32_e32 v15, s41
	s_xor_b32 exec_lo, exec_lo, s42
	s_cbranch_execnz .LBB47_2795
.LBB47_1711:                            ;   in Loop: Header=BB47_17 Depth=1
	s_or_b32 exec_lo, exec_lo, s42
	s_and_saveexec_b32 s41, s40
	s_cbranch_execz .LBB47_1713
.LBB47_1712:                            ;   in Loop: Header=BB47_17 Depth=1
	v_and_b32_e32 v1, 0xffff, v0
	s_delay_alu instid0(VALU_DEP_1) | instskip(NEXT) | instid1(VALU_DEP_1)
	v_and_b32_e32 v15, 3, v1
	v_clz_i32_u32_e32 v16, v15
	s_delay_alu instid0(VALU_DEP_1) | instskip(NEXT) | instid1(VALU_DEP_1)
	v_min_u32_e32 v16, 32, v16
	v_subrev_nc_u32_e32 v17, 29, v16
	v_sub_nc_u32_e32 v16, 30, v16
	s_delay_alu instid0(VALU_DEP_2) | instskip(SKIP_1) | instid1(VALU_DEP_2)
	v_lshlrev_b32_e32 v17, v17, v1
	v_bfe_u32 v1, v1, 2, 5
	v_and_b32_e32 v17, 3, v17
	s_delay_alu instid0(VALU_DEP_2) | instskip(NEXT) | instid1(VALU_DEP_2)
	v_cmp_eq_u32_e32 vcc_lo, 0, v1
	v_dual_cndmask_b32 v15, v15, v17 :: v_dual_lshlrev_b32 v0, 24, v0
	v_cndmask_b32_e32 v1, v1, v16, vcc_lo
	s_delay_alu instid0(VALU_DEP_2) | instskip(NEXT) | instid1(VALU_DEP_3)
	v_and_b32_e32 v0, 0x80000000, v0
	v_lshlrev_b32_e32 v15, 21, v15
	s_delay_alu instid0(VALU_DEP_3) | instskip(NEXT) | instid1(VALU_DEP_1)
	v_lshl_add_u32 v1, v1, 23, 0x37800000
	v_or3_b32 v15, v0, v1, v15
.LBB47_1713:                            ;   in Loop: Header=BB47_17 Depth=1
	s_or_b32 exec_lo, exec_lo, s41
                                        ; implicit-def: $vgpr0_vgpr1
.LBB47_1714:                            ;   in Loop: Header=BB47_17 Depth=1
	s_and_not1_saveexec_b32 s39, s39
	s_cbranch_execz .LBB47_1716
; %bb.1715:                             ;   in Loop: Header=BB47_17 Depth=1
	flat_load_u8 v0, v[0:1]
	s_waitcnt vmcnt(0) lgkmcnt(0)
	v_lshlrev_b32_e32 v0, 24, v0
	s_delay_alu instid0(VALU_DEP_1) | instskip(NEXT) | instid1(VALU_DEP_1)
	v_and_b32_e32 v1, 0x7f000000, v0
	v_clz_i32_u32_e32 v15, v1
	v_add_nc_u32_e32 v17, 0x1000000, v1
	v_cmp_ne_u32_e32 vcc_lo, 0, v1
	s_delay_alu instid0(VALU_DEP_3) | instskip(NEXT) | instid1(VALU_DEP_1)
	v_min_u32_e32 v15, 32, v15
	v_sub_nc_u32_e64 v15, v15, 4 clamp
	s_delay_alu instid0(VALU_DEP_1) | instskip(SKIP_1) | instid1(VALU_DEP_2)
	v_lshlrev_b32_e32 v16, v15, v1
	v_lshlrev_b32_e32 v15, 23, v15
	v_lshrrev_b32_e32 v16, 4, v16
	s_delay_alu instid0(VALU_DEP_1) | instskip(SKIP_1) | instid1(VALU_DEP_2)
	v_sub_nc_u32_e32 v15, v16, v15
	v_ashrrev_i32_e32 v16, 8, v17
	v_add_nc_u32_e32 v15, 0x3c000000, v15
	s_delay_alu instid0(VALU_DEP_1) | instskip(NEXT) | instid1(VALU_DEP_1)
	v_and_or_b32 v15, 0x7f800000, v16, v15
	v_cndmask_b32_e32 v1, 0, v15, vcc_lo
	s_delay_alu instid0(VALU_DEP_1)
	v_and_or_b32 v15, 0x80000000, v0, v1
.LBB47_1716:                            ;   in Loop: Header=BB47_17 Depth=1
	s_or_b32 exec_lo, exec_lo, s39
                                        ; implicit-def: $vgpr0_vgpr1
.LBB47_1717:                            ;   in Loop: Header=BB47_17 Depth=1
	s_and_not1_saveexec_b32 s38, s38
	s_cbranch_execz .LBB47_1719
; %bb.1718:                             ;   in Loop: Header=BB47_17 Depth=1
	flat_load_u8 v0, v[0:1]
	s_waitcnt vmcnt(0) lgkmcnt(0)
	v_lshlrev_b32_e32 v1, 25, v0
	v_lshlrev_b16 v0, 8, v0
	s_delay_alu instid0(VALU_DEP_2) | instskip(NEXT) | instid1(VALU_DEP_2)
	v_lshrrev_b32_e32 v15, 4, v1
	v_and_or_b32 v16, 0x7f00, v0, 0.5
	v_cmp_gt_u32_e32 vcc_lo, 0x8000000, v1
	v_bfe_i32 v0, v0, 0, 16
	s_delay_alu instid0(VALU_DEP_4) | instskip(NEXT) | instid1(VALU_DEP_1)
	v_or_b32_e32 v15, 0x70000000, v15
	v_dual_add_f32 v16, -0.5, v16 :: v_dual_mul_f32 v15, 0x7800000, v15
	s_delay_alu instid0(VALU_DEP_1) | instskip(NEXT) | instid1(VALU_DEP_1)
	v_cndmask_b32_e32 v1, v15, v16, vcc_lo
	v_and_or_b32 v15, 0x80000000, v0, v1
.LBB47_1719:                            ;   in Loop: Header=BB47_17 Depth=1
	s_or_b32 exec_lo, exec_lo, s38
	s_delay_alu instid0(SALU_CYCLE_1)
	s_or_b32 s38, s35, exec_lo
                                        ; implicit-def: $vgpr16
                                        ; implicit-def: $vgpr0_vgpr1
.LBB47_1720:                            ;   in Loop: Header=BB47_17 Depth=1
	s_or_saveexec_b32 s37, s37
                                        ; implicit-def: $sgpr39
                                        ; implicit-def: $vcc_lo
	s_delay_alu instid0(SALU_CYCLE_1)
	s_xor_b32 exec_lo, exec_lo, s37
	s_cbranch_execz .LBB47_1730
; %bb.1721:                             ;   in Loop: Header=BB47_17 Depth=1
	s_mov_b32 s40, s38
	s_mov_b32 s42, exec_lo
                                        ; implicit-def: $sgpr41
                                        ; implicit-def: $sgpr39
                                        ; implicit-def: $vgpr15
	v_cmpx_lt_i16_e32 14, v16
	s_xor_b32 s42, exec_lo, s42
	s_cbranch_execz .LBB47_1725
; %bb.1722:                             ;   in Loop: Header=BB47_17 Depth=1
	s_mov_b32 s40, s38
	s_mov_b32 s39, exec_lo
                                        ; implicit-def: $vgpr15
	v_cmpx_eq_u16_e32 15, v16
	s_cbranch_execz .LBB47_1724
; %bb.1723:                             ;   in Loop: Header=BB47_17 Depth=1
	flat_load_u16 v0, v[0:1]
	s_or_b32 s40, s38, exec_lo
	s_waitcnt vmcnt(0) lgkmcnt(0)
	v_lshlrev_b32_e32 v15, 16, v0
.LBB47_1724:                            ;   in Loop: Header=BB47_17 Depth=1
	s_or_b32 exec_lo, exec_lo, s39
	s_delay_alu instid0(SALU_CYCLE_1)
	s_and_not1_b32 vcc_lo, s38, exec_lo
	s_and_b32 s40, s40, exec_lo
	s_mov_b32 s39, 0
	s_mov_b32 s41, -1
	s_or_b32 s40, vcc_lo, s40
                                        ; implicit-def: $vgpr16
                                        ; implicit-def: $vgpr0_vgpr1
.LBB47_1725:                            ;   in Loop: Header=BB47_17 Depth=1
	s_and_not1_saveexec_b32 s42, s42
	s_cbranch_execz .LBB47_1729
; %bb.1726:                             ;   in Loop: Header=BB47_17 Depth=1
	s_mov_b32 s43, s40
	s_mov_b32 s44, exec_lo
                                        ; implicit-def: $vgpr15
	v_cmpx_eq_u16_e32 11, v16
	s_cbranch_execz .LBB47_1728
; %bb.1727:                             ;   in Loop: Header=BB47_17 Depth=1
	flat_load_u8 v0, v[0:1]
	s_or_b32 s43, s40, exec_lo
	s_waitcnt vmcnt(0) lgkmcnt(0)
	v_cmp_ne_u16_e32 vcc_lo, 0, v0
	v_cndmask_b32_e64 v15, 0, 1.0, vcc_lo
.LBB47_1728:                            ;   in Loop: Header=BB47_17 Depth=1
	s_or_b32 exec_lo, exec_lo, s44
	s_delay_alu instid0(SALU_CYCLE_1)
	s_and_not1_b32 vcc_lo, s40, exec_lo
	s_and_b32 s40, s43, exec_lo
	s_or_b32 s41, s41, exec_lo
	s_and_not1_b32 s39, s39, exec_lo
	s_or_b32 s40, vcc_lo, s40
.LBB47_1729:                            ;   in Loop: Header=BB47_17 Depth=1
	s_or_b32 exec_lo, exec_lo, s42
	s_delay_alu instid0(SALU_CYCLE_1)
	s_and_not1_b32 s38, s38, exec_lo
	s_and_b32 s40, s40, exec_lo
	s_and_b32 vcc_lo, s41, exec_lo
	s_and_b32 s39, s39, exec_lo
	s_or_b32 s38, s38, s40
.LBB47_1730:                            ;   in Loop: Header=BB47_17 Depth=1
	s_or_b32 exec_lo, exec_lo, s37
	s_delay_alu instid0(SALU_CYCLE_1)
	s_and_not1_b32 s34, s34, exec_lo
	s_and_b32 vcc_lo, vcc_lo, exec_lo
	s_and_not1_b32 s35, s35, exec_lo
	s_or_b32 s34, s34, vcc_lo
	s_and_not1_b32 vcc_lo, s36, exec_lo
	s_and_b32 s36, s39, exec_lo
	s_and_b32 s37, s38, exec_lo
	s_or_b32 s36, vcc_lo, s36
	s_or_b32 s35, s35, s37
.LBB47_1731:                            ;   in Loop: Header=BB47_17 Depth=1
	s_or_b32 exec_lo, exec_lo, s31
	s_delay_alu instid0(SALU_CYCLE_1)
	s_and_b32 s34, s34, exec_lo
	s_and_b32 s31, s36, exec_lo
	s_and_b32 s35, s35, exec_lo
                                        ; implicit-def: $vgpr16
                                        ; implicit-def: $vgpr0_vgpr1
	s_and_not1_saveexec_b32 s30, s30
	s_cbranch_execz .LBB47_1648
.LBB47_1732:                            ;   in Loop: Header=BB47_17 Depth=1
	s_mov_b32 s36, exec_lo
                                        ; implicit-def: $vgpr15
	v_cmpx_lt_i16_e32 4, v16
	s_xor_b32 s36, exec_lo, s36
	s_cbranch_execz .LBB47_1754
; %bb.1733:                             ;   in Loop: Header=BB47_17 Depth=1
	s_mov_b32 s37, exec_lo
                                        ; implicit-def: $vgpr15
	v_cmpx_lt_i16_e32 7, v16
	s_xor_b32 s37, exec_lo, s37
	s_cbranch_execz .LBB47_1743
; %bb.1734:                             ;   in Loop: Header=BB47_17 Depth=1
	;; [unrolled: 6-line block ×3, first 2 shown]
	v_cmp_lt_i16_e32 vcc_lo, 9, v16
                                        ; implicit-def: $vgpr15
	s_and_saveexec_b32 s39, vcc_lo
	s_delay_alu instid0(SALU_CYCLE_1)
	s_xor_b32 vcc_lo, exec_lo, s39
	s_cbranch_execz .LBB47_1737
; %bb.1736:                             ;   in Loop: Header=BB47_17 Depth=1
	flat_load_b64 v[0:1], v[0:1]
	s_waitcnt vmcnt(0) lgkmcnt(0)
	v_cvt_f32_f64_e32 v15, v[0:1]
                                        ; implicit-def: $vgpr0_vgpr1
.LBB47_1737:                            ;   in Loop: Header=BB47_17 Depth=1
	s_and_not1_saveexec_b32 vcc_lo, vcc_lo
	s_cbranch_execz .LBB47_1739
; %bb.1738:                             ;   in Loop: Header=BB47_17 Depth=1
	flat_load_b32 v15, v[0:1]
.LBB47_1739:                            ;   in Loop: Header=BB47_17 Depth=1
	s_or_b32 exec_lo, exec_lo, vcc_lo
                                        ; implicit-def: $vgpr0_vgpr1
.LBB47_1740:                            ;   in Loop: Header=BB47_17 Depth=1
	s_and_not1_saveexec_b32 vcc_lo, s38
	s_cbranch_execz .LBB47_1742
; %bb.1741:                             ;   in Loop: Header=BB47_17 Depth=1
	flat_load_b32 v0, v[0:1]
	s_waitcnt vmcnt(0) lgkmcnt(0)
	v_cvt_f32_f16_e32 v15, v0
.LBB47_1742:                            ;   in Loop: Header=BB47_17 Depth=1
	s_or_b32 exec_lo, exec_lo, vcc_lo
                                        ; implicit-def: $vgpr0_vgpr1
                                        ; implicit-def: $vgpr16
.LBB47_1743:                            ;   in Loop: Header=BB47_17 Depth=1
	s_and_not1_saveexec_b32 s37, s37
	s_cbranch_execz .LBB47_1753
; %bb.1744:                             ;   in Loop: Header=BB47_17 Depth=1
	s_mov_b32 s38, exec_lo
                                        ; implicit-def: $vgpr15
	v_cmpx_lt_i16_e32 5, v16
	s_xor_b32 s38, exec_lo, s38
	s_cbranch_execz .LBB47_1750
; %bb.1745:                             ;   in Loop: Header=BB47_17 Depth=1
	v_cmp_lt_i16_e32 vcc_lo, 6, v16
                                        ; implicit-def: $vgpr15
	s_and_saveexec_b32 s39, vcc_lo
	s_delay_alu instid0(SALU_CYCLE_1)
	s_xor_b32 vcc_lo, exec_lo, s39
	s_cbranch_execz .LBB47_1747
; %bb.1746:                             ;   in Loop: Header=BB47_17 Depth=1
	flat_load_b64 v[0:1], v[0:1]
	s_waitcnt vmcnt(0) lgkmcnt(0)
	v_cvt_f32_f64_e32 v15, v[0:1]
                                        ; implicit-def: $vgpr0_vgpr1
.LBB47_1747:                            ;   in Loop: Header=BB47_17 Depth=1
	s_and_not1_saveexec_b32 vcc_lo, vcc_lo
	s_cbranch_execz .LBB47_1749
; %bb.1748:                             ;   in Loop: Header=BB47_17 Depth=1
	s_waitcnt vmcnt(0) lgkmcnt(0)
	flat_load_b32 v15, v[0:1]
.LBB47_1749:                            ;   in Loop: Header=BB47_17 Depth=1
	s_or_b32 exec_lo, exec_lo, vcc_lo
                                        ; implicit-def: $vgpr0_vgpr1
.LBB47_1750:                            ;   in Loop: Header=BB47_17 Depth=1
	s_and_not1_saveexec_b32 vcc_lo, s38
	s_cbranch_execz .LBB47_1752
; %bb.1751:                             ;   in Loop: Header=BB47_17 Depth=1
	flat_load_u16 v0, v[0:1]
	s_waitcnt vmcnt(0) lgkmcnt(0)
	v_cvt_f32_f16_e32 v15, v0
.LBB47_1752:                            ;   in Loop: Header=BB47_17 Depth=1
	s_or_b32 exec_lo, exec_lo, vcc_lo
.LBB47_1753:                            ;   in Loop: Header=BB47_17 Depth=1
	s_delay_alu instid0(SALU_CYCLE_1)
	s_or_b32 exec_lo, exec_lo, s37
                                        ; implicit-def: $vgpr16
                                        ; implicit-def: $vgpr0_vgpr1
.LBB47_1754:                            ;   in Loop: Header=BB47_17 Depth=1
	s_and_not1_saveexec_b32 s36, s36
	s_cbranch_execz .LBB47_1772
; %bb.1755:                             ;   in Loop: Header=BB47_17 Depth=1
	s_mov_b32 s37, exec_lo
                                        ; implicit-def: $vgpr15
	v_cmpx_lt_i16_e32 1, v16
	s_xor_b32 s37, exec_lo, s37
	s_cbranch_execz .LBB47_1765
; %bb.1756:                             ;   in Loop: Header=BB47_17 Depth=1
	s_mov_b32 s38, exec_lo
                                        ; implicit-def: $vgpr15
	v_cmpx_lt_i16_e32 2, v16
	s_xor_b32 s38, exec_lo, s38
	s_cbranch_execz .LBB47_1762
; %bb.1757:                             ;   in Loop: Header=BB47_17 Depth=1
	v_cmp_lt_i16_e32 vcc_lo, 3, v16
                                        ; implicit-def: $vgpr15
	s_and_saveexec_b32 s39, vcc_lo
	s_delay_alu instid0(SALU_CYCLE_1)
	s_xor_b32 vcc_lo, exec_lo, s39
	s_cbranch_execz .LBB47_1759
; %bb.1758:                             ;   in Loop: Header=BB47_17 Depth=1
	flat_load_b64 v[0:1], v[0:1]
	s_waitcnt vmcnt(0) lgkmcnt(0)
	v_xor_b32_e32 v15, v0, v1
	v_cls_i32_e32 v16, v1
	s_delay_alu instid0(VALU_DEP_2) | instskip(NEXT) | instid1(VALU_DEP_2)
	v_ashrrev_i32_e32 v15, 31, v15
	v_add_nc_u32_e32 v16, -1, v16
	s_delay_alu instid0(VALU_DEP_2) | instskip(NEXT) | instid1(VALU_DEP_1)
	v_add_nc_u32_e32 v15, 32, v15
	v_min_u32_e32 v15, v16, v15
	s_delay_alu instid0(VALU_DEP_1) | instskip(NEXT) | instid1(VALU_DEP_1)
	v_lshlrev_b64 v[0:1], v15, v[0:1]
	v_min_u32_e32 v0, 1, v0
	s_delay_alu instid0(VALU_DEP_1) | instskip(SKIP_1) | instid1(VALU_DEP_2)
	v_or_b32_e32 v0, v1, v0
	v_sub_nc_u32_e32 v1, 32, v15
	v_cvt_f32_i32_e32 v0, v0
	s_delay_alu instid0(VALU_DEP_1)
	v_ldexp_f32 v15, v0, v1
                                        ; implicit-def: $vgpr0_vgpr1
.LBB47_1759:                            ;   in Loop: Header=BB47_17 Depth=1
	s_and_not1_saveexec_b32 vcc_lo, vcc_lo
	s_cbranch_execz .LBB47_1761
; %bb.1760:                             ;   in Loop: Header=BB47_17 Depth=1
	flat_load_b32 v0, v[0:1]
	s_waitcnt vmcnt(0) lgkmcnt(0)
	v_cvt_f32_i32_e32 v15, v0
.LBB47_1761:                            ;   in Loop: Header=BB47_17 Depth=1
	s_or_b32 exec_lo, exec_lo, vcc_lo
                                        ; implicit-def: $vgpr0_vgpr1
.LBB47_1762:                            ;   in Loop: Header=BB47_17 Depth=1
	s_and_not1_saveexec_b32 vcc_lo, s38
	s_cbranch_execz .LBB47_1764
; %bb.1763:                             ;   in Loop: Header=BB47_17 Depth=1
	flat_load_i16 v0, v[0:1]
	s_waitcnt vmcnt(0) lgkmcnt(0)
	v_cvt_f32_i32_e32 v15, v0
.LBB47_1764:                            ;   in Loop: Header=BB47_17 Depth=1
	s_or_b32 exec_lo, exec_lo, vcc_lo
                                        ; implicit-def: $vgpr0_vgpr1
                                        ; implicit-def: $vgpr16
.LBB47_1765:                            ;   in Loop: Header=BB47_17 Depth=1
	s_and_not1_saveexec_b32 s37, s37
	s_cbranch_execz .LBB47_1771
; %bb.1766:                             ;   in Loop: Header=BB47_17 Depth=1
	v_cmp_lt_i16_e32 vcc_lo, 0, v16
                                        ; implicit-def: $vgpr15
	s_and_saveexec_b32 s38, vcc_lo
	s_delay_alu instid0(SALU_CYCLE_1)
	s_xor_b32 vcc_lo, exec_lo, s38
	s_cbranch_execz .LBB47_1768
; %bb.1767:                             ;   in Loop: Header=BB47_17 Depth=1
	flat_load_i8 v0, v[0:1]
	s_waitcnt vmcnt(0) lgkmcnt(0)
	v_cvt_f32_i32_e32 v15, v0
                                        ; implicit-def: $vgpr0_vgpr1
.LBB47_1768:                            ;   in Loop: Header=BB47_17 Depth=1
	s_and_not1_saveexec_b32 vcc_lo, vcc_lo
	s_cbranch_execz .LBB47_1770
; %bb.1769:                             ;   in Loop: Header=BB47_17 Depth=1
	flat_load_u8 v0, v[0:1]
	s_waitcnt vmcnt(0) lgkmcnt(0)
	v_cvt_f32_ubyte0_e32 v15, v0
.LBB47_1770:                            ;   in Loop: Header=BB47_17 Depth=1
	s_or_b32 exec_lo, exec_lo, vcc_lo
.LBB47_1771:                            ;   in Loop: Header=BB47_17 Depth=1
	s_delay_alu instid0(SALU_CYCLE_1)
	s_or_b32 exec_lo, exec_lo, s37
.LBB47_1772:                            ;   in Loop: Header=BB47_17 Depth=1
	s_delay_alu instid0(SALU_CYCLE_1) | instskip(NEXT) | instid1(SALU_CYCLE_1)
	s_or_b32 exec_lo, exec_lo, s36
	s_and_not1_b32 s34, s34, exec_lo
	s_and_not1_b32 s31, s31, exec_lo
	s_or_b32 s35, s35, exec_lo
	s_or_b32 exec_lo, exec_lo, s30
	s_mov_b32 vcc_lo, 0
	s_and_saveexec_b32 s30, s35
	s_cbranch_execnz .LBB47_1649
	s_branch .LBB47_1650
.LBB47_1773:                            ;   in Loop: Header=BB47_17 Depth=1
	s_mov_b32 s29, exec_lo
                                        ; implicit-def: $sgpr36
                                        ; implicit-def: $vcc_hi
                                        ; implicit-def: $vgpr16
	v_cmpx_lt_i16_e32 25, v7
	s_xor_b32 s29, exec_lo, s29
	s_cbranch_execz .LBB47_1805
; %bb.1774:                             ;   in Loop: Header=BB47_17 Depth=1
	s_mov_b32 vcc_hi, exec_lo
                                        ; implicit-def: $sgpr36
                                        ; implicit-def: $sgpr37
                                        ; implicit-def: $vgpr16
	v_cmpx_lt_i16_e32 28, v7
	s_xor_b32 vcc_hi, exec_lo, vcc_hi
	s_cbranch_execz .LBB47_1790
; %bb.1775:                             ;   in Loop: Header=BB47_17 Depth=1
	s_mov_b32 s38, 0
	s_mov_b32 s35, exec_lo
                                        ; implicit-def: $sgpr36
                                        ; implicit-def: $sgpr37
                                        ; implicit-def: $vgpr16
	v_cmpx_lt_i16_e32 43, v7
	s_xor_b32 s35, exec_lo, s35
	s_cbranch_execz .LBB47_1785
; %bb.1776:                             ;   in Loop: Header=BB47_17 Depth=1
	s_mov_b32 s37, exec_lo
                                        ; implicit-def: $sgpr36
                                        ; implicit-def: $sgpr39
                                        ; implicit-def: $vgpr16
	v_cmpx_lt_i16_e32 45, v7
	s_xor_b32 s37, exec_lo, s37
	s_cbranch_execz .LBB47_1780
; %bb.1777:                             ;   in Loop: Header=BB47_17 Depth=1
	s_mov_b32 s36, 0
	s_mov_b32 s39, exec_lo
                                        ; implicit-def: $vgpr16
	v_cmpx_eq_u16_e32 46, v7
	s_cbranch_execz .LBB47_1779
; %bb.1778:                             ;   in Loop: Header=BB47_17 Depth=1
	flat_load_b32 v0, v[0:1]
	s_mov_b32 s38, exec_lo
	s_waitcnt vmcnt(0) lgkmcnt(0)
	v_lshlrev_b32_e32 v16, 16, v0
.LBB47_1779:                            ;   in Loop: Header=BB47_17 Depth=1
	s_or_b32 exec_lo, exec_lo, s39
	s_mov_b32 s39, -1
	s_and_b32 s38, s38, exec_lo
                                        ; implicit-def: $vgpr0_vgpr1
.LBB47_1780:                            ;   in Loop: Header=BB47_17 Depth=1
	s_and_not1_saveexec_b32 s37, s37
	s_cbranch_execz .LBB47_1784
; %bb.1781:                             ;   in Loop: Header=BB47_17 Depth=1
	s_mov_b32 s41, s38
	s_mov_b32 s40, exec_lo
                                        ; implicit-def: $vgpr16
	v_cmpx_eq_u16_e32 44, v7
	s_cbranch_execz .LBB47_1783
; %bb.1782:                             ;   in Loop: Header=BB47_17 Depth=1
	flat_load_u8 v0, v[0:1]
	s_or_b32 s41, s38, exec_lo
	s_waitcnt vmcnt(0) lgkmcnt(0)
	v_lshlrev_b32_e32 v1, 23, v0
	v_cmp_ne_u32_e32 vcc_lo, 0xff, v0
	s_delay_alu instid0(VALU_DEP_2) | instskip(SKIP_1) | instid1(VALU_DEP_2)
	v_cndmask_b32_e32 v1, 0x7f800001, v1, vcc_lo
	v_cmp_ne_u32_e32 vcc_lo, 0, v0
	v_cndmask_b32_e32 v16, 0x400000, v1, vcc_lo
.LBB47_1783:                            ;   in Loop: Header=BB47_17 Depth=1
	s_or_b32 exec_lo, exec_lo, s40
	s_delay_alu instid0(SALU_CYCLE_1)
	s_and_not1_b32 vcc_lo, s38, exec_lo
	s_and_b32 s38, s41, exec_lo
	s_and_not1_b32 s36, s36, exec_lo
	s_or_b32 s39, s39, exec_lo
	s_or_b32 s38, vcc_lo, s38
.LBB47_1784:                            ;   in Loop: Header=BB47_17 Depth=1
	s_or_b32 exec_lo, exec_lo, s37
	s_delay_alu instid0(SALU_CYCLE_1)
	s_and_b32 s37, s36, exec_lo
	s_and_b32 s36, s39, exec_lo
	s_and_b32 s38, s38, exec_lo
                                        ; implicit-def: $vgpr0_vgpr1
.LBB47_1785:                            ;   in Loop: Header=BB47_17 Depth=1
	s_and_not1_saveexec_b32 s35, s35
	s_cbranch_execz .LBB47_1789
; %bb.1786:                             ;   in Loop: Header=BB47_17 Depth=1
	s_mov_b32 s40, s38
	s_mov_b32 s39, exec_lo
                                        ; implicit-def: $vgpr16
	v_cmpx_eq_u16_e32 29, v7
	s_cbranch_execz .LBB47_1788
; %bb.1787:                             ;   in Loop: Header=BB47_17 Depth=1
	flat_load_b64 v[0:1], v[0:1]
	s_or_b32 s40, s38, exec_lo
	s_waitcnt vmcnt(0) lgkmcnt(0)
	v_clz_i32_u32_e32 v14, v1
	s_delay_alu instid0(VALU_DEP_1) | instskip(NEXT) | instid1(VALU_DEP_1)
	v_min_u32_e32 v14, 32, v14
	v_lshlrev_b64 v[0:1], v14, v[0:1]
	s_delay_alu instid0(VALU_DEP_1) | instskip(NEXT) | instid1(VALU_DEP_1)
	v_min_u32_e32 v0, 1, v0
	v_or_b32_e32 v0, v1, v0
	v_sub_nc_u32_e32 v1, 32, v14
	s_delay_alu instid0(VALU_DEP_2) | instskip(NEXT) | instid1(VALU_DEP_1)
	v_cvt_f32_u32_e32 v0, v0
	v_ldexp_f32 v16, v0, v1
.LBB47_1788:                            ;   in Loop: Header=BB47_17 Depth=1
	s_or_b32 exec_lo, exec_lo, s39
	s_delay_alu instid0(SALU_CYCLE_1)
	s_and_not1_b32 vcc_lo, s38, exec_lo
	s_and_b32 s38, s40, exec_lo
	s_and_not1_b32 s37, s37, exec_lo
	s_or_b32 s36, s36, exec_lo
	s_or_b32 s38, vcc_lo, s38
.LBB47_1789:                            ;   in Loop: Header=BB47_17 Depth=1
	s_or_b32 exec_lo, exec_lo, s35
	s_delay_alu instid0(SALU_CYCLE_1)
	s_and_b32 s37, s37, exec_lo
	s_and_b32 s36, s36, exec_lo
	;; [unrolled: 1-line block ×3, first 2 shown]
                                        ; implicit-def: $vgpr0_vgpr1
.LBB47_1790:                            ;   in Loop: Header=BB47_17 Depth=1
	s_and_not1_saveexec_b32 vcc_hi, vcc_hi
	s_cbranch_execz .LBB47_1804
; %bb.1791:                             ;   in Loop: Header=BB47_17 Depth=1
	s_mov_b32 s38, exec_lo
                                        ; implicit-def: $vgpr16
	v_cmpx_lt_i16_e32 26, v7
	s_xor_b32 s38, exec_lo, s38
	s_cbranch_execz .LBB47_1797
; %bb.1792:                             ;   in Loop: Header=BB47_17 Depth=1
	v_cmp_lt_i16_e32 vcc_lo, 27, v7
                                        ; implicit-def: $vgpr16
	s_and_saveexec_b32 s39, vcc_lo
	s_delay_alu instid0(SALU_CYCLE_1)
	s_xor_b32 vcc_lo, exec_lo, s39
	s_cbranch_execz .LBB47_1794
; %bb.1793:                             ;   in Loop: Header=BB47_17 Depth=1
	flat_load_b32 v0, v[0:1]
	s_waitcnt vmcnt(0) lgkmcnt(0)
	v_cvt_f32_u32_e32 v16, v0
                                        ; implicit-def: $vgpr0_vgpr1
.LBB47_1794:                            ;   in Loop: Header=BB47_17 Depth=1
	s_and_not1_saveexec_b32 vcc_lo, vcc_lo
	s_cbranch_execz .LBB47_1796
; %bb.1795:                             ;   in Loop: Header=BB47_17 Depth=1
	flat_load_u16 v0, v[0:1]
	s_waitcnt vmcnt(0) lgkmcnt(0)
	v_cvt_f32_u32_e32 v16, v0
.LBB47_1796:                            ;   in Loop: Header=BB47_17 Depth=1
	s_or_b32 exec_lo, exec_lo, vcc_lo
                                        ; implicit-def: $vgpr0_vgpr1
.LBB47_1797:                            ;   in Loop: Header=BB47_17 Depth=1
	s_and_not1_saveexec_b32 s38, s38
	s_cbranch_execz .LBB47_1803
; %bb.1798:                             ;   in Loop: Header=BB47_17 Depth=1
	flat_load_u8 v0, v[0:1]
	s_mov_b32 s39, 0
	s_mov_b32 s41, exec_lo
                                        ; implicit-def: $sgpr40
	s_waitcnt vmcnt(0) lgkmcnt(0)
	v_cmpx_lt_i16_e32 0x7f, v0
	s_xor_b32 s41, exec_lo, s41
	s_cbranch_execnz .LBB47_2577
; %bb.1799:                             ;   in Loop: Header=BB47_17 Depth=1
	s_or_saveexec_b32 s41, s41
	v_mov_b32_e32 v16, s40
	s_xor_b32 exec_lo, exec_lo, s41
	s_cbranch_execnz .LBB47_2580
.LBB47_1800:                            ;   in Loop: Header=BB47_17 Depth=1
	s_or_b32 exec_lo, exec_lo, s41
	s_and_saveexec_b32 s40, s39
	s_cbranch_execz .LBB47_1802
.LBB47_1801:                            ;   in Loop: Header=BB47_17 Depth=1
	v_and_b32_e32 v1, 0xffff, v0
	v_lshlrev_b32_e32 v0, 24, v0
	s_delay_alu instid0(VALU_DEP_2) | instskip(NEXT) | instid1(VALU_DEP_2)
	v_and_b32_e32 v14, 7, v1
	v_and_b32_e32 v0, 0x80000000, v0
	s_delay_alu instid0(VALU_DEP_2) | instskip(NEXT) | instid1(VALU_DEP_1)
	v_clz_i32_u32_e32 v16, v14
	v_min_u32_e32 v16, 32, v16
	s_delay_alu instid0(VALU_DEP_1) | instskip(SKIP_1) | instid1(VALU_DEP_2)
	v_subrev_nc_u32_e32 v17, 28, v16
	v_sub_nc_u32_e32 v16, 29, v16
	v_lshlrev_b32_e32 v17, v17, v1
	v_bfe_u32 v1, v1, 3, 4
	s_delay_alu instid0(VALU_DEP_2) | instskip(NEXT) | instid1(VALU_DEP_2)
	v_and_b32_e32 v17, 7, v17
	v_cmp_eq_u32_e32 vcc_lo, 0, v1
	s_delay_alu instid0(VALU_DEP_2) | instskip(NEXT) | instid1(VALU_DEP_1)
	v_dual_cndmask_b32 v1, v1, v16 :: v_dual_cndmask_b32 v14, v14, v17
	v_lshl_add_u32 v1, v1, 23, 0x3b800000
	s_delay_alu instid0(VALU_DEP_2) | instskip(NEXT) | instid1(VALU_DEP_1)
	v_lshlrev_b32_e32 v14, 20, v14
	v_or3_b32 v16, v0, v1, v14
.LBB47_1802:                            ;   in Loop: Header=BB47_17 Depth=1
	s_or_b32 exec_lo, exec_lo, s40
.LBB47_1803:                            ;   in Loop: Header=BB47_17 Depth=1
	s_delay_alu instid0(SALU_CYCLE_1) | instskip(NEXT) | instid1(SALU_CYCLE_1)
	s_or_b32 exec_lo, exec_lo, s38
	s_and_not1_b32 s37, s37, exec_lo
	s_and_not1_b32 s36, s36, exec_lo
	s_or_b32 s35, s35, exec_lo
.LBB47_1804:                            ;   in Loop: Header=BB47_17 Depth=1
	s_or_b32 exec_lo, exec_lo, vcc_hi
	s_delay_alu instid0(SALU_CYCLE_1)
	s_and_b32 vcc_hi, s37, exec_lo
	s_and_b32 s36, s36, exec_lo
	s_and_b32 s35, s35, exec_lo
                                        ; implicit-def: $vgpr0_vgpr1
.LBB47_1805:                            ;   in Loop: Header=BB47_17 Depth=1
	s_and_not1_saveexec_b32 s29, s29
	s_cbranch_execz .LBB47_1831
; %bb.1806:                             ;   in Loop: Header=BB47_17 Depth=1
	s_mov_b32 s38, s35
	s_mov_b32 s37, exec_lo
                                        ; implicit-def: $vgpr16
	v_cmpx_lt_i16_e32 22, v7
	s_xor_b32 s37, exec_lo, s37
	s_cbranch_execz .LBB47_1820
; %bb.1807:                             ;   in Loop: Header=BB47_17 Depth=1
	s_mov_b32 s38, exec_lo
                                        ; implicit-def: $vgpr16
	v_cmpx_lt_i16_e32 23, v7
	s_xor_b32 s38, exec_lo, s38
	s_cbranch_execz .LBB47_1817
; %bb.1808:                             ;   in Loop: Header=BB47_17 Depth=1
	;; [unrolled: 6-line block ×3, first 2 shown]
	flat_load_u8 v0, v[0:1]
	s_mov_b32 s40, 0
	s_mov_b32 s42, exec_lo
                                        ; implicit-def: $sgpr41
	s_waitcnt vmcnt(0) lgkmcnt(0)
	v_cmpx_lt_i16_e32 0x7f, v0
	s_xor_b32 s42, exec_lo, s42
	s_cbranch_execnz .LBB47_2796
; %bb.1810:                             ;   in Loop: Header=BB47_17 Depth=1
	s_or_saveexec_b32 s42, s42
	v_mov_b32_e32 v16, s41
	s_xor_b32 exec_lo, exec_lo, s42
	s_cbranch_execnz .LBB47_2799
.LBB47_1811:                            ;   in Loop: Header=BB47_17 Depth=1
	s_or_b32 exec_lo, exec_lo, s42
	s_and_saveexec_b32 s41, s40
	s_cbranch_execz .LBB47_1813
.LBB47_1812:                            ;   in Loop: Header=BB47_17 Depth=1
	v_and_b32_e32 v1, 0xffff, v0
	v_lshlrev_b32_e32 v0, 24, v0
	s_delay_alu instid0(VALU_DEP_2) | instskip(NEXT) | instid1(VALU_DEP_2)
	v_and_b32_e32 v14, 3, v1
	v_and_b32_e32 v0, 0x80000000, v0
	s_delay_alu instid0(VALU_DEP_2) | instskip(NEXT) | instid1(VALU_DEP_1)
	v_clz_i32_u32_e32 v16, v14
	v_min_u32_e32 v16, 32, v16
	s_delay_alu instid0(VALU_DEP_1) | instskip(SKIP_1) | instid1(VALU_DEP_2)
	v_subrev_nc_u32_e32 v17, 29, v16
	v_sub_nc_u32_e32 v16, 30, v16
	v_lshlrev_b32_e32 v17, v17, v1
	v_bfe_u32 v1, v1, 2, 5
	s_delay_alu instid0(VALU_DEP_2) | instskip(NEXT) | instid1(VALU_DEP_2)
	v_and_b32_e32 v17, 3, v17
	v_cmp_eq_u32_e32 vcc_lo, 0, v1
	s_delay_alu instid0(VALU_DEP_2) | instskip(NEXT) | instid1(VALU_DEP_1)
	v_dual_cndmask_b32 v1, v1, v16 :: v_dual_cndmask_b32 v14, v14, v17
	v_lshl_add_u32 v1, v1, 23, 0x37800000
	s_delay_alu instid0(VALU_DEP_2) | instskip(NEXT) | instid1(VALU_DEP_1)
	v_lshlrev_b32_e32 v14, 21, v14
	v_or3_b32 v16, v0, v1, v14
.LBB47_1813:                            ;   in Loop: Header=BB47_17 Depth=1
	s_or_b32 exec_lo, exec_lo, s41
                                        ; implicit-def: $vgpr0_vgpr1
.LBB47_1814:                            ;   in Loop: Header=BB47_17 Depth=1
	s_and_not1_saveexec_b32 s39, s39
	s_cbranch_execz .LBB47_1816
; %bb.1815:                             ;   in Loop: Header=BB47_17 Depth=1
	flat_load_u8 v0, v[0:1]
	s_waitcnt vmcnt(0) lgkmcnt(0)
	v_lshlrev_b32_e32 v0, 24, v0
	s_delay_alu instid0(VALU_DEP_1) | instskip(NEXT) | instid1(VALU_DEP_1)
	v_and_b32_e32 v1, 0x7f000000, v0
	v_clz_i32_u32_e32 v14, v1
	v_add_nc_u32_e32 v17, 0x1000000, v1
	v_cmp_ne_u32_e32 vcc_lo, 0, v1
	s_delay_alu instid0(VALU_DEP_3) | instskip(NEXT) | instid1(VALU_DEP_1)
	v_min_u32_e32 v14, 32, v14
	v_sub_nc_u32_e64 v14, v14, 4 clamp
	s_delay_alu instid0(VALU_DEP_1) | instskip(SKIP_1) | instid1(VALU_DEP_2)
	v_lshlrev_b32_e32 v16, v14, v1
	v_lshlrev_b32_e32 v14, 23, v14
	v_lshrrev_b32_e32 v16, 4, v16
	s_delay_alu instid0(VALU_DEP_1) | instskip(SKIP_1) | instid1(VALU_DEP_2)
	v_sub_nc_u32_e32 v14, v16, v14
	v_ashrrev_i32_e32 v16, 8, v17
	v_add_nc_u32_e32 v14, 0x3c000000, v14
	s_delay_alu instid0(VALU_DEP_1) | instskip(NEXT) | instid1(VALU_DEP_1)
	v_and_or_b32 v14, 0x7f800000, v16, v14
	v_cndmask_b32_e32 v1, 0, v14, vcc_lo
	s_delay_alu instid0(VALU_DEP_1)
	v_and_or_b32 v16, 0x80000000, v0, v1
.LBB47_1816:                            ;   in Loop: Header=BB47_17 Depth=1
	s_or_b32 exec_lo, exec_lo, s39
                                        ; implicit-def: $vgpr0_vgpr1
.LBB47_1817:                            ;   in Loop: Header=BB47_17 Depth=1
	s_and_not1_saveexec_b32 s38, s38
	s_cbranch_execz .LBB47_1819
; %bb.1818:                             ;   in Loop: Header=BB47_17 Depth=1
	flat_load_u8 v0, v[0:1]
	s_waitcnt vmcnt(0) lgkmcnt(0)
	v_lshlrev_b32_e32 v1, 25, v0
	v_lshlrev_b16 v0, 8, v0
	s_delay_alu instid0(VALU_DEP_2) | instskip(NEXT) | instid1(VALU_DEP_2)
	v_lshrrev_b32_e32 v14, 4, v1
	v_and_or_b32 v16, 0x7f00, v0, 0.5
	v_bfe_i32 v0, v0, 0, 16
	s_delay_alu instid0(VALU_DEP_3) | instskip(NEXT) | instid1(VALU_DEP_3)
	v_or_b32_e32 v14, 0x70000000, v14
	v_add_f32_e32 v16, -0.5, v16
	s_delay_alu instid0(VALU_DEP_2) | instskip(SKIP_1) | instid1(VALU_DEP_2)
	v_mul_f32_e32 v14, 0x7800000, v14
	v_cmp_gt_u32_e32 vcc_lo, 0x8000000, v1
	v_cndmask_b32_e32 v1, v14, v16, vcc_lo
	s_delay_alu instid0(VALU_DEP_1)
	v_and_or_b32 v16, 0x80000000, v0, v1
.LBB47_1819:                            ;   in Loop: Header=BB47_17 Depth=1
	s_or_b32 exec_lo, exec_lo, s38
	s_delay_alu instid0(SALU_CYCLE_1)
	s_or_b32 s38, s35, exec_lo
                                        ; implicit-def: $vgpr0_vgpr1
.LBB47_1820:                            ;   in Loop: Header=BB47_17 Depth=1
	s_or_saveexec_b32 s37, s37
                                        ; implicit-def: $sgpr39
                                        ; implicit-def: $vcc_lo
	s_delay_alu instid0(SALU_CYCLE_1)
	s_xor_b32 exec_lo, exec_lo, s37
	s_cbranch_execz .LBB47_1830
; %bb.1821:                             ;   in Loop: Header=BB47_17 Depth=1
	s_mov_b32 s40, s38
	s_mov_b32 s42, exec_lo
                                        ; implicit-def: $sgpr41
                                        ; implicit-def: $sgpr39
                                        ; implicit-def: $vgpr16
	v_cmpx_lt_i16_e32 14, v7
	s_xor_b32 s42, exec_lo, s42
	s_cbranch_execz .LBB47_1825
; %bb.1822:                             ;   in Loop: Header=BB47_17 Depth=1
	s_mov_b32 s40, s38
	s_mov_b32 s39, exec_lo
                                        ; implicit-def: $vgpr16
	v_cmpx_eq_u16_e32 15, v7
	s_cbranch_execz .LBB47_1824
; %bb.1823:                             ;   in Loop: Header=BB47_17 Depth=1
	flat_load_u16 v0, v[0:1]
	s_or_b32 s40, s38, exec_lo
	s_waitcnt vmcnt(0) lgkmcnt(0)
	v_lshlrev_b32_e32 v16, 16, v0
.LBB47_1824:                            ;   in Loop: Header=BB47_17 Depth=1
	s_or_b32 exec_lo, exec_lo, s39
	s_delay_alu instid0(SALU_CYCLE_1)
	s_and_not1_b32 vcc_lo, s38, exec_lo
	s_and_b32 s40, s40, exec_lo
	s_mov_b32 s39, -1
	s_mov_b32 s41, 0
	s_or_b32 s40, vcc_lo, s40
                                        ; implicit-def: $vgpr0_vgpr1
.LBB47_1825:                            ;   in Loop: Header=BB47_17 Depth=1
	s_and_not1_saveexec_b32 s42, s42
	s_cbranch_execz .LBB47_1829
; %bb.1826:                             ;   in Loop: Header=BB47_17 Depth=1
	s_mov_b32 s43, s40
	s_mov_b32 s44, exec_lo
                                        ; implicit-def: $vgpr16
	v_cmpx_eq_u16_e32 11, v7
	s_cbranch_execz .LBB47_1828
; %bb.1827:                             ;   in Loop: Header=BB47_17 Depth=1
	flat_load_u8 v0, v[0:1]
	s_or_b32 s43, s40, exec_lo
	s_waitcnt vmcnt(0) lgkmcnt(0)
	v_cmp_ne_u16_e32 vcc_lo, 0, v0
	v_cndmask_b32_e64 v16, 0, 1.0, vcc_lo
.LBB47_1828:                            ;   in Loop: Header=BB47_17 Depth=1
	s_or_b32 exec_lo, exec_lo, s44
	s_delay_alu instid0(SALU_CYCLE_1)
	s_and_not1_b32 vcc_lo, s40, exec_lo
	s_and_b32 s40, s43, exec_lo
	s_and_not1_b32 s41, s41, exec_lo
	s_or_b32 s39, s39, exec_lo
	s_or_b32 s40, vcc_lo, s40
.LBB47_1829:                            ;   in Loop: Header=BB47_17 Depth=1
	s_or_b32 exec_lo, exec_lo, s42
	s_delay_alu instid0(SALU_CYCLE_1)
	s_and_not1_b32 s38, s38, exec_lo
	s_and_b32 s40, s40, exec_lo
	s_and_b32 vcc_lo, s41, exec_lo
	s_and_b32 s39, s39, exec_lo
	s_or_b32 s38, s38, s40
.LBB47_1830:                            ;   in Loop: Header=BB47_17 Depth=1
	s_or_b32 exec_lo, exec_lo, s37
	s_delay_alu instid0(SALU_CYCLE_1)
	s_and_not1_b32 vcc_hi, vcc_hi, exec_lo
	s_and_b32 vcc_lo, vcc_lo, exec_lo
	s_and_not1_b32 s35, s35, exec_lo
	s_or_b32 vcc_hi, vcc_hi, vcc_lo
	s_and_not1_b32 vcc_lo, s36, exec_lo
	s_and_b32 s36, s39, exec_lo
	s_and_b32 s37, s38, exec_lo
	s_or_b32 s36, vcc_lo, s36
	s_or_b32 s35, s35, s37
.LBB47_1831:                            ;   in Loop: Header=BB47_17 Depth=1
	s_or_b32 exec_lo, exec_lo, s29
	s_delay_alu instid0(SALU_CYCLE_1)
	s_and_b32 vcc_hi, vcc_hi, exec_lo
	s_and_b32 s29, s36, exec_lo
	s_and_b32 s35, s35, exec_lo
                                        ; implicit-def: $vgpr0_vgpr1
	s_and_not1_saveexec_b32 s34, s34
	s_cbranch_execz .LBB47_1656
.LBB47_1832:                            ;   in Loop: Header=BB47_17 Depth=1
	s_mov_b32 s36, exec_lo
                                        ; implicit-def: $vgpr16
	v_cmpx_lt_i16_e32 4, v7
	s_xor_b32 s36, exec_lo, s36
	s_cbranch_execz .LBB47_1854
; %bb.1833:                             ;   in Loop: Header=BB47_17 Depth=1
	s_mov_b32 s37, exec_lo
                                        ; implicit-def: $vgpr16
	v_cmpx_lt_i16_e32 7, v7
	s_xor_b32 s37, exec_lo, s37
	s_cbranch_execz .LBB47_1843
; %bb.1834:                             ;   in Loop: Header=BB47_17 Depth=1
	;; [unrolled: 6-line block ×3, first 2 shown]
	v_cmp_lt_i16_e32 vcc_lo, 9, v7
                                        ; implicit-def: $vgpr16
	s_and_saveexec_b32 s39, vcc_lo
	s_delay_alu instid0(SALU_CYCLE_1)
	s_xor_b32 vcc_lo, exec_lo, s39
	s_cbranch_execz .LBB47_1837
; %bb.1836:                             ;   in Loop: Header=BB47_17 Depth=1
	flat_load_b64 v[0:1], v[0:1]
	s_waitcnt vmcnt(0) lgkmcnt(0)
	v_cvt_f32_f64_e32 v16, v[0:1]
                                        ; implicit-def: $vgpr0_vgpr1
.LBB47_1837:                            ;   in Loop: Header=BB47_17 Depth=1
	s_and_not1_saveexec_b32 vcc_lo, vcc_lo
	s_cbranch_execz .LBB47_1839
; %bb.1838:                             ;   in Loop: Header=BB47_17 Depth=1
	flat_load_b32 v16, v[0:1]
.LBB47_1839:                            ;   in Loop: Header=BB47_17 Depth=1
	s_or_b32 exec_lo, exec_lo, vcc_lo
                                        ; implicit-def: $vgpr0_vgpr1
.LBB47_1840:                            ;   in Loop: Header=BB47_17 Depth=1
	s_and_not1_saveexec_b32 vcc_lo, s38
	s_cbranch_execz .LBB47_1842
; %bb.1841:                             ;   in Loop: Header=BB47_17 Depth=1
	flat_load_b32 v0, v[0:1]
	s_waitcnt vmcnt(0) lgkmcnt(0)
	v_cvt_f32_f16_e32 v16, v0
.LBB47_1842:                            ;   in Loop: Header=BB47_17 Depth=1
	s_or_b32 exec_lo, exec_lo, vcc_lo
                                        ; implicit-def: $vgpr0_vgpr1
.LBB47_1843:                            ;   in Loop: Header=BB47_17 Depth=1
	s_and_not1_saveexec_b32 s37, s37
	s_cbranch_execz .LBB47_1853
; %bb.1844:                             ;   in Loop: Header=BB47_17 Depth=1
	s_mov_b32 s38, exec_lo
                                        ; implicit-def: $vgpr16
	v_cmpx_lt_i16_e32 5, v7
	s_xor_b32 s38, exec_lo, s38
	s_cbranch_execz .LBB47_1850
; %bb.1845:                             ;   in Loop: Header=BB47_17 Depth=1
	v_cmp_lt_i16_e32 vcc_lo, 6, v7
                                        ; implicit-def: $vgpr16
	s_and_saveexec_b32 s39, vcc_lo
	s_delay_alu instid0(SALU_CYCLE_1)
	s_xor_b32 vcc_lo, exec_lo, s39
	s_cbranch_execz .LBB47_1847
; %bb.1846:                             ;   in Loop: Header=BB47_17 Depth=1
	flat_load_b64 v[0:1], v[0:1]
	s_waitcnt vmcnt(0) lgkmcnt(0)
	v_cvt_f32_f64_e32 v16, v[0:1]
                                        ; implicit-def: $vgpr0_vgpr1
.LBB47_1847:                            ;   in Loop: Header=BB47_17 Depth=1
	s_and_not1_saveexec_b32 vcc_lo, vcc_lo
	s_cbranch_execz .LBB47_1849
; %bb.1848:                             ;   in Loop: Header=BB47_17 Depth=1
	s_waitcnt vmcnt(0) lgkmcnt(0)
	flat_load_b32 v16, v[0:1]
.LBB47_1849:                            ;   in Loop: Header=BB47_17 Depth=1
	s_or_b32 exec_lo, exec_lo, vcc_lo
                                        ; implicit-def: $vgpr0_vgpr1
.LBB47_1850:                            ;   in Loop: Header=BB47_17 Depth=1
	s_and_not1_saveexec_b32 vcc_lo, s38
	s_cbranch_execz .LBB47_1852
; %bb.1851:                             ;   in Loop: Header=BB47_17 Depth=1
	flat_load_u16 v0, v[0:1]
	s_waitcnt vmcnt(0) lgkmcnt(0)
	v_cvt_f32_f16_e32 v16, v0
.LBB47_1852:                            ;   in Loop: Header=BB47_17 Depth=1
	s_or_b32 exec_lo, exec_lo, vcc_lo
.LBB47_1853:                            ;   in Loop: Header=BB47_17 Depth=1
	s_delay_alu instid0(SALU_CYCLE_1)
	s_or_b32 exec_lo, exec_lo, s37
                                        ; implicit-def: $vgpr0_vgpr1
.LBB47_1854:                            ;   in Loop: Header=BB47_17 Depth=1
	s_and_not1_saveexec_b32 s36, s36
	s_cbranch_execz .LBB47_1872
; %bb.1855:                             ;   in Loop: Header=BB47_17 Depth=1
	s_mov_b32 s37, exec_lo
                                        ; implicit-def: $vgpr16
	v_cmpx_lt_i16_e32 1, v7
	s_xor_b32 s37, exec_lo, s37
	s_cbranch_execz .LBB47_1865
; %bb.1856:                             ;   in Loop: Header=BB47_17 Depth=1
	s_mov_b32 s38, exec_lo
                                        ; implicit-def: $vgpr16
	v_cmpx_lt_i16_e32 2, v7
	s_xor_b32 s38, exec_lo, s38
	s_cbranch_execz .LBB47_1862
; %bb.1857:                             ;   in Loop: Header=BB47_17 Depth=1
	v_cmp_lt_i16_e32 vcc_lo, 3, v7
                                        ; implicit-def: $vgpr16
	s_and_saveexec_b32 s39, vcc_lo
	s_delay_alu instid0(SALU_CYCLE_1)
	s_xor_b32 vcc_lo, exec_lo, s39
	s_cbranch_execz .LBB47_1859
; %bb.1858:                             ;   in Loop: Header=BB47_17 Depth=1
	flat_load_b64 v[0:1], v[0:1]
	s_waitcnt vmcnt(0) lgkmcnt(0)
	v_xor_b32_e32 v14, v0, v1
	v_cls_i32_e32 v16, v1
	s_delay_alu instid0(VALU_DEP_2) | instskip(NEXT) | instid1(VALU_DEP_2)
	v_ashrrev_i32_e32 v14, 31, v14
	v_add_nc_u32_e32 v16, -1, v16
	s_delay_alu instid0(VALU_DEP_2) | instskip(NEXT) | instid1(VALU_DEP_1)
	v_add_nc_u32_e32 v14, 32, v14
	v_min_u32_e32 v14, v16, v14
	s_delay_alu instid0(VALU_DEP_1) | instskip(NEXT) | instid1(VALU_DEP_1)
	v_lshlrev_b64 v[0:1], v14, v[0:1]
	v_min_u32_e32 v0, 1, v0
	s_delay_alu instid0(VALU_DEP_1) | instskip(SKIP_1) | instid1(VALU_DEP_2)
	v_or_b32_e32 v0, v1, v0
	v_sub_nc_u32_e32 v1, 32, v14
	v_cvt_f32_i32_e32 v0, v0
	s_delay_alu instid0(VALU_DEP_1)
	v_ldexp_f32 v16, v0, v1
                                        ; implicit-def: $vgpr0_vgpr1
.LBB47_1859:                            ;   in Loop: Header=BB47_17 Depth=1
	s_and_not1_saveexec_b32 vcc_lo, vcc_lo
	s_cbranch_execz .LBB47_1861
; %bb.1860:                             ;   in Loop: Header=BB47_17 Depth=1
	flat_load_b32 v0, v[0:1]
	s_waitcnt vmcnt(0) lgkmcnt(0)
	v_cvt_f32_i32_e32 v16, v0
.LBB47_1861:                            ;   in Loop: Header=BB47_17 Depth=1
	s_or_b32 exec_lo, exec_lo, vcc_lo
                                        ; implicit-def: $vgpr0_vgpr1
.LBB47_1862:                            ;   in Loop: Header=BB47_17 Depth=1
	s_and_not1_saveexec_b32 vcc_lo, s38
	s_cbranch_execz .LBB47_1864
; %bb.1863:                             ;   in Loop: Header=BB47_17 Depth=1
	flat_load_i16 v0, v[0:1]
	s_waitcnt vmcnt(0) lgkmcnt(0)
	v_cvt_f32_i32_e32 v16, v0
.LBB47_1864:                            ;   in Loop: Header=BB47_17 Depth=1
	s_or_b32 exec_lo, exec_lo, vcc_lo
                                        ; implicit-def: $vgpr0_vgpr1
.LBB47_1865:                            ;   in Loop: Header=BB47_17 Depth=1
	s_and_not1_saveexec_b32 s37, s37
	s_cbranch_execz .LBB47_1871
; %bb.1866:                             ;   in Loop: Header=BB47_17 Depth=1
	v_cmp_lt_i16_e32 vcc_lo, 0, v7
                                        ; implicit-def: $vgpr16
	s_and_saveexec_b32 s38, vcc_lo
	s_delay_alu instid0(SALU_CYCLE_1)
	s_xor_b32 vcc_lo, exec_lo, s38
	s_cbranch_execz .LBB47_1868
; %bb.1867:                             ;   in Loop: Header=BB47_17 Depth=1
	flat_load_i8 v0, v[0:1]
	s_waitcnt vmcnt(0) lgkmcnt(0)
	v_cvt_f32_i32_e32 v16, v0
                                        ; implicit-def: $vgpr0_vgpr1
.LBB47_1868:                            ;   in Loop: Header=BB47_17 Depth=1
	s_and_not1_saveexec_b32 vcc_lo, vcc_lo
	s_cbranch_execz .LBB47_1870
; %bb.1869:                             ;   in Loop: Header=BB47_17 Depth=1
	flat_load_u8 v0, v[0:1]
	s_waitcnt vmcnt(0) lgkmcnt(0)
	v_cvt_f32_ubyte0_e32 v16, v0
.LBB47_1870:                            ;   in Loop: Header=BB47_17 Depth=1
	s_or_b32 exec_lo, exec_lo, vcc_lo
.LBB47_1871:                            ;   in Loop: Header=BB47_17 Depth=1
	s_delay_alu instid0(SALU_CYCLE_1)
	s_or_b32 exec_lo, exec_lo, s37
.LBB47_1872:                            ;   in Loop: Header=BB47_17 Depth=1
	s_delay_alu instid0(SALU_CYCLE_1) | instskip(NEXT) | instid1(SALU_CYCLE_1)
	s_or_b32 exec_lo, exec_lo, s36
	s_and_not1_b32 vcc_hi, vcc_hi, exec_lo
	s_and_not1_b32 s29, s29, exec_lo
	s_or_b32 s35, s35, exec_lo
	s_or_b32 exec_lo, exec_lo, s34
	s_mov_b32 vcc_lo, 0
	s_and_saveexec_b32 s34, s35
	s_cbranch_execz .LBB47_1878
.LBB47_1873:                            ;   in Loop: Header=BB47_17 Depth=1
	v_add_nc_u32_e64 v14, s1, s33
	s_mov_b32 s38, 0
	s_mov_b32 s35, exec_lo
                                        ; implicit-def: $sgpr36
                                        ; implicit-def: $sgpr37
	s_delay_alu instid0(VALU_DEP_1) | instskip(SKIP_4) | instid1(VALU_DEP_2)
	v_add_nc_u32_e32 v0, 0x44, v14
	s_waitcnt vmcnt(0) lgkmcnt(0)
	scratch_store_b32 v0, v16, off
	v_mul_lo_u32 v0, v15, v10
	v_and_b32_e32 v16, 0xff, v8
                                        ; implicit-def: $vgpr15
	v_add_co_u32 v0, vcc_lo, v4, v0
	v_add_co_ci_u32_e32 v1, vcc_lo, 0, v5, vcc_lo
	s_delay_alu instid0(VALU_DEP_3)
	v_cmpx_lt_i16_e32 10, v16
	s_xor_b32 s35, exec_lo, s35
	s_cbranch_execnz .LBB47_1900
; %bb.1874:                             ;   in Loop: Header=BB47_17 Depth=1
	s_and_not1_saveexec_b32 s35, s35
	s_cbranch_execnz .LBB47_1959
.LBB47_1875:                            ;   in Loop: Header=BB47_17 Depth=1
	s_or_b32 exec_lo, exec_lo, s35
	s_mov_b32 vcc_lo, 0
	s_and_saveexec_b32 s35, s38
	s_cbranch_execz .LBB47_1877
.LBB47_1876:                            ;   in Loop: Header=BB47_17 Depth=1
	v_add_nc_u32_e32 v0, 64, v14
	v_add_nc_u32_e32 v13, 0x200, v13
	s_mov_b32 vcc_lo, exec_lo
	s_and_not1_b32 s37, s37, exec_lo
	s_and_not1_b32 s36, s36, exec_lo
	s_waitcnt vmcnt(0) lgkmcnt(0)
	scratch_store_b32 v0, v15, off
.LBB47_1877:                            ;   in Loop: Header=BB47_17 Depth=1
	s_or_b32 exec_lo, exec_lo, s35
	s_delay_alu instid0(SALU_CYCLE_1)
	s_and_not1_b32 vcc_hi, vcc_hi, exec_lo
	s_and_b32 s35, s37, exec_lo
	s_and_not1_b32 s29, s29, exec_lo
	s_and_b32 s36, s36, exec_lo
	s_or_b32 vcc_hi, vcc_hi, s35
	s_or_b32 s29, s29, s36
	s_and_b32 vcc_lo, vcc_lo, exec_lo
.LBB47_1878:                            ;   in Loop: Header=BB47_17 Depth=1
	s_or_b32 exec_lo, exec_lo, s34
	s_delay_alu instid0(SALU_CYCLE_1)
	s_and_b32 vcc_hi, vcc_hi, exec_lo
	s_and_b32 s29, s29, exec_lo
	s_or_not1_b32 s34, vcc_lo, exec_lo
.LBB47_1879:                            ;   in Loop: Header=BB47_17 Depth=1
	s_or_b32 exec_lo, exec_lo, s30
	s_and_saveexec_b32 s30, s34
	s_cbranch_execz .LBB47_8
; %bb.1880:                             ;   in Loop: Header=BB47_17 Depth=1
	s_mov_b32 s36, -1
	s_mov_b32 s37, -1
	s_mov_b32 s35, exec_lo
                                        ; implicit-def: $sgpr31
                                        ; implicit-def: $sgpr34
	v_cmpx_lt_i32_e64 v13, v6
	s_cbranch_execz .LBB47_2106
; %bb.1881:                             ;   in Loop: Header=BB47_17 Depth=1
	s_waitcnt vmcnt(0) lgkmcnt(0)
	v_add_nc_u32_e32 v15, s11, v13
	s_mov_b32 s38, 0
	s_mov_b32 s37, exec_lo
                                        ; implicit-def: $sgpr31
                                        ; implicit-def: $sgpr34
                                        ; implicit-def: $vgpr16
	s_delay_alu instid0(VALU_DEP_1) | instskip(NEXT) | instid1(VALU_DEP_1)
	v_mul_lo_u32 v0, v15, v9
	v_add_co_u32 v0, vcc_lo, v2, v0
	v_add_co_ci_u32_e32 v1, vcc_lo, 0, v3, vcc_lo
	v_cmpx_lt_i16_e32 10, v7
	s_xor_b32 s37, exec_lo, s37
	s_cbranch_execnz .LBB47_2000
; %bb.1882:                             ;   in Loop: Header=BB47_17 Depth=1
	s_and_not1_saveexec_b32 s37, s37
	s_cbranch_execnz .LBB47_2059
.LBB47_1883:                            ;   in Loop: Header=BB47_17 Depth=1
	s_or_b32 exec_lo, exec_lo, s37
	s_mov_b32 vcc_lo, 0
	s_and_saveexec_b32 s37, s38
	s_cbranch_execnz .LBB47_2100
	s_branch .LBB47_2105
.LBB47_1884:                            ;   in Loop: Header=BB47_17 Depth=1
	s_mov_b32 s27, -1
	s_mov_b32 vcc_hi, exec_lo
                                        ; implicit-def: $sgpr28
	v_cmpx_eq_u16_e32 0x80, v0
; %bb.1885:                             ;   in Loop: Header=BB47_17 Depth=1
	s_mov_b32 s28, 0x7f800001
	s_xor_b32 s27, exec_lo, -1
; %bb.1886:                             ;   in Loop: Header=BB47_17 Depth=1
	s_or_b32 exec_lo, exec_lo, vcc_hi
	s_delay_alu instid0(SALU_CYCLE_1)
	s_and_b32 s27, s27, exec_lo
	s_or_saveexec_b32 s29, s29
	v_mov_b32_e32 v15, s28
	s_xor_b32 exec_lo, exec_lo, s29
	s_cbranch_execz .LBB47_807
.LBB47_1887:                            ;   in Loop: Header=BB47_17 Depth=1
	v_cmp_ne_u16_e32 vcc_lo, 0, v0
	v_mov_b32_e32 v15, 0
	s_and_not1_b32 s27, s27, exec_lo
	s_and_b32 s28, vcc_lo, exec_lo
	s_delay_alu instid0(SALU_CYCLE_1)
	s_or_b32 s27, s27, s28
	s_or_b32 exec_lo, exec_lo, s29
	s_and_saveexec_b32 s28, s27
	s_cbranch_execnz .LBB47_808
	s_branch .LBB47_809
.LBB47_1888:                            ;   in Loop: Header=BB47_17 Depth=1
	s_mov_b32 s27, -1
	s_mov_b32 vcc_hi, exec_lo
                                        ; implicit-def: $sgpr28
	v_cmpx_eq_u16_e32 0x80, v0
; %bb.1889:                             ;   in Loop: Header=BB47_17 Depth=1
	s_mov_b32 s28, 0x7f800001
	s_xor_b32 s27, exec_lo, -1
; %bb.1890:                             ;   in Loop: Header=BB47_17 Depth=1
	s_or_b32 exec_lo, exec_lo, vcc_hi
	s_delay_alu instid0(SALU_CYCLE_1)
	s_and_b32 s27, s27, exec_lo
	s_or_saveexec_b32 s29, s29
	v_mov_b32_e32 v16, s28
	s_xor_b32 exec_lo, exec_lo, s29
	s_cbranch_execz .LBB47_907
.LBB47_1891:                            ;   in Loop: Header=BB47_17 Depth=1
	v_cmp_ne_u16_e32 vcc_lo, 0, v0
	v_mov_b32_e32 v16, 0
	s_and_not1_b32 s27, s27, exec_lo
	s_and_b32 s28, vcc_lo, exec_lo
	s_delay_alu instid0(SALU_CYCLE_1)
	s_or_b32 s27, s27, s28
	s_or_b32 exec_lo, exec_lo, s29
	s_and_saveexec_b32 s28, s27
	s_cbranch_execnz .LBB47_908
	s_branch .LBB47_909
.LBB47_1892:                            ;   in Loop: Header=BB47_17 Depth=1
	s_mov_b32 s29, -1
	s_mov_b32 s31, exec_lo
                                        ; implicit-def: $sgpr30
	v_cmpx_eq_u16_e32 0x80, v0
; %bb.1893:                             ;   in Loop: Header=BB47_17 Depth=1
	s_mov_b32 s30, 0x7f800001
	s_xor_b32 s29, exec_lo, -1
; %bb.1894:                             ;   in Loop: Header=BB47_17 Depth=1
	s_or_b32 exec_lo, exec_lo, s31
	s_delay_alu instid0(SALU_CYCLE_1)
	s_and_b32 s29, s29, exec_lo
	s_or_saveexec_b32 vcc_hi, vcc_hi
	v_mov_b32_e32 v15, s30
	s_xor_b32 exec_lo, exec_lo, vcc_hi
	s_cbranch_execz .LBB47_1019
.LBB47_1895:                            ;   in Loop: Header=BB47_17 Depth=1
	v_cmp_ne_u16_e32 vcc_lo, 0, v0
	v_mov_b32_e32 v15, 0
	s_and_not1_b32 s29, s29, exec_lo
	s_and_b32 vcc_lo, vcc_lo, exec_lo
	s_delay_alu instid0(SALU_CYCLE_1)
	s_or_b32 s29, s29, vcc_lo
	s_or_b32 exec_lo, exec_lo, vcc_hi
	s_and_saveexec_b32 vcc_hi, s29
	s_cbranch_execnz .LBB47_1020
	s_branch .LBB47_1021
.LBB47_1896:                            ;   in Loop: Header=BB47_17 Depth=1
	s_mov_b32 s29, -1
	s_mov_b32 s31, exec_lo
                                        ; implicit-def: $sgpr30
	v_cmpx_eq_u16_e32 0x80, v0
; %bb.1897:                             ;   in Loop: Header=BB47_17 Depth=1
	s_mov_b32 s30, 0x7f800001
	s_xor_b32 s29, exec_lo, -1
; %bb.1898:                             ;   in Loop: Header=BB47_17 Depth=1
	s_or_b32 exec_lo, exec_lo, s31
	s_delay_alu instid0(SALU_CYCLE_1)
	s_and_b32 s29, s29, exec_lo
	s_or_saveexec_b32 vcc_hi, vcc_hi
	v_mov_b32_e32 v16, s30
	s_xor_b32 exec_lo, exec_lo, vcc_hi
	s_cbranch_execz .LBB47_1119
.LBB47_1899:                            ;   in Loop: Header=BB47_17 Depth=1
	v_cmp_ne_u16_e32 vcc_lo, 0, v0
	v_mov_b32_e32 v16, 0
	s_and_not1_b32 s29, s29, exec_lo
	s_and_b32 vcc_lo, vcc_lo, exec_lo
	s_delay_alu instid0(SALU_CYCLE_1)
	s_or_b32 s29, s29, vcc_lo
	s_or_b32 exec_lo, exec_lo, vcc_hi
	s_and_saveexec_b32 vcc_hi, s29
	s_cbranch_execnz .LBB47_1120
	s_branch .LBB47_1121
.LBB47_1900:                            ;   in Loop: Header=BB47_17 Depth=1
	s_mov_b32 s36, exec_lo
                                        ; implicit-def: $sgpr39
                                        ; implicit-def: $sgpr37
                                        ; implicit-def: $vgpr15
	v_cmpx_lt_i16_e32 25, v16
	s_xor_b32 s36, exec_lo, s36
	s_cbranch_execz .LBB47_1932
; %bb.1901:                             ;   in Loop: Header=BB47_17 Depth=1
	s_mov_b32 s37, exec_lo
                                        ; implicit-def: $sgpr39
                                        ; implicit-def: $sgpr40
                                        ; implicit-def: $vgpr15
	v_cmpx_lt_i16_e32 28, v16
	s_xor_b32 s37, exec_lo, s37
	s_cbranch_execz .LBB47_1917
; %bb.1902:                             ;   in Loop: Header=BB47_17 Depth=1
	s_mov_b32 s41, 0
	s_mov_b32 s38, exec_lo
                                        ; implicit-def: $sgpr39
                                        ; implicit-def: $sgpr40
                                        ; implicit-def: $vgpr15
	v_cmpx_lt_i16_e32 43, v16
	s_xor_b32 s38, exec_lo, s38
	s_cbranch_execz .LBB47_1912
; %bb.1903:                             ;   in Loop: Header=BB47_17 Depth=1
	s_mov_b32 s42, exec_lo
                                        ; implicit-def: $sgpr40
                                        ; implicit-def: $sgpr39
                                        ; implicit-def: $vgpr15
	v_cmpx_lt_i16_e32 45, v16
	s_xor_b32 s42, exec_lo, s42
	s_cbranch_execz .LBB47_1907
; %bb.1904:                             ;   in Loop: Header=BB47_17 Depth=1
	s_mov_b32 s39, 0
	s_mov_b32 s40, exec_lo
                                        ; implicit-def: $vgpr15
	v_cmpx_eq_u16_e32 46, v16
	s_cbranch_execz .LBB47_1906
; %bb.1905:                             ;   in Loop: Header=BB47_17 Depth=1
	flat_load_b32 v0, v[0:1]
	s_mov_b32 s41, exec_lo
	s_waitcnt vmcnt(0) lgkmcnt(0)
	v_lshlrev_b32_e32 v15, 16, v0
.LBB47_1906:                            ;   in Loop: Header=BB47_17 Depth=1
	s_or_b32 exec_lo, exec_lo, s40
	s_mov_b32 s40, -1
	s_and_b32 s41, s41, exec_lo
                                        ; implicit-def: $vgpr16
                                        ; implicit-def: $vgpr0_vgpr1
.LBB47_1907:                            ;   in Loop: Header=BB47_17 Depth=1
	s_and_not1_saveexec_b32 s42, s42
	s_cbranch_execz .LBB47_1911
; %bb.1908:                             ;   in Loop: Header=BB47_17 Depth=1
	s_mov_b32 s44, s41
	s_mov_b32 s43, exec_lo
                                        ; implicit-def: $vgpr15
	v_cmpx_eq_u16_e32 44, v16
	s_cbranch_execz .LBB47_1910
; %bb.1909:                             ;   in Loop: Header=BB47_17 Depth=1
	flat_load_u8 v0, v[0:1]
	s_or_b32 s44, s41, exec_lo
	s_waitcnt vmcnt(0) lgkmcnt(0)
	v_lshlrev_b32_e32 v1, 23, v0
	v_cmp_ne_u32_e32 vcc_lo, 0xff, v0
	s_delay_alu instid0(VALU_DEP_2) | instskip(SKIP_1) | instid1(VALU_DEP_2)
	v_cndmask_b32_e32 v1, 0x7f800001, v1, vcc_lo
	v_cmp_ne_u32_e32 vcc_lo, 0, v0
	v_cndmask_b32_e32 v15, 0x400000, v1, vcc_lo
.LBB47_1910:                            ;   in Loop: Header=BB47_17 Depth=1
	s_or_b32 exec_lo, exec_lo, s43
	s_delay_alu instid0(SALU_CYCLE_1)
	s_and_not1_b32 vcc_lo, s41, exec_lo
	s_and_b32 s41, s44, exec_lo
	s_or_b32 s40, s40, exec_lo
	s_and_not1_b32 s39, s39, exec_lo
	s_or_b32 s41, vcc_lo, s41
.LBB47_1911:                            ;   in Loop: Header=BB47_17 Depth=1
	s_or_b32 exec_lo, exec_lo, s42
	s_delay_alu instid0(SALU_CYCLE_1)
	s_and_b32 s40, s40, exec_lo
	s_and_b32 s39, s39, exec_lo
	;; [unrolled: 1-line block ×3, first 2 shown]
                                        ; implicit-def: $vgpr16
                                        ; implicit-def: $vgpr0_vgpr1
.LBB47_1912:                            ;   in Loop: Header=BB47_17 Depth=1
	s_and_not1_saveexec_b32 s38, s38
	s_cbranch_execz .LBB47_1916
; %bb.1913:                             ;   in Loop: Header=BB47_17 Depth=1
	s_mov_b32 s43, s41
	s_mov_b32 s42, exec_lo
                                        ; implicit-def: $vgpr15
	v_cmpx_eq_u16_e32 29, v16
	s_cbranch_execz .LBB47_1915
; %bb.1914:                             ;   in Loop: Header=BB47_17 Depth=1
	flat_load_b64 v[0:1], v[0:1]
	s_or_b32 s43, s41, exec_lo
	s_waitcnt vmcnt(0) lgkmcnt(0)
	v_clz_i32_u32_e32 v15, v1
	s_delay_alu instid0(VALU_DEP_1) | instskip(NEXT) | instid1(VALU_DEP_1)
	v_min_u32_e32 v15, 32, v15
	v_lshlrev_b64 v[0:1], v15, v[0:1]
	s_delay_alu instid0(VALU_DEP_1) | instskip(NEXT) | instid1(VALU_DEP_1)
	v_min_u32_e32 v0, 1, v0
	v_or_b32_e32 v0, v1, v0
	v_sub_nc_u32_e32 v1, 32, v15
	s_delay_alu instid0(VALU_DEP_2) | instskip(NEXT) | instid1(VALU_DEP_1)
	v_cvt_f32_u32_e32 v0, v0
	v_ldexp_f32 v15, v0, v1
.LBB47_1915:                            ;   in Loop: Header=BB47_17 Depth=1
	s_or_b32 exec_lo, exec_lo, s42
	s_delay_alu instid0(SALU_CYCLE_1)
	s_and_not1_b32 vcc_lo, s41, exec_lo
	s_and_b32 s41, s43, exec_lo
	s_or_b32 s40, s40, exec_lo
	s_and_not1_b32 s39, s39, exec_lo
	s_or_b32 s41, vcc_lo, s41
.LBB47_1916:                            ;   in Loop: Header=BB47_17 Depth=1
	s_or_b32 exec_lo, exec_lo, s38
	s_delay_alu instid0(SALU_CYCLE_1)
	s_and_b32 s40, s40, exec_lo
	s_and_b32 s39, s39, exec_lo
	;; [unrolled: 1-line block ×3, first 2 shown]
                                        ; implicit-def: $vgpr16
                                        ; implicit-def: $vgpr0_vgpr1
.LBB47_1917:                            ;   in Loop: Header=BB47_17 Depth=1
	s_and_not1_saveexec_b32 s37, s37
	s_cbranch_execz .LBB47_1931
; %bb.1918:                             ;   in Loop: Header=BB47_17 Depth=1
	s_mov_b32 s41, exec_lo
                                        ; implicit-def: $vgpr15
	v_cmpx_lt_i16_e32 26, v16
	s_xor_b32 s41, exec_lo, s41
	s_cbranch_execz .LBB47_1924
; %bb.1919:                             ;   in Loop: Header=BB47_17 Depth=1
	v_cmp_lt_i16_e32 vcc_lo, 27, v16
                                        ; implicit-def: $vgpr15
	s_and_saveexec_b32 s42, vcc_lo
	s_delay_alu instid0(SALU_CYCLE_1)
	s_xor_b32 vcc_lo, exec_lo, s42
	s_cbranch_execz .LBB47_1921
; %bb.1920:                             ;   in Loop: Header=BB47_17 Depth=1
	flat_load_b32 v0, v[0:1]
	s_waitcnt vmcnt(0) lgkmcnt(0)
	v_cvt_f32_u32_e32 v15, v0
                                        ; implicit-def: $vgpr0_vgpr1
.LBB47_1921:                            ;   in Loop: Header=BB47_17 Depth=1
	s_and_not1_saveexec_b32 vcc_lo, vcc_lo
	s_cbranch_execz .LBB47_1923
; %bb.1922:                             ;   in Loop: Header=BB47_17 Depth=1
	flat_load_u16 v0, v[0:1]
	s_waitcnt vmcnt(0) lgkmcnt(0)
	v_cvt_f32_u32_e32 v15, v0
.LBB47_1923:                            ;   in Loop: Header=BB47_17 Depth=1
	s_or_b32 exec_lo, exec_lo, vcc_lo
                                        ; implicit-def: $vgpr0_vgpr1
.LBB47_1924:                            ;   in Loop: Header=BB47_17 Depth=1
	s_and_not1_saveexec_b32 s41, s41
	s_cbranch_execz .LBB47_1930
; %bb.1925:                             ;   in Loop: Header=BB47_17 Depth=1
	flat_load_u8 v0, v[0:1]
	s_mov_b32 s42, 0
	s_mov_b32 s44, exec_lo
                                        ; implicit-def: $sgpr43
	s_waitcnt vmcnt(0) lgkmcnt(0)
	v_cmpx_lt_i16_e32 0x7f, v0
	s_xor_b32 s44, exec_lo, s44
	s_cbranch_execnz .LBB47_2800
; %bb.1926:                             ;   in Loop: Header=BB47_17 Depth=1
	s_or_saveexec_b32 s44, s44
	v_mov_b32_e32 v15, s43
	s_xor_b32 exec_lo, exec_lo, s44
	s_cbranch_execnz .LBB47_2803
.LBB47_1927:                            ;   in Loop: Header=BB47_17 Depth=1
	s_or_b32 exec_lo, exec_lo, s44
	s_and_saveexec_b32 s43, s42
	s_cbranch_execz .LBB47_1929
.LBB47_1928:                            ;   in Loop: Header=BB47_17 Depth=1
	v_and_b32_e32 v1, 0xffff, v0
	s_delay_alu instid0(VALU_DEP_1) | instskip(NEXT) | instid1(VALU_DEP_1)
	v_and_b32_e32 v15, 7, v1
	v_clz_i32_u32_e32 v16, v15
	s_delay_alu instid0(VALU_DEP_1) | instskip(NEXT) | instid1(VALU_DEP_1)
	v_min_u32_e32 v16, 32, v16
	v_subrev_nc_u32_e32 v17, 28, v16
	v_sub_nc_u32_e32 v16, 29, v16
	s_delay_alu instid0(VALU_DEP_2) | instskip(SKIP_1) | instid1(VALU_DEP_2)
	v_lshlrev_b32_e32 v17, v17, v1
	v_bfe_u32 v1, v1, 3, 4
	v_and_b32_e32 v17, 7, v17
	s_delay_alu instid0(VALU_DEP_2) | instskip(NEXT) | instid1(VALU_DEP_2)
	v_cmp_eq_u32_e32 vcc_lo, 0, v1
	v_dual_cndmask_b32 v15, v15, v17 :: v_dual_lshlrev_b32 v0, 24, v0
	v_cndmask_b32_e32 v1, v1, v16, vcc_lo
	s_delay_alu instid0(VALU_DEP_2) | instskip(NEXT) | instid1(VALU_DEP_3)
	v_and_b32_e32 v0, 0x80000000, v0
	v_lshlrev_b32_e32 v15, 20, v15
	s_delay_alu instid0(VALU_DEP_3) | instskip(NEXT) | instid1(VALU_DEP_1)
	v_lshl_add_u32 v1, v1, 23, 0x3b800000
	v_or3_b32 v15, v0, v1, v15
.LBB47_1929:                            ;   in Loop: Header=BB47_17 Depth=1
	s_or_b32 exec_lo, exec_lo, s43
.LBB47_1930:                            ;   in Loop: Header=BB47_17 Depth=1
	s_delay_alu instid0(SALU_CYCLE_1) | instskip(NEXT) | instid1(SALU_CYCLE_1)
	s_or_b32 exec_lo, exec_lo, s41
	s_and_not1_b32 s40, s40, exec_lo
	s_and_not1_b32 s39, s39, exec_lo
	s_or_b32 s38, s38, exec_lo
.LBB47_1931:                            ;   in Loop: Header=BB47_17 Depth=1
	s_or_b32 exec_lo, exec_lo, s37
	s_delay_alu instid0(SALU_CYCLE_1)
	s_and_b32 s37, s40, exec_lo
	s_and_b32 s39, s39, exec_lo
	s_and_b32 s38, s38, exec_lo
                                        ; implicit-def: $vgpr16
                                        ; implicit-def: $vgpr0_vgpr1
.LBB47_1932:                            ;   in Loop: Header=BB47_17 Depth=1
	s_and_not1_saveexec_b32 s36, s36
	s_cbranch_execz .LBB47_1958
; %bb.1933:                             ;   in Loop: Header=BB47_17 Depth=1
	s_mov_b32 s41, s38
	s_mov_b32 s40, exec_lo
                                        ; implicit-def: $vgpr15
	v_cmpx_lt_i16_e32 22, v16
	s_xor_b32 s40, exec_lo, s40
	s_cbranch_execz .LBB47_1947
; %bb.1934:                             ;   in Loop: Header=BB47_17 Depth=1
	s_mov_b32 s41, exec_lo
                                        ; implicit-def: $vgpr15
	v_cmpx_lt_i16_e32 23, v16
	s_xor_b32 s41, exec_lo, s41
	s_cbranch_execz .LBB47_1944
; %bb.1935:                             ;   in Loop: Header=BB47_17 Depth=1
	;; [unrolled: 6-line block ×3, first 2 shown]
	flat_load_u8 v0, v[0:1]
	s_mov_b32 s43, 0
	s_mov_b32 s45, exec_lo
                                        ; implicit-def: $sgpr44
	s_waitcnt vmcnt(0) lgkmcnt(0)
	v_cmpx_lt_i16_e32 0x7f, v0
	s_xor_b32 s45, exec_lo, s45
	s_cbranch_execnz .LBB47_3019
; %bb.1937:                             ;   in Loop: Header=BB47_17 Depth=1
	s_or_saveexec_b32 s45, s45
	v_mov_b32_e32 v15, s44
	s_xor_b32 exec_lo, exec_lo, s45
	s_cbranch_execnz .LBB47_3022
.LBB47_1938:                            ;   in Loop: Header=BB47_17 Depth=1
	s_or_b32 exec_lo, exec_lo, s45
	s_and_saveexec_b32 s44, s43
	s_cbranch_execz .LBB47_1940
.LBB47_1939:                            ;   in Loop: Header=BB47_17 Depth=1
	v_and_b32_e32 v1, 0xffff, v0
	s_delay_alu instid0(VALU_DEP_1) | instskip(NEXT) | instid1(VALU_DEP_1)
	v_and_b32_e32 v15, 3, v1
	v_clz_i32_u32_e32 v16, v15
	s_delay_alu instid0(VALU_DEP_1) | instskip(NEXT) | instid1(VALU_DEP_1)
	v_min_u32_e32 v16, 32, v16
	v_subrev_nc_u32_e32 v17, 29, v16
	v_sub_nc_u32_e32 v16, 30, v16
	s_delay_alu instid0(VALU_DEP_2) | instskip(SKIP_1) | instid1(VALU_DEP_2)
	v_lshlrev_b32_e32 v17, v17, v1
	v_bfe_u32 v1, v1, 2, 5
	v_and_b32_e32 v17, 3, v17
	s_delay_alu instid0(VALU_DEP_2) | instskip(NEXT) | instid1(VALU_DEP_2)
	v_cmp_eq_u32_e32 vcc_lo, 0, v1
	v_dual_cndmask_b32 v15, v15, v17 :: v_dual_lshlrev_b32 v0, 24, v0
	v_cndmask_b32_e32 v1, v1, v16, vcc_lo
	s_delay_alu instid0(VALU_DEP_2) | instskip(NEXT) | instid1(VALU_DEP_3)
	v_and_b32_e32 v0, 0x80000000, v0
	v_lshlrev_b32_e32 v15, 21, v15
	s_delay_alu instid0(VALU_DEP_3) | instskip(NEXT) | instid1(VALU_DEP_1)
	v_lshl_add_u32 v1, v1, 23, 0x37800000
	v_or3_b32 v15, v0, v1, v15
.LBB47_1940:                            ;   in Loop: Header=BB47_17 Depth=1
	s_or_b32 exec_lo, exec_lo, s44
                                        ; implicit-def: $vgpr0_vgpr1
.LBB47_1941:                            ;   in Loop: Header=BB47_17 Depth=1
	s_and_not1_saveexec_b32 s42, s42
	s_cbranch_execz .LBB47_1943
; %bb.1942:                             ;   in Loop: Header=BB47_17 Depth=1
	flat_load_u8 v0, v[0:1]
	s_waitcnt vmcnt(0) lgkmcnt(0)
	v_lshlrev_b32_e32 v0, 24, v0
	s_delay_alu instid0(VALU_DEP_1) | instskip(NEXT) | instid1(VALU_DEP_1)
	v_and_b32_e32 v1, 0x7f000000, v0
	v_clz_i32_u32_e32 v15, v1
	v_add_nc_u32_e32 v17, 0x1000000, v1
	v_cmp_ne_u32_e32 vcc_lo, 0, v1
	s_delay_alu instid0(VALU_DEP_3) | instskip(NEXT) | instid1(VALU_DEP_1)
	v_min_u32_e32 v15, 32, v15
	v_sub_nc_u32_e64 v15, v15, 4 clamp
	s_delay_alu instid0(VALU_DEP_1) | instskip(SKIP_1) | instid1(VALU_DEP_2)
	v_lshlrev_b32_e32 v16, v15, v1
	v_lshlrev_b32_e32 v15, 23, v15
	v_lshrrev_b32_e32 v16, 4, v16
	s_delay_alu instid0(VALU_DEP_1) | instskip(SKIP_1) | instid1(VALU_DEP_2)
	v_sub_nc_u32_e32 v15, v16, v15
	v_ashrrev_i32_e32 v16, 8, v17
	v_add_nc_u32_e32 v15, 0x3c000000, v15
	s_delay_alu instid0(VALU_DEP_1) | instskip(NEXT) | instid1(VALU_DEP_1)
	v_and_or_b32 v15, 0x7f800000, v16, v15
	v_cndmask_b32_e32 v1, 0, v15, vcc_lo
	s_delay_alu instid0(VALU_DEP_1)
	v_and_or_b32 v15, 0x80000000, v0, v1
.LBB47_1943:                            ;   in Loop: Header=BB47_17 Depth=1
	s_or_b32 exec_lo, exec_lo, s42
                                        ; implicit-def: $vgpr0_vgpr1
.LBB47_1944:                            ;   in Loop: Header=BB47_17 Depth=1
	s_and_not1_saveexec_b32 s41, s41
	s_cbranch_execz .LBB47_1946
; %bb.1945:                             ;   in Loop: Header=BB47_17 Depth=1
	flat_load_u8 v0, v[0:1]
	s_waitcnt vmcnt(0) lgkmcnt(0)
	v_lshlrev_b32_e32 v1, 25, v0
	v_lshlrev_b16 v0, 8, v0
	s_delay_alu instid0(VALU_DEP_2) | instskip(NEXT) | instid1(VALU_DEP_2)
	v_lshrrev_b32_e32 v15, 4, v1
	v_and_or_b32 v16, 0x7f00, v0, 0.5
	v_cmp_gt_u32_e32 vcc_lo, 0x8000000, v1
	v_bfe_i32 v0, v0, 0, 16
	s_delay_alu instid0(VALU_DEP_4) | instskip(NEXT) | instid1(VALU_DEP_1)
	v_or_b32_e32 v15, 0x70000000, v15
	v_dual_add_f32 v16, -0.5, v16 :: v_dual_mul_f32 v15, 0x7800000, v15
	s_delay_alu instid0(VALU_DEP_1) | instskip(NEXT) | instid1(VALU_DEP_1)
	v_cndmask_b32_e32 v1, v15, v16, vcc_lo
	v_and_or_b32 v15, 0x80000000, v0, v1
.LBB47_1946:                            ;   in Loop: Header=BB47_17 Depth=1
	s_or_b32 exec_lo, exec_lo, s41
	s_delay_alu instid0(SALU_CYCLE_1)
	s_or_b32 s41, s38, exec_lo
                                        ; implicit-def: $vgpr16
                                        ; implicit-def: $vgpr0_vgpr1
.LBB47_1947:                            ;   in Loop: Header=BB47_17 Depth=1
	s_or_saveexec_b32 s40, s40
                                        ; implicit-def: $sgpr42
                                        ; implicit-def: $vcc_lo
	s_delay_alu instid0(SALU_CYCLE_1)
	s_xor_b32 exec_lo, exec_lo, s40
	s_cbranch_execz .LBB47_1957
; %bb.1948:                             ;   in Loop: Header=BB47_17 Depth=1
	s_mov_b32 s43, s41
	s_mov_b32 s45, exec_lo
                                        ; implicit-def: $sgpr44
                                        ; implicit-def: $sgpr42
                                        ; implicit-def: $vgpr15
	v_cmpx_lt_i16_e32 14, v16
	s_xor_b32 s45, exec_lo, s45
	s_cbranch_execz .LBB47_1952
; %bb.1949:                             ;   in Loop: Header=BB47_17 Depth=1
	s_mov_b32 s43, s41
	s_mov_b32 s42, exec_lo
                                        ; implicit-def: $vgpr15
	v_cmpx_eq_u16_e32 15, v16
	s_cbranch_execz .LBB47_1951
; %bb.1950:                             ;   in Loop: Header=BB47_17 Depth=1
	flat_load_u16 v0, v[0:1]
	s_or_b32 s43, s41, exec_lo
	s_waitcnt vmcnt(0) lgkmcnt(0)
	v_lshlrev_b32_e32 v15, 16, v0
.LBB47_1951:                            ;   in Loop: Header=BB47_17 Depth=1
	s_or_b32 exec_lo, exec_lo, s42
	s_delay_alu instid0(SALU_CYCLE_1)
	s_and_not1_b32 vcc_lo, s41, exec_lo
	s_and_b32 s43, s43, exec_lo
	s_mov_b32 s42, 0
	s_mov_b32 s44, -1
	s_or_b32 s43, vcc_lo, s43
                                        ; implicit-def: $vgpr16
                                        ; implicit-def: $vgpr0_vgpr1
.LBB47_1952:                            ;   in Loop: Header=BB47_17 Depth=1
	s_and_not1_saveexec_b32 s45, s45
	s_cbranch_execz .LBB47_1956
; %bb.1953:                             ;   in Loop: Header=BB47_17 Depth=1
	s_mov_b32 s46, s43
	s_mov_b32 s47, exec_lo
                                        ; implicit-def: $vgpr15
	v_cmpx_eq_u16_e32 11, v16
	s_cbranch_execz .LBB47_1955
; %bb.1954:                             ;   in Loop: Header=BB47_17 Depth=1
	flat_load_u8 v0, v[0:1]
	s_or_b32 s46, s43, exec_lo
	s_waitcnt vmcnt(0) lgkmcnt(0)
	v_cmp_ne_u16_e32 vcc_lo, 0, v0
	v_cndmask_b32_e64 v15, 0, 1.0, vcc_lo
.LBB47_1955:                            ;   in Loop: Header=BB47_17 Depth=1
	s_or_b32 exec_lo, exec_lo, s47
	s_delay_alu instid0(SALU_CYCLE_1)
	s_and_not1_b32 vcc_lo, s43, exec_lo
	s_and_b32 s43, s46, exec_lo
	s_or_b32 s44, s44, exec_lo
	s_and_not1_b32 s42, s42, exec_lo
	s_or_b32 s43, vcc_lo, s43
.LBB47_1956:                            ;   in Loop: Header=BB47_17 Depth=1
	s_or_b32 exec_lo, exec_lo, s45
	s_delay_alu instid0(SALU_CYCLE_1)
	s_and_not1_b32 s41, s41, exec_lo
	s_and_b32 s43, s43, exec_lo
	s_and_b32 vcc_lo, s44, exec_lo
	s_and_b32 s42, s42, exec_lo
	s_or_b32 s41, s41, s43
.LBB47_1957:                            ;   in Loop: Header=BB47_17 Depth=1
	s_or_b32 exec_lo, exec_lo, s40
	s_delay_alu instid0(SALU_CYCLE_1)
	s_and_not1_b32 s37, s37, exec_lo
	s_and_b32 vcc_lo, vcc_lo, exec_lo
	s_and_not1_b32 s38, s38, exec_lo
	s_or_b32 s37, s37, vcc_lo
	s_and_not1_b32 vcc_lo, s39, exec_lo
	s_and_b32 s39, s42, exec_lo
	s_and_b32 s40, s41, exec_lo
	s_or_b32 s39, vcc_lo, s39
	s_or_b32 s38, s38, s40
.LBB47_1958:                            ;   in Loop: Header=BB47_17 Depth=1
	s_or_b32 exec_lo, exec_lo, s36
	s_delay_alu instid0(SALU_CYCLE_1)
	s_and_b32 s37, s37, exec_lo
	s_and_b32 s36, s39, exec_lo
	;; [unrolled: 1-line block ×3, first 2 shown]
                                        ; implicit-def: $vgpr16
                                        ; implicit-def: $vgpr0_vgpr1
	s_and_not1_saveexec_b32 s35, s35
	s_cbranch_execz .LBB47_1875
.LBB47_1959:                            ;   in Loop: Header=BB47_17 Depth=1
	s_mov_b32 s39, exec_lo
                                        ; implicit-def: $vgpr15
	v_cmpx_lt_i16_e32 4, v16
	s_xor_b32 s39, exec_lo, s39
	s_cbranch_execz .LBB47_1981
; %bb.1960:                             ;   in Loop: Header=BB47_17 Depth=1
	s_mov_b32 s40, exec_lo
                                        ; implicit-def: $vgpr15
	v_cmpx_lt_i16_e32 7, v16
	s_xor_b32 s40, exec_lo, s40
	s_cbranch_execz .LBB47_1970
; %bb.1961:                             ;   in Loop: Header=BB47_17 Depth=1
	;; [unrolled: 6-line block ×3, first 2 shown]
	v_cmp_lt_i16_e32 vcc_lo, 9, v16
                                        ; implicit-def: $vgpr15
	s_and_saveexec_b32 s42, vcc_lo
	s_delay_alu instid0(SALU_CYCLE_1)
	s_xor_b32 vcc_lo, exec_lo, s42
	s_cbranch_execz .LBB47_1964
; %bb.1963:                             ;   in Loop: Header=BB47_17 Depth=1
	flat_load_b64 v[0:1], v[0:1]
	s_waitcnt vmcnt(0) lgkmcnt(0)
	v_cvt_f32_f64_e32 v15, v[0:1]
                                        ; implicit-def: $vgpr0_vgpr1
.LBB47_1964:                            ;   in Loop: Header=BB47_17 Depth=1
	s_and_not1_saveexec_b32 vcc_lo, vcc_lo
	s_cbranch_execz .LBB47_1966
; %bb.1965:                             ;   in Loop: Header=BB47_17 Depth=1
	flat_load_b32 v15, v[0:1]
.LBB47_1966:                            ;   in Loop: Header=BB47_17 Depth=1
	s_or_b32 exec_lo, exec_lo, vcc_lo
                                        ; implicit-def: $vgpr0_vgpr1
.LBB47_1967:                            ;   in Loop: Header=BB47_17 Depth=1
	s_and_not1_saveexec_b32 vcc_lo, s41
	s_cbranch_execz .LBB47_1969
; %bb.1968:                             ;   in Loop: Header=BB47_17 Depth=1
	flat_load_b32 v0, v[0:1]
	s_waitcnt vmcnt(0) lgkmcnt(0)
	v_cvt_f32_f16_e32 v15, v0
.LBB47_1969:                            ;   in Loop: Header=BB47_17 Depth=1
	s_or_b32 exec_lo, exec_lo, vcc_lo
                                        ; implicit-def: $vgpr0_vgpr1
                                        ; implicit-def: $vgpr16
.LBB47_1970:                            ;   in Loop: Header=BB47_17 Depth=1
	s_and_not1_saveexec_b32 s40, s40
	s_cbranch_execz .LBB47_1980
; %bb.1971:                             ;   in Loop: Header=BB47_17 Depth=1
	s_mov_b32 s41, exec_lo
                                        ; implicit-def: $vgpr15
	v_cmpx_lt_i16_e32 5, v16
	s_xor_b32 s41, exec_lo, s41
	s_cbranch_execz .LBB47_1977
; %bb.1972:                             ;   in Loop: Header=BB47_17 Depth=1
	v_cmp_lt_i16_e32 vcc_lo, 6, v16
                                        ; implicit-def: $vgpr15
	s_and_saveexec_b32 s42, vcc_lo
	s_delay_alu instid0(SALU_CYCLE_1)
	s_xor_b32 vcc_lo, exec_lo, s42
	s_cbranch_execz .LBB47_1974
; %bb.1973:                             ;   in Loop: Header=BB47_17 Depth=1
	flat_load_b64 v[0:1], v[0:1]
	s_waitcnt vmcnt(0) lgkmcnt(0)
	v_cvt_f32_f64_e32 v15, v[0:1]
                                        ; implicit-def: $vgpr0_vgpr1
.LBB47_1974:                            ;   in Loop: Header=BB47_17 Depth=1
	s_and_not1_saveexec_b32 vcc_lo, vcc_lo
	s_cbranch_execz .LBB47_1976
; %bb.1975:                             ;   in Loop: Header=BB47_17 Depth=1
	s_waitcnt vmcnt(0) lgkmcnt(0)
	flat_load_b32 v15, v[0:1]
.LBB47_1976:                            ;   in Loop: Header=BB47_17 Depth=1
	s_or_b32 exec_lo, exec_lo, vcc_lo
                                        ; implicit-def: $vgpr0_vgpr1
.LBB47_1977:                            ;   in Loop: Header=BB47_17 Depth=1
	s_and_not1_saveexec_b32 vcc_lo, s41
	s_cbranch_execz .LBB47_1979
; %bb.1978:                             ;   in Loop: Header=BB47_17 Depth=1
	flat_load_u16 v0, v[0:1]
	s_waitcnt vmcnt(0) lgkmcnt(0)
	v_cvt_f32_f16_e32 v15, v0
.LBB47_1979:                            ;   in Loop: Header=BB47_17 Depth=1
	s_or_b32 exec_lo, exec_lo, vcc_lo
.LBB47_1980:                            ;   in Loop: Header=BB47_17 Depth=1
	s_delay_alu instid0(SALU_CYCLE_1)
	s_or_b32 exec_lo, exec_lo, s40
                                        ; implicit-def: $vgpr16
                                        ; implicit-def: $vgpr0_vgpr1
.LBB47_1981:                            ;   in Loop: Header=BB47_17 Depth=1
	s_and_not1_saveexec_b32 s39, s39
	s_cbranch_execz .LBB47_1999
; %bb.1982:                             ;   in Loop: Header=BB47_17 Depth=1
	s_mov_b32 s40, exec_lo
                                        ; implicit-def: $vgpr15
	v_cmpx_lt_i16_e32 1, v16
	s_xor_b32 s40, exec_lo, s40
	s_cbranch_execz .LBB47_1992
; %bb.1983:                             ;   in Loop: Header=BB47_17 Depth=1
	s_mov_b32 s41, exec_lo
                                        ; implicit-def: $vgpr15
	v_cmpx_lt_i16_e32 2, v16
	s_xor_b32 s41, exec_lo, s41
	s_cbranch_execz .LBB47_1989
; %bb.1984:                             ;   in Loop: Header=BB47_17 Depth=1
	v_cmp_lt_i16_e32 vcc_lo, 3, v16
                                        ; implicit-def: $vgpr15
	s_and_saveexec_b32 s42, vcc_lo
	s_delay_alu instid0(SALU_CYCLE_1)
	s_xor_b32 vcc_lo, exec_lo, s42
	s_cbranch_execz .LBB47_1986
; %bb.1985:                             ;   in Loop: Header=BB47_17 Depth=1
	flat_load_b64 v[0:1], v[0:1]
	s_waitcnt vmcnt(0) lgkmcnt(0)
	v_xor_b32_e32 v15, v0, v1
	v_cls_i32_e32 v16, v1
	s_delay_alu instid0(VALU_DEP_2) | instskip(NEXT) | instid1(VALU_DEP_2)
	v_ashrrev_i32_e32 v15, 31, v15
	v_add_nc_u32_e32 v16, -1, v16
	s_delay_alu instid0(VALU_DEP_2) | instskip(NEXT) | instid1(VALU_DEP_1)
	v_add_nc_u32_e32 v15, 32, v15
	v_min_u32_e32 v15, v16, v15
	s_delay_alu instid0(VALU_DEP_1) | instskip(NEXT) | instid1(VALU_DEP_1)
	v_lshlrev_b64 v[0:1], v15, v[0:1]
	v_min_u32_e32 v0, 1, v0
	s_delay_alu instid0(VALU_DEP_1) | instskip(SKIP_1) | instid1(VALU_DEP_2)
	v_or_b32_e32 v0, v1, v0
	v_sub_nc_u32_e32 v1, 32, v15
	v_cvt_f32_i32_e32 v0, v0
	s_delay_alu instid0(VALU_DEP_1)
	v_ldexp_f32 v15, v0, v1
                                        ; implicit-def: $vgpr0_vgpr1
.LBB47_1986:                            ;   in Loop: Header=BB47_17 Depth=1
	s_and_not1_saveexec_b32 vcc_lo, vcc_lo
	s_cbranch_execz .LBB47_1988
; %bb.1987:                             ;   in Loop: Header=BB47_17 Depth=1
	flat_load_b32 v0, v[0:1]
	s_waitcnt vmcnt(0) lgkmcnt(0)
	v_cvt_f32_i32_e32 v15, v0
.LBB47_1988:                            ;   in Loop: Header=BB47_17 Depth=1
	s_or_b32 exec_lo, exec_lo, vcc_lo
                                        ; implicit-def: $vgpr0_vgpr1
.LBB47_1989:                            ;   in Loop: Header=BB47_17 Depth=1
	s_and_not1_saveexec_b32 vcc_lo, s41
	s_cbranch_execz .LBB47_1991
; %bb.1990:                             ;   in Loop: Header=BB47_17 Depth=1
	flat_load_i16 v0, v[0:1]
	s_waitcnt vmcnt(0) lgkmcnt(0)
	v_cvt_f32_i32_e32 v15, v0
.LBB47_1991:                            ;   in Loop: Header=BB47_17 Depth=1
	s_or_b32 exec_lo, exec_lo, vcc_lo
                                        ; implicit-def: $vgpr0_vgpr1
                                        ; implicit-def: $vgpr16
.LBB47_1992:                            ;   in Loop: Header=BB47_17 Depth=1
	s_and_not1_saveexec_b32 s40, s40
	s_cbranch_execz .LBB47_1998
; %bb.1993:                             ;   in Loop: Header=BB47_17 Depth=1
	v_cmp_lt_i16_e32 vcc_lo, 0, v16
                                        ; implicit-def: $vgpr15
	s_and_saveexec_b32 s41, vcc_lo
	s_delay_alu instid0(SALU_CYCLE_1)
	s_xor_b32 vcc_lo, exec_lo, s41
	s_cbranch_execz .LBB47_1995
; %bb.1994:                             ;   in Loop: Header=BB47_17 Depth=1
	flat_load_i8 v0, v[0:1]
	s_waitcnt vmcnt(0) lgkmcnt(0)
	v_cvt_f32_i32_e32 v15, v0
                                        ; implicit-def: $vgpr0_vgpr1
.LBB47_1995:                            ;   in Loop: Header=BB47_17 Depth=1
	s_and_not1_saveexec_b32 vcc_lo, vcc_lo
	s_cbranch_execz .LBB47_1997
; %bb.1996:                             ;   in Loop: Header=BB47_17 Depth=1
	flat_load_u8 v0, v[0:1]
	s_waitcnt vmcnt(0) lgkmcnt(0)
	v_cvt_f32_ubyte0_e32 v15, v0
.LBB47_1997:                            ;   in Loop: Header=BB47_17 Depth=1
	s_or_b32 exec_lo, exec_lo, vcc_lo
.LBB47_1998:                            ;   in Loop: Header=BB47_17 Depth=1
	s_delay_alu instid0(SALU_CYCLE_1)
	s_or_b32 exec_lo, exec_lo, s40
.LBB47_1999:                            ;   in Loop: Header=BB47_17 Depth=1
	s_delay_alu instid0(SALU_CYCLE_1) | instskip(NEXT) | instid1(SALU_CYCLE_1)
	s_or_b32 exec_lo, exec_lo, s39
	s_and_not1_b32 s37, s37, exec_lo
	s_and_not1_b32 s36, s36, exec_lo
	s_or_b32 s38, s38, exec_lo
	s_or_b32 exec_lo, exec_lo, s35
	s_mov_b32 vcc_lo, 0
	s_and_saveexec_b32 s35, s38
	s_cbranch_execnz .LBB47_1876
	s_branch .LBB47_1877
.LBB47_2000:                            ;   in Loop: Header=BB47_17 Depth=1
	s_mov_b32 s31, exec_lo
                                        ; implicit-def: $sgpr39
                                        ; implicit-def: $sgpr34
                                        ; implicit-def: $vgpr16
	v_cmpx_lt_i16_e32 25, v7
	s_xor_b32 s31, exec_lo, s31
	s_cbranch_execz .LBB47_2032
; %bb.2001:                             ;   in Loop: Header=BB47_17 Depth=1
	s_mov_b32 s34, exec_lo
                                        ; implicit-def: $sgpr39
                                        ; implicit-def: $sgpr40
                                        ; implicit-def: $vgpr16
	v_cmpx_lt_i16_e32 28, v7
	s_xor_b32 s34, exec_lo, s34
	s_cbranch_execz .LBB47_2017
; %bb.2002:                             ;   in Loop: Header=BB47_17 Depth=1
	s_mov_b32 s41, 0
	s_mov_b32 s38, exec_lo
                                        ; implicit-def: $sgpr39
                                        ; implicit-def: $sgpr40
                                        ; implicit-def: $vgpr16
	v_cmpx_lt_i16_e32 43, v7
	s_xor_b32 s38, exec_lo, s38
	s_cbranch_execz .LBB47_2012
; %bb.2003:                             ;   in Loop: Header=BB47_17 Depth=1
	s_mov_b32 s40, exec_lo
                                        ; implicit-def: $sgpr39
                                        ; implicit-def: $sgpr42
                                        ; implicit-def: $vgpr16
	v_cmpx_lt_i16_e32 45, v7
	s_xor_b32 s40, exec_lo, s40
	s_cbranch_execz .LBB47_2007
; %bb.2004:                             ;   in Loop: Header=BB47_17 Depth=1
	s_mov_b32 s39, 0
	s_mov_b32 s42, exec_lo
                                        ; implicit-def: $vgpr16
	v_cmpx_eq_u16_e32 46, v7
	s_cbranch_execz .LBB47_2006
; %bb.2005:                             ;   in Loop: Header=BB47_17 Depth=1
	flat_load_b32 v0, v[0:1]
	s_mov_b32 s41, exec_lo
	s_waitcnt vmcnt(0) lgkmcnt(0)
	v_lshlrev_b32_e32 v16, 16, v0
.LBB47_2006:                            ;   in Loop: Header=BB47_17 Depth=1
	s_or_b32 exec_lo, exec_lo, s42
	s_mov_b32 s42, -1
	s_and_b32 s41, s41, exec_lo
                                        ; implicit-def: $vgpr0_vgpr1
.LBB47_2007:                            ;   in Loop: Header=BB47_17 Depth=1
	s_and_not1_saveexec_b32 s40, s40
	s_cbranch_execz .LBB47_2011
; %bb.2008:                             ;   in Loop: Header=BB47_17 Depth=1
	s_mov_b32 s44, s41
	s_mov_b32 s43, exec_lo
                                        ; implicit-def: $vgpr16
	v_cmpx_eq_u16_e32 44, v7
	s_cbranch_execz .LBB47_2010
; %bb.2009:                             ;   in Loop: Header=BB47_17 Depth=1
	flat_load_u8 v0, v[0:1]
	s_or_b32 s44, s41, exec_lo
	s_waitcnt vmcnt(0) lgkmcnt(0)
	v_lshlrev_b32_e32 v1, 23, v0
	v_cmp_ne_u32_e32 vcc_lo, 0xff, v0
	s_delay_alu instid0(VALU_DEP_2) | instskip(SKIP_1) | instid1(VALU_DEP_2)
	v_cndmask_b32_e32 v1, 0x7f800001, v1, vcc_lo
	v_cmp_ne_u32_e32 vcc_lo, 0, v0
	v_cndmask_b32_e32 v16, 0x400000, v1, vcc_lo
.LBB47_2010:                            ;   in Loop: Header=BB47_17 Depth=1
	s_or_b32 exec_lo, exec_lo, s43
	s_delay_alu instid0(SALU_CYCLE_1)
	s_and_not1_b32 vcc_lo, s41, exec_lo
	s_and_b32 s41, s44, exec_lo
	s_and_not1_b32 s39, s39, exec_lo
	s_or_b32 s42, s42, exec_lo
	s_or_b32 s41, vcc_lo, s41
.LBB47_2011:                            ;   in Loop: Header=BB47_17 Depth=1
	s_or_b32 exec_lo, exec_lo, s40
	s_delay_alu instid0(SALU_CYCLE_1)
	s_and_b32 s40, s39, exec_lo
	s_and_b32 s39, s42, exec_lo
	s_and_b32 s41, s41, exec_lo
                                        ; implicit-def: $vgpr0_vgpr1
.LBB47_2012:                            ;   in Loop: Header=BB47_17 Depth=1
	s_and_not1_saveexec_b32 s38, s38
	s_cbranch_execz .LBB47_2016
; %bb.2013:                             ;   in Loop: Header=BB47_17 Depth=1
	s_mov_b32 s43, s41
	s_mov_b32 s42, exec_lo
                                        ; implicit-def: $vgpr16
	v_cmpx_eq_u16_e32 29, v7
	s_cbranch_execz .LBB47_2015
; %bb.2014:                             ;   in Loop: Header=BB47_17 Depth=1
	flat_load_b64 v[0:1], v[0:1]
	s_or_b32 s43, s41, exec_lo
	s_waitcnt vmcnt(0) lgkmcnt(0)
	v_clz_i32_u32_e32 v14, v1
	s_delay_alu instid0(VALU_DEP_1) | instskip(NEXT) | instid1(VALU_DEP_1)
	v_min_u32_e32 v14, 32, v14
	v_lshlrev_b64 v[0:1], v14, v[0:1]
	s_delay_alu instid0(VALU_DEP_1) | instskip(NEXT) | instid1(VALU_DEP_1)
	v_min_u32_e32 v0, 1, v0
	v_or_b32_e32 v0, v1, v0
	v_sub_nc_u32_e32 v1, 32, v14
	s_delay_alu instid0(VALU_DEP_2) | instskip(NEXT) | instid1(VALU_DEP_1)
	v_cvt_f32_u32_e32 v0, v0
	v_ldexp_f32 v16, v0, v1
.LBB47_2015:                            ;   in Loop: Header=BB47_17 Depth=1
	s_or_b32 exec_lo, exec_lo, s42
	s_delay_alu instid0(SALU_CYCLE_1)
	s_and_not1_b32 vcc_lo, s41, exec_lo
	s_and_b32 s41, s43, exec_lo
	s_and_not1_b32 s40, s40, exec_lo
	s_or_b32 s39, s39, exec_lo
	s_or_b32 s41, vcc_lo, s41
.LBB47_2016:                            ;   in Loop: Header=BB47_17 Depth=1
	s_or_b32 exec_lo, exec_lo, s38
	s_delay_alu instid0(SALU_CYCLE_1)
	s_and_b32 s40, s40, exec_lo
	s_and_b32 s39, s39, exec_lo
	s_and_b32 s38, s41, exec_lo
                                        ; implicit-def: $vgpr0_vgpr1
.LBB47_2017:                            ;   in Loop: Header=BB47_17 Depth=1
	s_and_not1_saveexec_b32 s34, s34
	s_cbranch_execz .LBB47_2031
; %bb.2018:                             ;   in Loop: Header=BB47_17 Depth=1
	s_mov_b32 s41, exec_lo
                                        ; implicit-def: $vgpr16
	v_cmpx_lt_i16_e32 26, v7
	s_xor_b32 s41, exec_lo, s41
	s_cbranch_execz .LBB47_2024
; %bb.2019:                             ;   in Loop: Header=BB47_17 Depth=1
	v_cmp_lt_i16_e32 vcc_lo, 27, v7
                                        ; implicit-def: $vgpr16
	s_and_saveexec_b32 s42, vcc_lo
	s_delay_alu instid0(SALU_CYCLE_1)
	s_xor_b32 vcc_lo, exec_lo, s42
	s_cbranch_execz .LBB47_2021
; %bb.2020:                             ;   in Loop: Header=BB47_17 Depth=1
	flat_load_b32 v0, v[0:1]
	s_waitcnt vmcnt(0) lgkmcnt(0)
	v_cvt_f32_u32_e32 v16, v0
                                        ; implicit-def: $vgpr0_vgpr1
.LBB47_2021:                            ;   in Loop: Header=BB47_17 Depth=1
	s_and_not1_saveexec_b32 vcc_lo, vcc_lo
	s_cbranch_execz .LBB47_2023
; %bb.2022:                             ;   in Loop: Header=BB47_17 Depth=1
	flat_load_u16 v0, v[0:1]
	s_waitcnt vmcnt(0) lgkmcnt(0)
	v_cvt_f32_u32_e32 v16, v0
.LBB47_2023:                            ;   in Loop: Header=BB47_17 Depth=1
	s_or_b32 exec_lo, exec_lo, vcc_lo
                                        ; implicit-def: $vgpr0_vgpr1
.LBB47_2024:                            ;   in Loop: Header=BB47_17 Depth=1
	s_and_not1_saveexec_b32 s41, s41
	s_cbranch_execz .LBB47_2030
; %bb.2025:                             ;   in Loop: Header=BB47_17 Depth=1
	flat_load_u8 v0, v[0:1]
	s_mov_b32 s42, 0
	s_mov_b32 s44, exec_lo
                                        ; implicit-def: $sgpr43
	s_waitcnt vmcnt(0) lgkmcnt(0)
	v_cmpx_lt_i16_e32 0x7f, v0
	s_xor_b32 s44, exec_lo, s44
	s_cbranch_execnz .LBB47_2804
; %bb.2026:                             ;   in Loop: Header=BB47_17 Depth=1
	s_or_saveexec_b32 s44, s44
	v_mov_b32_e32 v16, s43
	s_xor_b32 exec_lo, exec_lo, s44
	s_cbranch_execnz .LBB47_2807
.LBB47_2027:                            ;   in Loop: Header=BB47_17 Depth=1
	s_or_b32 exec_lo, exec_lo, s44
	s_and_saveexec_b32 s43, s42
	s_cbranch_execz .LBB47_2029
.LBB47_2028:                            ;   in Loop: Header=BB47_17 Depth=1
	v_and_b32_e32 v1, 0xffff, v0
	v_lshlrev_b32_e32 v0, 24, v0
	s_delay_alu instid0(VALU_DEP_2) | instskip(NEXT) | instid1(VALU_DEP_2)
	v_and_b32_e32 v14, 7, v1
	v_and_b32_e32 v0, 0x80000000, v0
	s_delay_alu instid0(VALU_DEP_2) | instskip(NEXT) | instid1(VALU_DEP_1)
	v_clz_i32_u32_e32 v16, v14
	v_min_u32_e32 v16, 32, v16
	s_delay_alu instid0(VALU_DEP_1) | instskip(SKIP_1) | instid1(VALU_DEP_2)
	v_subrev_nc_u32_e32 v17, 28, v16
	v_sub_nc_u32_e32 v16, 29, v16
	v_lshlrev_b32_e32 v17, v17, v1
	v_bfe_u32 v1, v1, 3, 4
	s_delay_alu instid0(VALU_DEP_2) | instskip(NEXT) | instid1(VALU_DEP_2)
	v_and_b32_e32 v17, 7, v17
	v_cmp_eq_u32_e32 vcc_lo, 0, v1
	s_delay_alu instid0(VALU_DEP_2) | instskip(NEXT) | instid1(VALU_DEP_1)
	v_dual_cndmask_b32 v1, v1, v16 :: v_dual_cndmask_b32 v14, v14, v17
	v_lshl_add_u32 v1, v1, 23, 0x3b800000
	s_delay_alu instid0(VALU_DEP_2) | instskip(NEXT) | instid1(VALU_DEP_1)
	v_lshlrev_b32_e32 v14, 20, v14
	v_or3_b32 v16, v0, v1, v14
.LBB47_2029:                            ;   in Loop: Header=BB47_17 Depth=1
	s_or_b32 exec_lo, exec_lo, s43
.LBB47_2030:                            ;   in Loop: Header=BB47_17 Depth=1
	s_delay_alu instid0(SALU_CYCLE_1) | instskip(NEXT) | instid1(SALU_CYCLE_1)
	s_or_b32 exec_lo, exec_lo, s41
	s_and_not1_b32 s40, s40, exec_lo
	s_and_not1_b32 s39, s39, exec_lo
	s_or_b32 s38, s38, exec_lo
.LBB47_2031:                            ;   in Loop: Header=BB47_17 Depth=1
	s_or_b32 exec_lo, exec_lo, s34
	s_delay_alu instid0(SALU_CYCLE_1)
	s_and_b32 s34, s40, exec_lo
	s_and_b32 s39, s39, exec_lo
	;; [unrolled: 1-line block ×3, first 2 shown]
                                        ; implicit-def: $vgpr0_vgpr1
.LBB47_2032:                            ;   in Loop: Header=BB47_17 Depth=1
	s_and_not1_saveexec_b32 s31, s31
	s_cbranch_execz .LBB47_2058
; %bb.2033:                             ;   in Loop: Header=BB47_17 Depth=1
	s_mov_b32 s41, s38
	s_mov_b32 s40, exec_lo
                                        ; implicit-def: $vgpr16
	v_cmpx_lt_i16_e32 22, v7
	s_xor_b32 s40, exec_lo, s40
	s_cbranch_execz .LBB47_2047
; %bb.2034:                             ;   in Loop: Header=BB47_17 Depth=1
	s_mov_b32 s41, exec_lo
                                        ; implicit-def: $vgpr16
	v_cmpx_lt_i16_e32 23, v7
	s_xor_b32 s41, exec_lo, s41
	s_cbranch_execz .LBB47_2044
; %bb.2035:                             ;   in Loop: Header=BB47_17 Depth=1
	;; [unrolled: 6-line block ×3, first 2 shown]
	flat_load_u8 v0, v[0:1]
	s_mov_b32 s43, 0
	s_mov_b32 s45, exec_lo
                                        ; implicit-def: $sgpr44
	s_waitcnt vmcnt(0) lgkmcnt(0)
	v_cmpx_lt_i16_e32 0x7f, v0
	s_xor_b32 s45, exec_lo, s45
	s_cbranch_execnz .LBB47_3023
; %bb.2037:                             ;   in Loop: Header=BB47_17 Depth=1
	s_or_saveexec_b32 s45, s45
	v_mov_b32_e32 v16, s44
	s_xor_b32 exec_lo, exec_lo, s45
	s_cbranch_execnz .LBB47_3026
.LBB47_2038:                            ;   in Loop: Header=BB47_17 Depth=1
	s_or_b32 exec_lo, exec_lo, s45
	s_and_saveexec_b32 s44, s43
	s_cbranch_execz .LBB47_2040
.LBB47_2039:                            ;   in Loop: Header=BB47_17 Depth=1
	v_and_b32_e32 v1, 0xffff, v0
	v_lshlrev_b32_e32 v0, 24, v0
	s_delay_alu instid0(VALU_DEP_2) | instskip(NEXT) | instid1(VALU_DEP_2)
	v_and_b32_e32 v14, 3, v1
	v_and_b32_e32 v0, 0x80000000, v0
	s_delay_alu instid0(VALU_DEP_2) | instskip(NEXT) | instid1(VALU_DEP_1)
	v_clz_i32_u32_e32 v16, v14
	v_min_u32_e32 v16, 32, v16
	s_delay_alu instid0(VALU_DEP_1) | instskip(SKIP_1) | instid1(VALU_DEP_2)
	v_subrev_nc_u32_e32 v17, 29, v16
	v_sub_nc_u32_e32 v16, 30, v16
	v_lshlrev_b32_e32 v17, v17, v1
	v_bfe_u32 v1, v1, 2, 5
	s_delay_alu instid0(VALU_DEP_2) | instskip(NEXT) | instid1(VALU_DEP_2)
	v_and_b32_e32 v17, 3, v17
	v_cmp_eq_u32_e32 vcc_lo, 0, v1
	s_delay_alu instid0(VALU_DEP_2) | instskip(NEXT) | instid1(VALU_DEP_1)
	v_dual_cndmask_b32 v1, v1, v16 :: v_dual_cndmask_b32 v14, v14, v17
	v_lshl_add_u32 v1, v1, 23, 0x37800000
	s_delay_alu instid0(VALU_DEP_2) | instskip(NEXT) | instid1(VALU_DEP_1)
	v_lshlrev_b32_e32 v14, 21, v14
	v_or3_b32 v16, v0, v1, v14
.LBB47_2040:                            ;   in Loop: Header=BB47_17 Depth=1
	s_or_b32 exec_lo, exec_lo, s44
                                        ; implicit-def: $vgpr0_vgpr1
.LBB47_2041:                            ;   in Loop: Header=BB47_17 Depth=1
	s_and_not1_saveexec_b32 s42, s42
	s_cbranch_execz .LBB47_2043
; %bb.2042:                             ;   in Loop: Header=BB47_17 Depth=1
	flat_load_u8 v0, v[0:1]
	s_waitcnt vmcnt(0) lgkmcnt(0)
	v_lshlrev_b32_e32 v0, 24, v0
	s_delay_alu instid0(VALU_DEP_1) | instskip(NEXT) | instid1(VALU_DEP_1)
	v_and_b32_e32 v1, 0x7f000000, v0
	v_clz_i32_u32_e32 v14, v1
	v_add_nc_u32_e32 v17, 0x1000000, v1
	v_cmp_ne_u32_e32 vcc_lo, 0, v1
	s_delay_alu instid0(VALU_DEP_3) | instskip(NEXT) | instid1(VALU_DEP_1)
	v_min_u32_e32 v14, 32, v14
	v_sub_nc_u32_e64 v14, v14, 4 clamp
	s_delay_alu instid0(VALU_DEP_1) | instskip(SKIP_1) | instid1(VALU_DEP_2)
	v_lshlrev_b32_e32 v16, v14, v1
	v_lshlrev_b32_e32 v14, 23, v14
	v_lshrrev_b32_e32 v16, 4, v16
	s_delay_alu instid0(VALU_DEP_1) | instskip(SKIP_1) | instid1(VALU_DEP_2)
	v_sub_nc_u32_e32 v14, v16, v14
	v_ashrrev_i32_e32 v16, 8, v17
	v_add_nc_u32_e32 v14, 0x3c000000, v14
	s_delay_alu instid0(VALU_DEP_1) | instskip(NEXT) | instid1(VALU_DEP_1)
	v_and_or_b32 v14, 0x7f800000, v16, v14
	v_cndmask_b32_e32 v1, 0, v14, vcc_lo
	s_delay_alu instid0(VALU_DEP_1)
	v_and_or_b32 v16, 0x80000000, v0, v1
.LBB47_2043:                            ;   in Loop: Header=BB47_17 Depth=1
	s_or_b32 exec_lo, exec_lo, s42
                                        ; implicit-def: $vgpr0_vgpr1
.LBB47_2044:                            ;   in Loop: Header=BB47_17 Depth=1
	s_and_not1_saveexec_b32 s41, s41
	s_cbranch_execz .LBB47_2046
; %bb.2045:                             ;   in Loop: Header=BB47_17 Depth=1
	flat_load_u8 v0, v[0:1]
	s_waitcnt vmcnt(0) lgkmcnt(0)
	v_lshlrev_b32_e32 v1, 25, v0
	v_lshlrev_b16 v0, 8, v0
	s_delay_alu instid0(VALU_DEP_2) | instskip(NEXT) | instid1(VALU_DEP_2)
	v_lshrrev_b32_e32 v14, 4, v1
	v_and_or_b32 v16, 0x7f00, v0, 0.5
	v_bfe_i32 v0, v0, 0, 16
	s_delay_alu instid0(VALU_DEP_3) | instskip(NEXT) | instid1(VALU_DEP_3)
	v_or_b32_e32 v14, 0x70000000, v14
	v_add_f32_e32 v16, -0.5, v16
	s_delay_alu instid0(VALU_DEP_2) | instskip(SKIP_1) | instid1(VALU_DEP_2)
	v_mul_f32_e32 v14, 0x7800000, v14
	v_cmp_gt_u32_e32 vcc_lo, 0x8000000, v1
	v_cndmask_b32_e32 v1, v14, v16, vcc_lo
	s_delay_alu instid0(VALU_DEP_1)
	v_and_or_b32 v16, 0x80000000, v0, v1
.LBB47_2046:                            ;   in Loop: Header=BB47_17 Depth=1
	s_or_b32 exec_lo, exec_lo, s41
	s_delay_alu instid0(SALU_CYCLE_1)
	s_or_b32 s41, s38, exec_lo
                                        ; implicit-def: $vgpr0_vgpr1
.LBB47_2047:                            ;   in Loop: Header=BB47_17 Depth=1
	s_or_saveexec_b32 s40, s40
                                        ; implicit-def: $sgpr42
                                        ; implicit-def: $vcc_lo
	s_delay_alu instid0(SALU_CYCLE_1)
	s_xor_b32 exec_lo, exec_lo, s40
	s_cbranch_execz .LBB47_2057
; %bb.2048:                             ;   in Loop: Header=BB47_17 Depth=1
	s_mov_b32 s43, s41
	s_mov_b32 s45, exec_lo
                                        ; implicit-def: $sgpr44
                                        ; implicit-def: $sgpr42
                                        ; implicit-def: $vgpr16
	v_cmpx_lt_i16_e32 14, v7
	s_xor_b32 s45, exec_lo, s45
	s_cbranch_execz .LBB47_2052
; %bb.2049:                             ;   in Loop: Header=BB47_17 Depth=1
	s_mov_b32 s43, s41
	s_mov_b32 s42, exec_lo
                                        ; implicit-def: $vgpr16
	v_cmpx_eq_u16_e32 15, v7
	s_cbranch_execz .LBB47_2051
; %bb.2050:                             ;   in Loop: Header=BB47_17 Depth=1
	flat_load_u16 v0, v[0:1]
	s_or_b32 s43, s41, exec_lo
	s_waitcnt vmcnt(0) lgkmcnt(0)
	v_lshlrev_b32_e32 v16, 16, v0
.LBB47_2051:                            ;   in Loop: Header=BB47_17 Depth=1
	s_or_b32 exec_lo, exec_lo, s42
	s_delay_alu instid0(SALU_CYCLE_1)
	s_and_not1_b32 vcc_lo, s41, exec_lo
	s_and_b32 s43, s43, exec_lo
	s_mov_b32 s42, -1
	s_mov_b32 s44, 0
	s_or_b32 s43, vcc_lo, s43
                                        ; implicit-def: $vgpr0_vgpr1
.LBB47_2052:                            ;   in Loop: Header=BB47_17 Depth=1
	s_and_not1_saveexec_b32 s45, s45
	s_cbranch_execz .LBB47_2056
; %bb.2053:                             ;   in Loop: Header=BB47_17 Depth=1
	s_mov_b32 s46, s43
	s_mov_b32 s47, exec_lo
                                        ; implicit-def: $vgpr16
	v_cmpx_eq_u16_e32 11, v7
	s_cbranch_execz .LBB47_2055
; %bb.2054:                             ;   in Loop: Header=BB47_17 Depth=1
	flat_load_u8 v0, v[0:1]
	s_or_b32 s46, s43, exec_lo
	s_waitcnt vmcnt(0) lgkmcnt(0)
	v_cmp_ne_u16_e32 vcc_lo, 0, v0
	v_cndmask_b32_e64 v16, 0, 1.0, vcc_lo
.LBB47_2055:                            ;   in Loop: Header=BB47_17 Depth=1
	s_or_b32 exec_lo, exec_lo, s47
	s_delay_alu instid0(SALU_CYCLE_1)
	s_and_not1_b32 vcc_lo, s43, exec_lo
	s_and_b32 s43, s46, exec_lo
	s_and_not1_b32 s44, s44, exec_lo
	s_or_b32 s42, s42, exec_lo
	s_or_b32 s43, vcc_lo, s43
.LBB47_2056:                            ;   in Loop: Header=BB47_17 Depth=1
	s_or_b32 exec_lo, exec_lo, s45
	s_delay_alu instid0(SALU_CYCLE_1)
	s_and_not1_b32 s41, s41, exec_lo
	s_and_b32 s43, s43, exec_lo
	s_and_b32 vcc_lo, s44, exec_lo
	s_and_b32 s42, s42, exec_lo
	s_or_b32 s41, s41, s43
.LBB47_2057:                            ;   in Loop: Header=BB47_17 Depth=1
	s_or_b32 exec_lo, exec_lo, s40
	s_delay_alu instid0(SALU_CYCLE_1)
	s_and_not1_b32 s34, s34, exec_lo
	s_and_b32 vcc_lo, vcc_lo, exec_lo
	s_and_not1_b32 s38, s38, exec_lo
	s_or_b32 s34, s34, vcc_lo
	s_and_not1_b32 vcc_lo, s39, exec_lo
	s_and_b32 s39, s42, exec_lo
	s_and_b32 s40, s41, exec_lo
	s_or_b32 s39, vcc_lo, s39
	s_or_b32 s38, s38, s40
.LBB47_2058:                            ;   in Loop: Header=BB47_17 Depth=1
	s_or_b32 exec_lo, exec_lo, s31
	s_delay_alu instid0(SALU_CYCLE_1)
	s_and_b32 s34, s34, exec_lo
	s_and_b32 s31, s39, exec_lo
	;; [unrolled: 1-line block ×3, first 2 shown]
                                        ; implicit-def: $vgpr0_vgpr1
	s_and_not1_saveexec_b32 s37, s37
	s_cbranch_execz .LBB47_1883
.LBB47_2059:                            ;   in Loop: Header=BB47_17 Depth=1
	s_mov_b32 s39, exec_lo
                                        ; implicit-def: $vgpr16
	v_cmpx_lt_i16_e32 4, v7
	s_xor_b32 s39, exec_lo, s39
	s_cbranch_execz .LBB47_2081
; %bb.2060:                             ;   in Loop: Header=BB47_17 Depth=1
	s_mov_b32 s40, exec_lo
                                        ; implicit-def: $vgpr16
	v_cmpx_lt_i16_e32 7, v7
	s_xor_b32 s40, exec_lo, s40
	s_cbranch_execz .LBB47_2070
; %bb.2061:                             ;   in Loop: Header=BB47_17 Depth=1
	;; [unrolled: 6-line block ×3, first 2 shown]
	v_cmp_lt_i16_e32 vcc_lo, 9, v7
                                        ; implicit-def: $vgpr16
	s_and_saveexec_b32 s42, vcc_lo
	s_delay_alu instid0(SALU_CYCLE_1)
	s_xor_b32 vcc_lo, exec_lo, s42
	s_cbranch_execz .LBB47_2064
; %bb.2063:                             ;   in Loop: Header=BB47_17 Depth=1
	flat_load_b64 v[0:1], v[0:1]
	s_waitcnt vmcnt(0) lgkmcnt(0)
	v_cvt_f32_f64_e32 v16, v[0:1]
                                        ; implicit-def: $vgpr0_vgpr1
.LBB47_2064:                            ;   in Loop: Header=BB47_17 Depth=1
	s_and_not1_saveexec_b32 vcc_lo, vcc_lo
	s_cbranch_execz .LBB47_2066
; %bb.2065:                             ;   in Loop: Header=BB47_17 Depth=1
	flat_load_b32 v16, v[0:1]
.LBB47_2066:                            ;   in Loop: Header=BB47_17 Depth=1
	s_or_b32 exec_lo, exec_lo, vcc_lo
                                        ; implicit-def: $vgpr0_vgpr1
.LBB47_2067:                            ;   in Loop: Header=BB47_17 Depth=1
	s_and_not1_saveexec_b32 vcc_lo, s41
	s_cbranch_execz .LBB47_2069
; %bb.2068:                             ;   in Loop: Header=BB47_17 Depth=1
	flat_load_b32 v0, v[0:1]
	s_waitcnt vmcnt(0) lgkmcnt(0)
	v_cvt_f32_f16_e32 v16, v0
.LBB47_2069:                            ;   in Loop: Header=BB47_17 Depth=1
	s_or_b32 exec_lo, exec_lo, vcc_lo
                                        ; implicit-def: $vgpr0_vgpr1
.LBB47_2070:                            ;   in Loop: Header=BB47_17 Depth=1
	s_and_not1_saveexec_b32 s40, s40
	s_cbranch_execz .LBB47_2080
; %bb.2071:                             ;   in Loop: Header=BB47_17 Depth=1
	s_mov_b32 s41, exec_lo
                                        ; implicit-def: $vgpr16
	v_cmpx_lt_i16_e32 5, v7
	s_xor_b32 s41, exec_lo, s41
	s_cbranch_execz .LBB47_2077
; %bb.2072:                             ;   in Loop: Header=BB47_17 Depth=1
	v_cmp_lt_i16_e32 vcc_lo, 6, v7
                                        ; implicit-def: $vgpr16
	s_and_saveexec_b32 s42, vcc_lo
	s_delay_alu instid0(SALU_CYCLE_1)
	s_xor_b32 vcc_lo, exec_lo, s42
	s_cbranch_execz .LBB47_2074
; %bb.2073:                             ;   in Loop: Header=BB47_17 Depth=1
	flat_load_b64 v[0:1], v[0:1]
	s_waitcnt vmcnt(0) lgkmcnt(0)
	v_cvt_f32_f64_e32 v16, v[0:1]
                                        ; implicit-def: $vgpr0_vgpr1
.LBB47_2074:                            ;   in Loop: Header=BB47_17 Depth=1
	s_and_not1_saveexec_b32 vcc_lo, vcc_lo
	s_cbranch_execz .LBB47_2076
; %bb.2075:                             ;   in Loop: Header=BB47_17 Depth=1
	s_waitcnt vmcnt(0) lgkmcnt(0)
	flat_load_b32 v16, v[0:1]
.LBB47_2076:                            ;   in Loop: Header=BB47_17 Depth=1
	s_or_b32 exec_lo, exec_lo, vcc_lo
                                        ; implicit-def: $vgpr0_vgpr1
.LBB47_2077:                            ;   in Loop: Header=BB47_17 Depth=1
	s_and_not1_saveexec_b32 vcc_lo, s41
	s_cbranch_execz .LBB47_2079
; %bb.2078:                             ;   in Loop: Header=BB47_17 Depth=1
	flat_load_u16 v0, v[0:1]
	s_waitcnt vmcnt(0) lgkmcnt(0)
	v_cvt_f32_f16_e32 v16, v0
.LBB47_2079:                            ;   in Loop: Header=BB47_17 Depth=1
	s_or_b32 exec_lo, exec_lo, vcc_lo
.LBB47_2080:                            ;   in Loop: Header=BB47_17 Depth=1
	s_delay_alu instid0(SALU_CYCLE_1)
	s_or_b32 exec_lo, exec_lo, s40
                                        ; implicit-def: $vgpr0_vgpr1
.LBB47_2081:                            ;   in Loop: Header=BB47_17 Depth=1
	s_and_not1_saveexec_b32 s39, s39
	s_cbranch_execz .LBB47_2099
; %bb.2082:                             ;   in Loop: Header=BB47_17 Depth=1
	s_mov_b32 s40, exec_lo
                                        ; implicit-def: $vgpr16
	v_cmpx_lt_i16_e32 1, v7
	s_xor_b32 s40, exec_lo, s40
	s_cbranch_execz .LBB47_2092
; %bb.2083:                             ;   in Loop: Header=BB47_17 Depth=1
	s_mov_b32 s41, exec_lo
                                        ; implicit-def: $vgpr16
	v_cmpx_lt_i16_e32 2, v7
	s_xor_b32 s41, exec_lo, s41
	s_cbranch_execz .LBB47_2089
; %bb.2084:                             ;   in Loop: Header=BB47_17 Depth=1
	v_cmp_lt_i16_e32 vcc_lo, 3, v7
                                        ; implicit-def: $vgpr16
	s_and_saveexec_b32 s42, vcc_lo
	s_delay_alu instid0(SALU_CYCLE_1)
	s_xor_b32 vcc_lo, exec_lo, s42
	s_cbranch_execz .LBB47_2086
; %bb.2085:                             ;   in Loop: Header=BB47_17 Depth=1
	flat_load_b64 v[0:1], v[0:1]
	s_waitcnt vmcnt(0) lgkmcnt(0)
	v_xor_b32_e32 v14, v0, v1
	v_cls_i32_e32 v16, v1
	s_delay_alu instid0(VALU_DEP_2) | instskip(NEXT) | instid1(VALU_DEP_2)
	v_ashrrev_i32_e32 v14, 31, v14
	v_add_nc_u32_e32 v16, -1, v16
	s_delay_alu instid0(VALU_DEP_2) | instskip(NEXT) | instid1(VALU_DEP_1)
	v_add_nc_u32_e32 v14, 32, v14
	v_min_u32_e32 v14, v16, v14
	s_delay_alu instid0(VALU_DEP_1) | instskip(NEXT) | instid1(VALU_DEP_1)
	v_lshlrev_b64 v[0:1], v14, v[0:1]
	v_min_u32_e32 v0, 1, v0
	s_delay_alu instid0(VALU_DEP_1) | instskip(SKIP_1) | instid1(VALU_DEP_2)
	v_or_b32_e32 v0, v1, v0
	v_sub_nc_u32_e32 v1, 32, v14
	v_cvt_f32_i32_e32 v0, v0
	s_delay_alu instid0(VALU_DEP_1)
	v_ldexp_f32 v16, v0, v1
                                        ; implicit-def: $vgpr0_vgpr1
.LBB47_2086:                            ;   in Loop: Header=BB47_17 Depth=1
	s_and_not1_saveexec_b32 vcc_lo, vcc_lo
	s_cbranch_execz .LBB47_2088
; %bb.2087:                             ;   in Loop: Header=BB47_17 Depth=1
	flat_load_b32 v0, v[0:1]
	s_waitcnt vmcnt(0) lgkmcnt(0)
	v_cvt_f32_i32_e32 v16, v0
.LBB47_2088:                            ;   in Loop: Header=BB47_17 Depth=1
	s_or_b32 exec_lo, exec_lo, vcc_lo
                                        ; implicit-def: $vgpr0_vgpr1
.LBB47_2089:                            ;   in Loop: Header=BB47_17 Depth=1
	s_and_not1_saveexec_b32 vcc_lo, s41
	s_cbranch_execz .LBB47_2091
; %bb.2090:                             ;   in Loop: Header=BB47_17 Depth=1
	flat_load_i16 v0, v[0:1]
	s_waitcnt vmcnt(0) lgkmcnt(0)
	v_cvt_f32_i32_e32 v16, v0
.LBB47_2091:                            ;   in Loop: Header=BB47_17 Depth=1
	s_or_b32 exec_lo, exec_lo, vcc_lo
                                        ; implicit-def: $vgpr0_vgpr1
.LBB47_2092:                            ;   in Loop: Header=BB47_17 Depth=1
	s_and_not1_saveexec_b32 s40, s40
	s_cbranch_execz .LBB47_2098
; %bb.2093:                             ;   in Loop: Header=BB47_17 Depth=1
	v_cmp_lt_i16_e32 vcc_lo, 0, v7
                                        ; implicit-def: $vgpr16
	s_and_saveexec_b32 s41, vcc_lo
	s_delay_alu instid0(SALU_CYCLE_1)
	s_xor_b32 vcc_lo, exec_lo, s41
	s_cbranch_execz .LBB47_2095
; %bb.2094:                             ;   in Loop: Header=BB47_17 Depth=1
	flat_load_i8 v0, v[0:1]
	s_waitcnt vmcnt(0) lgkmcnt(0)
	v_cvt_f32_i32_e32 v16, v0
                                        ; implicit-def: $vgpr0_vgpr1
.LBB47_2095:                            ;   in Loop: Header=BB47_17 Depth=1
	s_and_not1_saveexec_b32 vcc_lo, vcc_lo
	s_cbranch_execz .LBB47_2097
; %bb.2096:                             ;   in Loop: Header=BB47_17 Depth=1
	flat_load_u8 v0, v[0:1]
	s_waitcnt vmcnt(0) lgkmcnt(0)
	v_cvt_f32_ubyte0_e32 v16, v0
.LBB47_2097:                            ;   in Loop: Header=BB47_17 Depth=1
	s_or_b32 exec_lo, exec_lo, vcc_lo
.LBB47_2098:                            ;   in Loop: Header=BB47_17 Depth=1
	s_delay_alu instid0(SALU_CYCLE_1)
	s_or_b32 exec_lo, exec_lo, s40
.LBB47_2099:                            ;   in Loop: Header=BB47_17 Depth=1
	s_delay_alu instid0(SALU_CYCLE_1) | instskip(NEXT) | instid1(SALU_CYCLE_1)
	s_or_b32 exec_lo, exec_lo, s39
	s_and_not1_b32 s34, s34, exec_lo
	s_and_not1_b32 s31, s31, exec_lo
	s_or_b32 s38, s38, exec_lo
	s_or_b32 exec_lo, exec_lo, s37
	s_mov_b32 vcc_lo, 0
	s_and_saveexec_b32 s37, s38
	s_cbranch_execz .LBB47_2105
.LBB47_2100:                            ;   in Loop: Header=BB47_17 Depth=1
	v_add_nc_u32_e64 v14, s1, s33
	s_mov_b32 s41, 0
	s_mov_b32 s38, exec_lo
                                        ; implicit-def: $sgpr39
                                        ; implicit-def: $sgpr40
	s_delay_alu instid0(VALU_DEP_1) | instskip(SKIP_4) | instid1(VALU_DEP_2)
	v_add_nc_u32_e32 v0, 0x4c, v14
	s_waitcnt vmcnt(0) lgkmcnt(0)
	scratch_store_b32 v0, v16, off
	v_mul_lo_u32 v0, v15, v10
	v_and_b32_e32 v16, 0xff, v8
                                        ; implicit-def: $vgpr15
	v_add_co_u32 v0, vcc_lo, v4, v0
	v_add_co_ci_u32_e32 v1, vcc_lo, 0, v5, vcc_lo
	s_delay_alu instid0(VALU_DEP_3)
	v_cmpx_lt_i16_e32 10, v16
	s_xor_b32 s38, exec_lo, s38
	s_cbranch_execnz .LBB47_2127
; %bb.2101:                             ;   in Loop: Header=BB47_17 Depth=1
	s_and_not1_saveexec_b32 s38, s38
	s_cbranch_execnz .LBB47_2186
.LBB47_2102:                            ;   in Loop: Header=BB47_17 Depth=1
	s_or_b32 exec_lo, exec_lo, s38
	s_mov_b32 vcc_lo, 0
	s_and_saveexec_b32 s38, s41
	s_cbranch_execz .LBB47_2104
.LBB47_2103:                            ;   in Loop: Header=BB47_17 Depth=1
	v_add_nc_u32_e32 v0, 0x48, v14
	v_add_nc_u32_e32 v13, 0x200, v13
	s_mov_b32 vcc_lo, exec_lo
	s_and_not1_b32 s40, s40, exec_lo
	s_and_not1_b32 s39, s39, exec_lo
	s_waitcnt vmcnt(0) lgkmcnt(0)
	scratch_store_b32 v0, v15, off
.LBB47_2104:                            ;   in Loop: Header=BB47_17 Depth=1
	s_or_b32 exec_lo, exec_lo, s38
	s_delay_alu instid0(SALU_CYCLE_1)
	s_and_not1_b32 s34, s34, exec_lo
	s_and_b32 s38, s40, exec_lo
	s_and_not1_b32 s31, s31, exec_lo
	s_and_b32 s39, s39, exec_lo
	s_or_b32 s34, s34, s38
	s_or_b32 s31, s31, s39
	s_and_b32 vcc_lo, vcc_lo, exec_lo
.LBB47_2105:                            ;   in Loop: Header=BB47_17 Depth=1
	s_or_b32 exec_lo, exec_lo, s37
	s_delay_alu instid0(SALU_CYCLE_1)
	s_and_b32 s34, s34, exec_lo
	s_and_b32 s31, s31, exec_lo
	s_or_not1_b32 s37, vcc_lo, exec_lo
.LBB47_2106:                            ;   in Loop: Header=BB47_17 Depth=1
	s_or_b32 exec_lo, exec_lo, s35
	s_and_saveexec_b32 s35, s37
	s_cbranch_execz .LBB47_7
; %bb.2107:                             ;   in Loop: Header=BB47_17 Depth=1
	s_mov_b32 s39, -1
	s_mov_b32 s40, -1
	s_mov_b32 s38, exec_lo
                                        ; implicit-def: $sgpr36
                                        ; implicit-def: $sgpr37
	v_cmpx_lt_i32_e64 v13, v6
	s_cbranch_execz .LBB47_2333
; %bb.2108:                             ;   in Loop: Header=BB47_17 Depth=1
	s_waitcnt vmcnt(0) lgkmcnt(0)
	v_add_nc_u32_e32 v15, s11, v13
	s_mov_b32 s41, 0
	s_mov_b32 s40, exec_lo
                                        ; implicit-def: $sgpr36
                                        ; implicit-def: $sgpr37
                                        ; implicit-def: $vgpr16
	s_delay_alu instid0(VALU_DEP_1) | instskip(NEXT) | instid1(VALU_DEP_1)
	v_mul_lo_u32 v0, v15, v9
	v_add_co_u32 v0, vcc_lo, v2, v0
	v_add_co_ci_u32_e32 v1, vcc_lo, 0, v3, vcc_lo
	v_cmpx_lt_i16_e32 10, v7
	s_xor_b32 s40, exec_lo, s40
	s_cbranch_execnz .LBB47_2227
; %bb.2109:                             ;   in Loop: Header=BB47_17 Depth=1
	s_and_not1_saveexec_b32 s40, s40
	s_cbranch_execnz .LBB47_2286
.LBB47_2110:                            ;   in Loop: Header=BB47_17 Depth=1
	s_or_b32 exec_lo, exec_lo, s40
	s_mov_b32 vcc_lo, 0
	s_and_saveexec_b32 s40, s41
	s_cbranch_execnz .LBB47_2327
	s_branch .LBB47_2332
.LBB47_2111:                            ;   in Loop: Header=BB47_17 Depth=1
	s_mov_b32 vcc_hi, -1
	s_mov_b32 s34, exec_lo
                                        ; implicit-def: $sgpr30
	v_cmpx_eq_u16_e32 0x80, v0
; %bb.2112:                             ;   in Loop: Header=BB47_17 Depth=1
	s_mov_b32 s30, 0x7f800001
	s_xor_b32 vcc_hi, exec_lo, -1
; %bb.2113:                             ;   in Loop: Header=BB47_17 Depth=1
	s_or_b32 exec_lo, exec_lo, s34
	s_delay_alu instid0(SALU_CYCLE_1)
	s_and_b32 vcc_hi, vcc_hi, exec_lo
	s_or_saveexec_b32 s31, s31
	v_mov_b32_e32 v15, s30
	s_xor_b32 exec_lo, exec_lo, s31
	s_cbranch_execz .LBB47_1030
.LBB47_2114:                            ;   in Loop: Header=BB47_17 Depth=1
	v_cmp_ne_u16_e32 vcc_lo, 0, v0
	v_mov_b32_e32 v15, 0
	s_and_not1_b32 vcc_hi, vcc_hi, exec_lo
	s_and_b32 vcc_lo, vcc_lo, exec_lo
	s_delay_alu instid0(SALU_CYCLE_1)
	s_or_b32 vcc_hi, vcc_hi, vcc_lo
	s_or_b32 exec_lo, exec_lo, s31
	s_and_saveexec_b32 s30, vcc_hi
	s_cbranch_execnz .LBB47_1031
	s_branch .LBB47_1032
.LBB47_2115:                            ;   in Loop: Header=BB47_17 Depth=1
	s_mov_b32 vcc_hi, -1
	s_mov_b32 s34, exec_lo
                                        ; implicit-def: $sgpr30
	v_cmpx_eq_u16_e32 0x80, v0
; %bb.2116:                             ;   in Loop: Header=BB47_17 Depth=1
	s_mov_b32 s30, 0x7f800001
	s_xor_b32 vcc_hi, exec_lo, -1
; %bb.2117:                             ;   in Loop: Header=BB47_17 Depth=1
	s_or_b32 exec_lo, exec_lo, s34
	s_delay_alu instid0(SALU_CYCLE_1)
	s_and_b32 vcc_hi, vcc_hi, exec_lo
	s_or_saveexec_b32 s31, s31
	v_mov_b32_e32 v16, s30
	s_xor_b32 exec_lo, exec_lo, s31
	s_cbranch_execz .LBB47_1130
.LBB47_2118:                            ;   in Loop: Header=BB47_17 Depth=1
	v_cmp_ne_u16_e32 vcc_lo, 0, v0
	v_mov_b32_e32 v16, 0
	s_and_not1_b32 vcc_hi, vcc_hi, exec_lo
	s_and_b32 vcc_lo, vcc_lo, exec_lo
	s_delay_alu instid0(SALU_CYCLE_1)
	s_or_b32 vcc_hi, vcc_hi, vcc_lo
	s_or_b32 exec_lo, exec_lo, s31
	s_and_saveexec_b32 s30, vcc_hi
	s_cbranch_execnz .LBB47_1131
	s_branch .LBB47_1132
.LBB47_2119:                            ;   in Loop: Header=BB47_17 Depth=1
	s_mov_b32 s31, -1
	s_mov_b32 s36, exec_lo
                                        ; implicit-def: $sgpr34
	v_cmpx_eq_u16_e32 0x80, v0
; %bb.2120:                             ;   in Loop: Header=BB47_17 Depth=1
	s_mov_b32 s34, 0x7f800001
	s_xor_b32 s31, exec_lo, -1
; %bb.2121:                             ;   in Loop: Header=BB47_17 Depth=1
	s_or_b32 exec_lo, exec_lo, s36
	s_delay_alu instid0(SALU_CYCLE_1)
	s_and_b32 s31, s31, exec_lo
	s_or_saveexec_b32 s35, s35
	v_mov_b32_e32 v15, s34
	s_xor_b32 exec_lo, exec_lo, s35
	s_cbranch_execz .LBB47_1246
.LBB47_2122:                            ;   in Loop: Header=BB47_17 Depth=1
	v_cmp_ne_u16_e32 vcc_lo, 0, v0
	v_mov_b32_e32 v15, 0
	s_and_not1_b32 s31, s31, exec_lo
	s_and_b32 vcc_lo, vcc_lo, exec_lo
	s_delay_alu instid0(SALU_CYCLE_1)
	s_or_b32 s31, s31, vcc_lo
	s_or_b32 exec_lo, exec_lo, s35
	s_and_saveexec_b32 s34, s31
	s_cbranch_execnz .LBB47_1247
	s_branch .LBB47_1248
.LBB47_2123:                            ;   in Loop: Header=BB47_17 Depth=1
	s_mov_b32 s31, -1
	s_mov_b32 s36, exec_lo
                                        ; implicit-def: $sgpr34
	v_cmpx_eq_u16_e32 0x80, v0
; %bb.2124:                             ;   in Loop: Header=BB47_17 Depth=1
	s_mov_b32 s34, 0x7f800001
	s_xor_b32 s31, exec_lo, -1
; %bb.2125:                             ;   in Loop: Header=BB47_17 Depth=1
	s_or_b32 exec_lo, exec_lo, s36
	s_delay_alu instid0(SALU_CYCLE_1)
	s_and_b32 s31, s31, exec_lo
	s_or_saveexec_b32 s35, s35
	v_mov_b32_e32 v16, s34
	s_xor_b32 exec_lo, exec_lo, s35
	s_cbranch_execz .LBB47_1346
.LBB47_2126:                            ;   in Loop: Header=BB47_17 Depth=1
	v_cmp_ne_u16_e32 vcc_lo, 0, v0
	v_mov_b32_e32 v16, 0
	s_and_not1_b32 s31, s31, exec_lo
	s_and_b32 vcc_lo, vcc_lo, exec_lo
	s_delay_alu instid0(SALU_CYCLE_1)
	s_or_b32 s31, s31, vcc_lo
	s_or_b32 exec_lo, exec_lo, s35
	s_and_saveexec_b32 s34, s31
	s_cbranch_execnz .LBB47_1347
	s_branch .LBB47_1348
.LBB47_2127:                            ;   in Loop: Header=BB47_17 Depth=1
	s_mov_b32 s39, exec_lo
                                        ; implicit-def: $sgpr42
                                        ; implicit-def: $sgpr40
                                        ; implicit-def: $vgpr15
	v_cmpx_lt_i16_e32 25, v16
	s_xor_b32 s39, exec_lo, s39
	s_cbranch_execz .LBB47_2159
; %bb.2128:                             ;   in Loop: Header=BB47_17 Depth=1
	s_mov_b32 s40, exec_lo
                                        ; implicit-def: $sgpr42
                                        ; implicit-def: $sgpr43
                                        ; implicit-def: $vgpr15
	v_cmpx_lt_i16_e32 28, v16
	s_xor_b32 s40, exec_lo, s40
	s_cbranch_execz .LBB47_2144
; %bb.2129:                             ;   in Loop: Header=BB47_17 Depth=1
	s_mov_b32 s44, 0
	s_mov_b32 s41, exec_lo
                                        ; implicit-def: $sgpr42
                                        ; implicit-def: $sgpr43
                                        ; implicit-def: $vgpr15
	v_cmpx_lt_i16_e32 43, v16
	s_xor_b32 s41, exec_lo, s41
	s_cbranch_execz .LBB47_2139
; %bb.2130:                             ;   in Loop: Header=BB47_17 Depth=1
	s_mov_b32 s45, exec_lo
                                        ; implicit-def: $sgpr43
                                        ; implicit-def: $sgpr42
                                        ; implicit-def: $vgpr15
	v_cmpx_lt_i16_e32 45, v16
	s_xor_b32 s45, exec_lo, s45
	s_cbranch_execz .LBB47_2134
; %bb.2131:                             ;   in Loop: Header=BB47_17 Depth=1
	s_mov_b32 s42, 0
	s_mov_b32 s43, exec_lo
                                        ; implicit-def: $vgpr15
	v_cmpx_eq_u16_e32 46, v16
	s_cbranch_execz .LBB47_2133
; %bb.2132:                             ;   in Loop: Header=BB47_17 Depth=1
	flat_load_b32 v0, v[0:1]
	s_mov_b32 s44, exec_lo
	s_waitcnt vmcnt(0) lgkmcnt(0)
	v_lshlrev_b32_e32 v15, 16, v0
.LBB47_2133:                            ;   in Loop: Header=BB47_17 Depth=1
	s_or_b32 exec_lo, exec_lo, s43
	s_mov_b32 s43, -1
	s_and_b32 s44, s44, exec_lo
                                        ; implicit-def: $vgpr16
                                        ; implicit-def: $vgpr0_vgpr1
.LBB47_2134:                            ;   in Loop: Header=BB47_17 Depth=1
	s_and_not1_saveexec_b32 s45, s45
	s_cbranch_execz .LBB47_2138
; %bb.2135:                             ;   in Loop: Header=BB47_17 Depth=1
	s_mov_b32 s47, s44
	s_mov_b32 s46, exec_lo
                                        ; implicit-def: $vgpr15
	v_cmpx_eq_u16_e32 44, v16
	s_cbranch_execz .LBB47_2137
; %bb.2136:                             ;   in Loop: Header=BB47_17 Depth=1
	flat_load_u8 v0, v[0:1]
	s_or_b32 s47, s44, exec_lo
	s_waitcnt vmcnt(0) lgkmcnt(0)
	v_lshlrev_b32_e32 v1, 23, v0
	v_cmp_ne_u32_e32 vcc_lo, 0xff, v0
	s_delay_alu instid0(VALU_DEP_2) | instskip(SKIP_1) | instid1(VALU_DEP_2)
	v_cndmask_b32_e32 v1, 0x7f800001, v1, vcc_lo
	v_cmp_ne_u32_e32 vcc_lo, 0, v0
	v_cndmask_b32_e32 v15, 0x400000, v1, vcc_lo
.LBB47_2137:                            ;   in Loop: Header=BB47_17 Depth=1
	s_or_b32 exec_lo, exec_lo, s46
	s_delay_alu instid0(SALU_CYCLE_1)
	s_and_not1_b32 vcc_lo, s44, exec_lo
	s_and_b32 s44, s47, exec_lo
	s_or_b32 s43, s43, exec_lo
	s_and_not1_b32 s42, s42, exec_lo
	s_or_b32 s44, vcc_lo, s44
.LBB47_2138:                            ;   in Loop: Header=BB47_17 Depth=1
	s_or_b32 exec_lo, exec_lo, s45
	s_delay_alu instid0(SALU_CYCLE_1)
	s_and_b32 s43, s43, exec_lo
	s_and_b32 s42, s42, exec_lo
	;; [unrolled: 1-line block ×3, first 2 shown]
                                        ; implicit-def: $vgpr16
                                        ; implicit-def: $vgpr0_vgpr1
.LBB47_2139:                            ;   in Loop: Header=BB47_17 Depth=1
	s_and_not1_saveexec_b32 s41, s41
	s_cbranch_execz .LBB47_2143
; %bb.2140:                             ;   in Loop: Header=BB47_17 Depth=1
	s_mov_b32 s46, s44
	s_mov_b32 s45, exec_lo
                                        ; implicit-def: $vgpr15
	v_cmpx_eq_u16_e32 29, v16
	s_cbranch_execz .LBB47_2142
; %bb.2141:                             ;   in Loop: Header=BB47_17 Depth=1
	flat_load_b64 v[0:1], v[0:1]
	s_or_b32 s46, s44, exec_lo
	s_waitcnt vmcnt(0) lgkmcnt(0)
	v_clz_i32_u32_e32 v15, v1
	s_delay_alu instid0(VALU_DEP_1) | instskip(NEXT) | instid1(VALU_DEP_1)
	v_min_u32_e32 v15, 32, v15
	v_lshlrev_b64 v[0:1], v15, v[0:1]
	s_delay_alu instid0(VALU_DEP_1) | instskip(NEXT) | instid1(VALU_DEP_1)
	v_min_u32_e32 v0, 1, v0
	v_or_b32_e32 v0, v1, v0
	v_sub_nc_u32_e32 v1, 32, v15
	s_delay_alu instid0(VALU_DEP_2) | instskip(NEXT) | instid1(VALU_DEP_1)
	v_cvt_f32_u32_e32 v0, v0
	v_ldexp_f32 v15, v0, v1
.LBB47_2142:                            ;   in Loop: Header=BB47_17 Depth=1
	s_or_b32 exec_lo, exec_lo, s45
	s_delay_alu instid0(SALU_CYCLE_1)
	s_and_not1_b32 vcc_lo, s44, exec_lo
	s_and_b32 s44, s46, exec_lo
	s_or_b32 s43, s43, exec_lo
	s_and_not1_b32 s42, s42, exec_lo
	s_or_b32 s44, vcc_lo, s44
.LBB47_2143:                            ;   in Loop: Header=BB47_17 Depth=1
	s_or_b32 exec_lo, exec_lo, s41
	s_delay_alu instid0(SALU_CYCLE_1)
	s_and_b32 s43, s43, exec_lo
	s_and_b32 s42, s42, exec_lo
	;; [unrolled: 1-line block ×3, first 2 shown]
                                        ; implicit-def: $vgpr16
                                        ; implicit-def: $vgpr0_vgpr1
.LBB47_2144:                            ;   in Loop: Header=BB47_17 Depth=1
	s_and_not1_saveexec_b32 s40, s40
	s_cbranch_execz .LBB47_2158
; %bb.2145:                             ;   in Loop: Header=BB47_17 Depth=1
	s_mov_b32 s44, exec_lo
                                        ; implicit-def: $vgpr15
	v_cmpx_lt_i16_e32 26, v16
	s_xor_b32 s44, exec_lo, s44
	s_cbranch_execz .LBB47_2151
; %bb.2146:                             ;   in Loop: Header=BB47_17 Depth=1
	v_cmp_lt_i16_e32 vcc_lo, 27, v16
                                        ; implicit-def: $vgpr15
	s_and_saveexec_b32 s45, vcc_lo
	s_delay_alu instid0(SALU_CYCLE_1)
	s_xor_b32 vcc_lo, exec_lo, s45
	s_cbranch_execz .LBB47_2148
; %bb.2147:                             ;   in Loop: Header=BB47_17 Depth=1
	flat_load_b32 v0, v[0:1]
	s_waitcnt vmcnt(0) lgkmcnt(0)
	v_cvt_f32_u32_e32 v15, v0
                                        ; implicit-def: $vgpr0_vgpr1
.LBB47_2148:                            ;   in Loop: Header=BB47_17 Depth=1
	s_and_not1_saveexec_b32 vcc_lo, vcc_lo
	s_cbranch_execz .LBB47_2150
; %bb.2149:                             ;   in Loop: Header=BB47_17 Depth=1
	flat_load_u16 v0, v[0:1]
	s_waitcnt vmcnt(0) lgkmcnt(0)
	v_cvt_f32_u32_e32 v15, v0
.LBB47_2150:                            ;   in Loop: Header=BB47_17 Depth=1
	s_or_b32 exec_lo, exec_lo, vcc_lo
                                        ; implicit-def: $vgpr0_vgpr1
.LBB47_2151:                            ;   in Loop: Header=BB47_17 Depth=1
	s_and_not1_saveexec_b32 s44, s44
	s_cbranch_execz .LBB47_2157
; %bb.2152:                             ;   in Loop: Header=BB47_17 Depth=1
	flat_load_u8 v0, v[0:1]
	s_mov_b32 s45, 0
	s_mov_b32 s47, exec_lo
                                        ; implicit-def: $sgpr46
	s_waitcnt vmcnt(0) lgkmcnt(0)
	v_cmpx_lt_i16_e32 0x7f, v0
	s_xor_b32 s47, exec_lo, s47
	s_cbranch_execnz .LBB47_3027
; %bb.2153:                             ;   in Loop: Header=BB47_17 Depth=1
	s_or_saveexec_b32 s47, s47
	v_mov_b32_e32 v15, s46
	s_xor_b32 exec_lo, exec_lo, s47
	s_cbranch_execnz .LBB47_3030
.LBB47_2154:                            ;   in Loop: Header=BB47_17 Depth=1
	s_or_b32 exec_lo, exec_lo, s47
	s_and_saveexec_b32 s46, s45
	s_cbranch_execz .LBB47_2156
.LBB47_2155:                            ;   in Loop: Header=BB47_17 Depth=1
	v_and_b32_e32 v1, 0xffff, v0
	s_delay_alu instid0(VALU_DEP_1) | instskip(NEXT) | instid1(VALU_DEP_1)
	v_and_b32_e32 v15, 7, v1
	v_clz_i32_u32_e32 v16, v15
	s_delay_alu instid0(VALU_DEP_1) | instskip(NEXT) | instid1(VALU_DEP_1)
	v_min_u32_e32 v16, 32, v16
	v_subrev_nc_u32_e32 v17, 28, v16
	v_sub_nc_u32_e32 v16, 29, v16
	s_delay_alu instid0(VALU_DEP_2) | instskip(SKIP_1) | instid1(VALU_DEP_2)
	v_lshlrev_b32_e32 v17, v17, v1
	v_bfe_u32 v1, v1, 3, 4
	v_and_b32_e32 v17, 7, v17
	s_delay_alu instid0(VALU_DEP_2) | instskip(NEXT) | instid1(VALU_DEP_2)
	v_cmp_eq_u32_e32 vcc_lo, 0, v1
	v_dual_cndmask_b32 v15, v15, v17 :: v_dual_lshlrev_b32 v0, 24, v0
	v_cndmask_b32_e32 v1, v1, v16, vcc_lo
	s_delay_alu instid0(VALU_DEP_2) | instskip(NEXT) | instid1(VALU_DEP_3)
	v_and_b32_e32 v0, 0x80000000, v0
	v_lshlrev_b32_e32 v15, 20, v15
	s_delay_alu instid0(VALU_DEP_3) | instskip(NEXT) | instid1(VALU_DEP_1)
	v_lshl_add_u32 v1, v1, 23, 0x3b800000
	v_or3_b32 v15, v0, v1, v15
.LBB47_2156:                            ;   in Loop: Header=BB47_17 Depth=1
	s_or_b32 exec_lo, exec_lo, s46
.LBB47_2157:                            ;   in Loop: Header=BB47_17 Depth=1
	s_delay_alu instid0(SALU_CYCLE_1) | instskip(NEXT) | instid1(SALU_CYCLE_1)
	s_or_b32 exec_lo, exec_lo, s44
	s_and_not1_b32 s43, s43, exec_lo
	s_and_not1_b32 s42, s42, exec_lo
	s_or_b32 s41, s41, exec_lo
.LBB47_2158:                            ;   in Loop: Header=BB47_17 Depth=1
	s_or_b32 exec_lo, exec_lo, s40
	s_delay_alu instid0(SALU_CYCLE_1)
	s_and_b32 s40, s43, exec_lo
	s_and_b32 s42, s42, exec_lo
	s_and_b32 s41, s41, exec_lo
                                        ; implicit-def: $vgpr16
                                        ; implicit-def: $vgpr0_vgpr1
.LBB47_2159:                            ;   in Loop: Header=BB47_17 Depth=1
	s_and_not1_saveexec_b32 s39, s39
	s_cbranch_execz .LBB47_2185
; %bb.2160:                             ;   in Loop: Header=BB47_17 Depth=1
	s_mov_b32 s44, s41
	s_mov_b32 s43, exec_lo
                                        ; implicit-def: $vgpr15
	v_cmpx_lt_i16_e32 22, v16
	s_xor_b32 s43, exec_lo, s43
	s_cbranch_execz .LBB47_2174
; %bb.2161:                             ;   in Loop: Header=BB47_17 Depth=1
	s_mov_b32 s44, exec_lo
                                        ; implicit-def: $vgpr15
	v_cmpx_lt_i16_e32 23, v16
	s_xor_b32 s44, exec_lo, s44
	s_cbranch_execz .LBB47_2171
; %bb.2162:                             ;   in Loop: Header=BB47_17 Depth=1
	;; [unrolled: 6-line block ×3, first 2 shown]
	flat_load_u8 v0, v[0:1]
	s_mov_b32 s46, 0
	s_mov_b32 s48, exec_lo
                                        ; implicit-def: $sgpr47
	s_waitcnt vmcnt(0) lgkmcnt(0)
	v_cmpx_lt_i16_e32 0x7f, v0
	s_xor_b32 s48, exec_lo, s48
	s_cbranch_execnz .LBB47_3246
; %bb.2164:                             ;   in Loop: Header=BB47_17 Depth=1
	s_or_saveexec_b32 s48, s48
	v_mov_b32_e32 v15, s47
	s_xor_b32 exec_lo, exec_lo, s48
	s_cbranch_execnz .LBB47_3249
.LBB47_2165:                            ;   in Loop: Header=BB47_17 Depth=1
	s_or_b32 exec_lo, exec_lo, s48
	s_and_saveexec_b32 s47, s46
	s_cbranch_execz .LBB47_2167
.LBB47_2166:                            ;   in Loop: Header=BB47_17 Depth=1
	v_and_b32_e32 v1, 0xffff, v0
	s_delay_alu instid0(VALU_DEP_1) | instskip(NEXT) | instid1(VALU_DEP_1)
	v_and_b32_e32 v15, 3, v1
	v_clz_i32_u32_e32 v16, v15
	s_delay_alu instid0(VALU_DEP_1) | instskip(NEXT) | instid1(VALU_DEP_1)
	v_min_u32_e32 v16, 32, v16
	v_subrev_nc_u32_e32 v17, 29, v16
	v_sub_nc_u32_e32 v16, 30, v16
	s_delay_alu instid0(VALU_DEP_2) | instskip(SKIP_1) | instid1(VALU_DEP_2)
	v_lshlrev_b32_e32 v17, v17, v1
	v_bfe_u32 v1, v1, 2, 5
	v_and_b32_e32 v17, 3, v17
	s_delay_alu instid0(VALU_DEP_2) | instskip(NEXT) | instid1(VALU_DEP_2)
	v_cmp_eq_u32_e32 vcc_lo, 0, v1
	v_dual_cndmask_b32 v15, v15, v17 :: v_dual_lshlrev_b32 v0, 24, v0
	v_cndmask_b32_e32 v1, v1, v16, vcc_lo
	s_delay_alu instid0(VALU_DEP_2) | instskip(NEXT) | instid1(VALU_DEP_3)
	v_and_b32_e32 v0, 0x80000000, v0
	v_lshlrev_b32_e32 v15, 21, v15
	s_delay_alu instid0(VALU_DEP_3) | instskip(NEXT) | instid1(VALU_DEP_1)
	v_lshl_add_u32 v1, v1, 23, 0x37800000
	v_or3_b32 v15, v0, v1, v15
.LBB47_2167:                            ;   in Loop: Header=BB47_17 Depth=1
	s_or_b32 exec_lo, exec_lo, s47
                                        ; implicit-def: $vgpr0_vgpr1
.LBB47_2168:                            ;   in Loop: Header=BB47_17 Depth=1
	s_and_not1_saveexec_b32 s45, s45
	s_cbranch_execz .LBB47_2170
; %bb.2169:                             ;   in Loop: Header=BB47_17 Depth=1
	flat_load_u8 v0, v[0:1]
	s_waitcnt vmcnt(0) lgkmcnt(0)
	v_lshlrev_b32_e32 v0, 24, v0
	s_delay_alu instid0(VALU_DEP_1) | instskip(NEXT) | instid1(VALU_DEP_1)
	v_and_b32_e32 v1, 0x7f000000, v0
	v_clz_i32_u32_e32 v15, v1
	v_add_nc_u32_e32 v17, 0x1000000, v1
	v_cmp_ne_u32_e32 vcc_lo, 0, v1
	s_delay_alu instid0(VALU_DEP_3) | instskip(NEXT) | instid1(VALU_DEP_1)
	v_min_u32_e32 v15, 32, v15
	v_sub_nc_u32_e64 v15, v15, 4 clamp
	s_delay_alu instid0(VALU_DEP_1) | instskip(SKIP_1) | instid1(VALU_DEP_2)
	v_lshlrev_b32_e32 v16, v15, v1
	v_lshlrev_b32_e32 v15, 23, v15
	v_lshrrev_b32_e32 v16, 4, v16
	s_delay_alu instid0(VALU_DEP_1) | instskip(SKIP_1) | instid1(VALU_DEP_2)
	v_sub_nc_u32_e32 v15, v16, v15
	v_ashrrev_i32_e32 v16, 8, v17
	v_add_nc_u32_e32 v15, 0x3c000000, v15
	s_delay_alu instid0(VALU_DEP_1) | instskip(NEXT) | instid1(VALU_DEP_1)
	v_and_or_b32 v15, 0x7f800000, v16, v15
	v_cndmask_b32_e32 v1, 0, v15, vcc_lo
	s_delay_alu instid0(VALU_DEP_1)
	v_and_or_b32 v15, 0x80000000, v0, v1
.LBB47_2170:                            ;   in Loop: Header=BB47_17 Depth=1
	s_or_b32 exec_lo, exec_lo, s45
                                        ; implicit-def: $vgpr0_vgpr1
.LBB47_2171:                            ;   in Loop: Header=BB47_17 Depth=1
	s_and_not1_saveexec_b32 s44, s44
	s_cbranch_execz .LBB47_2173
; %bb.2172:                             ;   in Loop: Header=BB47_17 Depth=1
	flat_load_u8 v0, v[0:1]
	s_waitcnt vmcnt(0) lgkmcnt(0)
	v_lshlrev_b32_e32 v1, 25, v0
	v_lshlrev_b16 v0, 8, v0
	s_delay_alu instid0(VALU_DEP_2) | instskip(NEXT) | instid1(VALU_DEP_2)
	v_lshrrev_b32_e32 v15, 4, v1
	v_and_or_b32 v16, 0x7f00, v0, 0.5
	v_cmp_gt_u32_e32 vcc_lo, 0x8000000, v1
	v_bfe_i32 v0, v0, 0, 16
	s_delay_alu instid0(VALU_DEP_4) | instskip(NEXT) | instid1(VALU_DEP_1)
	v_or_b32_e32 v15, 0x70000000, v15
	v_dual_add_f32 v16, -0.5, v16 :: v_dual_mul_f32 v15, 0x7800000, v15
	s_delay_alu instid0(VALU_DEP_1) | instskip(NEXT) | instid1(VALU_DEP_1)
	v_cndmask_b32_e32 v1, v15, v16, vcc_lo
	v_and_or_b32 v15, 0x80000000, v0, v1
.LBB47_2173:                            ;   in Loop: Header=BB47_17 Depth=1
	s_or_b32 exec_lo, exec_lo, s44
	s_delay_alu instid0(SALU_CYCLE_1)
	s_or_b32 s44, s41, exec_lo
                                        ; implicit-def: $vgpr16
                                        ; implicit-def: $vgpr0_vgpr1
.LBB47_2174:                            ;   in Loop: Header=BB47_17 Depth=1
	s_or_saveexec_b32 s43, s43
                                        ; implicit-def: $sgpr45
                                        ; implicit-def: $vcc_lo
	s_delay_alu instid0(SALU_CYCLE_1)
	s_xor_b32 exec_lo, exec_lo, s43
	s_cbranch_execz .LBB47_2184
; %bb.2175:                             ;   in Loop: Header=BB47_17 Depth=1
	s_mov_b32 s46, s44
	s_mov_b32 s48, exec_lo
                                        ; implicit-def: $sgpr47
                                        ; implicit-def: $sgpr45
                                        ; implicit-def: $vgpr15
	v_cmpx_lt_i16_e32 14, v16
	s_xor_b32 s48, exec_lo, s48
	s_cbranch_execz .LBB47_2179
; %bb.2176:                             ;   in Loop: Header=BB47_17 Depth=1
	s_mov_b32 s46, s44
	s_mov_b32 s45, exec_lo
                                        ; implicit-def: $vgpr15
	v_cmpx_eq_u16_e32 15, v16
	s_cbranch_execz .LBB47_2178
; %bb.2177:                             ;   in Loop: Header=BB47_17 Depth=1
	flat_load_u16 v0, v[0:1]
	s_or_b32 s46, s44, exec_lo
	s_waitcnt vmcnt(0) lgkmcnt(0)
	v_lshlrev_b32_e32 v15, 16, v0
.LBB47_2178:                            ;   in Loop: Header=BB47_17 Depth=1
	s_or_b32 exec_lo, exec_lo, s45
	s_delay_alu instid0(SALU_CYCLE_1)
	s_and_not1_b32 vcc_lo, s44, exec_lo
	s_and_b32 s46, s46, exec_lo
	s_mov_b32 s45, 0
	s_mov_b32 s47, -1
	s_or_b32 s46, vcc_lo, s46
                                        ; implicit-def: $vgpr16
                                        ; implicit-def: $vgpr0_vgpr1
.LBB47_2179:                            ;   in Loop: Header=BB47_17 Depth=1
	s_and_not1_saveexec_b32 s48, s48
	s_cbranch_execz .LBB47_2183
; %bb.2180:                             ;   in Loop: Header=BB47_17 Depth=1
	s_mov_b32 s49, s46
	s_mov_b32 s50, exec_lo
                                        ; implicit-def: $vgpr15
	v_cmpx_eq_u16_e32 11, v16
	s_cbranch_execz .LBB47_2182
; %bb.2181:                             ;   in Loop: Header=BB47_17 Depth=1
	flat_load_u8 v0, v[0:1]
	s_or_b32 s49, s46, exec_lo
	s_waitcnt vmcnt(0) lgkmcnt(0)
	v_cmp_ne_u16_e32 vcc_lo, 0, v0
	v_cndmask_b32_e64 v15, 0, 1.0, vcc_lo
.LBB47_2182:                            ;   in Loop: Header=BB47_17 Depth=1
	s_or_b32 exec_lo, exec_lo, s50
	s_delay_alu instid0(SALU_CYCLE_1)
	s_and_not1_b32 vcc_lo, s46, exec_lo
	s_and_b32 s46, s49, exec_lo
	s_or_b32 s47, s47, exec_lo
	s_and_not1_b32 s45, s45, exec_lo
	s_or_b32 s46, vcc_lo, s46
.LBB47_2183:                            ;   in Loop: Header=BB47_17 Depth=1
	s_or_b32 exec_lo, exec_lo, s48
	s_delay_alu instid0(SALU_CYCLE_1)
	s_and_not1_b32 s44, s44, exec_lo
	s_and_b32 s46, s46, exec_lo
	s_and_b32 vcc_lo, s47, exec_lo
	s_and_b32 s45, s45, exec_lo
	s_or_b32 s44, s44, s46
.LBB47_2184:                            ;   in Loop: Header=BB47_17 Depth=1
	s_or_b32 exec_lo, exec_lo, s43
	s_delay_alu instid0(SALU_CYCLE_1)
	s_and_not1_b32 s40, s40, exec_lo
	s_and_b32 vcc_lo, vcc_lo, exec_lo
	s_and_not1_b32 s41, s41, exec_lo
	s_or_b32 s40, s40, vcc_lo
	s_and_not1_b32 vcc_lo, s42, exec_lo
	s_and_b32 s42, s45, exec_lo
	s_and_b32 s43, s44, exec_lo
	s_or_b32 s42, vcc_lo, s42
	s_or_b32 s41, s41, s43
.LBB47_2185:                            ;   in Loop: Header=BB47_17 Depth=1
	s_or_b32 exec_lo, exec_lo, s39
	s_delay_alu instid0(SALU_CYCLE_1)
	s_and_b32 s40, s40, exec_lo
	s_and_b32 s39, s42, exec_lo
	;; [unrolled: 1-line block ×3, first 2 shown]
                                        ; implicit-def: $vgpr16
                                        ; implicit-def: $vgpr0_vgpr1
	s_and_not1_saveexec_b32 s38, s38
	s_cbranch_execz .LBB47_2102
.LBB47_2186:                            ;   in Loop: Header=BB47_17 Depth=1
	s_mov_b32 s42, exec_lo
                                        ; implicit-def: $vgpr15
	v_cmpx_lt_i16_e32 4, v16
	s_xor_b32 s42, exec_lo, s42
	s_cbranch_execz .LBB47_2208
; %bb.2187:                             ;   in Loop: Header=BB47_17 Depth=1
	s_mov_b32 s43, exec_lo
                                        ; implicit-def: $vgpr15
	v_cmpx_lt_i16_e32 7, v16
	s_xor_b32 s43, exec_lo, s43
	s_cbranch_execz .LBB47_2197
; %bb.2188:                             ;   in Loop: Header=BB47_17 Depth=1
	;; [unrolled: 6-line block ×3, first 2 shown]
	v_cmp_lt_i16_e32 vcc_lo, 9, v16
                                        ; implicit-def: $vgpr15
	s_and_saveexec_b32 s45, vcc_lo
	s_delay_alu instid0(SALU_CYCLE_1)
	s_xor_b32 vcc_lo, exec_lo, s45
	s_cbranch_execz .LBB47_2191
; %bb.2190:                             ;   in Loop: Header=BB47_17 Depth=1
	flat_load_b64 v[0:1], v[0:1]
	s_waitcnt vmcnt(0) lgkmcnt(0)
	v_cvt_f32_f64_e32 v15, v[0:1]
                                        ; implicit-def: $vgpr0_vgpr1
.LBB47_2191:                            ;   in Loop: Header=BB47_17 Depth=1
	s_and_not1_saveexec_b32 vcc_lo, vcc_lo
	s_cbranch_execz .LBB47_2193
; %bb.2192:                             ;   in Loop: Header=BB47_17 Depth=1
	flat_load_b32 v15, v[0:1]
.LBB47_2193:                            ;   in Loop: Header=BB47_17 Depth=1
	s_or_b32 exec_lo, exec_lo, vcc_lo
                                        ; implicit-def: $vgpr0_vgpr1
.LBB47_2194:                            ;   in Loop: Header=BB47_17 Depth=1
	s_and_not1_saveexec_b32 vcc_lo, s44
	s_cbranch_execz .LBB47_2196
; %bb.2195:                             ;   in Loop: Header=BB47_17 Depth=1
	flat_load_b32 v0, v[0:1]
	s_waitcnt vmcnt(0) lgkmcnt(0)
	v_cvt_f32_f16_e32 v15, v0
.LBB47_2196:                            ;   in Loop: Header=BB47_17 Depth=1
	s_or_b32 exec_lo, exec_lo, vcc_lo
                                        ; implicit-def: $vgpr0_vgpr1
                                        ; implicit-def: $vgpr16
.LBB47_2197:                            ;   in Loop: Header=BB47_17 Depth=1
	s_and_not1_saveexec_b32 s43, s43
	s_cbranch_execz .LBB47_2207
; %bb.2198:                             ;   in Loop: Header=BB47_17 Depth=1
	s_mov_b32 s44, exec_lo
                                        ; implicit-def: $vgpr15
	v_cmpx_lt_i16_e32 5, v16
	s_xor_b32 s44, exec_lo, s44
	s_cbranch_execz .LBB47_2204
; %bb.2199:                             ;   in Loop: Header=BB47_17 Depth=1
	v_cmp_lt_i16_e32 vcc_lo, 6, v16
                                        ; implicit-def: $vgpr15
	s_and_saveexec_b32 s45, vcc_lo
	s_delay_alu instid0(SALU_CYCLE_1)
	s_xor_b32 vcc_lo, exec_lo, s45
	s_cbranch_execz .LBB47_2201
; %bb.2200:                             ;   in Loop: Header=BB47_17 Depth=1
	flat_load_b64 v[0:1], v[0:1]
	s_waitcnt vmcnt(0) lgkmcnt(0)
	v_cvt_f32_f64_e32 v15, v[0:1]
                                        ; implicit-def: $vgpr0_vgpr1
.LBB47_2201:                            ;   in Loop: Header=BB47_17 Depth=1
	s_and_not1_saveexec_b32 vcc_lo, vcc_lo
	s_cbranch_execz .LBB47_2203
; %bb.2202:                             ;   in Loop: Header=BB47_17 Depth=1
	s_waitcnt vmcnt(0) lgkmcnt(0)
	flat_load_b32 v15, v[0:1]
.LBB47_2203:                            ;   in Loop: Header=BB47_17 Depth=1
	s_or_b32 exec_lo, exec_lo, vcc_lo
                                        ; implicit-def: $vgpr0_vgpr1
.LBB47_2204:                            ;   in Loop: Header=BB47_17 Depth=1
	s_and_not1_saveexec_b32 vcc_lo, s44
	s_cbranch_execz .LBB47_2206
; %bb.2205:                             ;   in Loop: Header=BB47_17 Depth=1
	flat_load_u16 v0, v[0:1]
	s_waitcnt vmcnt(0) lgkmcnt(0)
	v_cvt_f32_f16_e32 v15, v0
.LBB47_2206:                            ;   in Loop: Header=BB47_17 Depth=1
	s_or_b32 exec_lo, exec_lo, vcc_lo
.LBB47_2207:                            ;   in Loop: Header=BB47_17 Depth=1
	s_delay_alu instid0(SALU_CYCLE_1)
	s_or_b32 exec_lo, exec_lo, s43
                                        ; implicit-def: $vgpr16
                                        ; implicit-def: $vgpr0_vgpr1
.LBB47_2208:                            ;   in Loop: Header=BB47_17 Depth=1
	s_and_not1_saveexec_b32 s42, s42
	s_cbranch_execz .LBB47_2226
; %bb.2209:                             ;   in Loop: Header=BB47_17 Depth=1
	s_mov_b32 s43, exec_lo
                                        ; implicit-def: $vgpr15
	v_cmpx_lt_i16_e32 1, v16
	s_xor_b32 s43, exec_lo, s43
	s_cbranch_execz .LBB47_2219
; %bb.2210:                             ;   in Loop: Header=BB47_17 Depth=1
	s_mov_b32 s44, exec_lo
                                        ; implicit-def: $vgpr15
	v_cmpx_lt_i16_e32 2, v16
	s_xor_b32 s44, exec_lo, s44
	s_cbranch_execz .LBB47_2216
; %bb.2211:                             ;   in Loop: Header=BB47_17 Depth=1
	v_cmp_lt_i16_e32 vcc_lo, 3, v16
                                        ; implicit-def: $vgpr15
	s_and_saveexec_b32 s45, vcc_lo
	s_delay_alu instid0(SALU_CYCLE_1)
	s_xor_b32 vcc_lo, exec_lo, s45
	s_cbranch_execz .LBB47_2213
; %bb.2212:                             ;   in Loop: Header=BB47_17 Depth=1
	flat_load_b64 v[0:1], v[0:1]
	s_waitcnt vmcnt(0) lgkmcnt(0)
	v_xor_b32_e32 v15, v0, v1
	v_cls_i32_e32 v16, v1
	s_delay_alu instid0(VALU_DEP_2) | instskip(NEXT) | instid1(VALU_DEP_2)
	v_ashrrev_i32_e32 v15, 31, v15
	v_add_nc_u32_e32 v16, -1, v16
	s_delay_alu instid0(VALU_DEP_2) | instskip(NEXT) | instid1(VALU_DEP_1)
	v_add_nc_u32_e32 v15, 32, v15
	v_min_u32_e32 v15, v16, v15
	s_delay_alu instid0(VALU_DEP_1) | instskip(NEXT) | instid1(VALU_DEP_1)
	v_lshlrev_b64 v[0:1], v15, v[0:1]
	v_min_u32_e32 v0, 1, v0
	s_delay_alu instid0(VALU_DEP_1) | instskip(SKIP_1) | instid1(VALU_DEP_2)
	v_or_b32_e32 v0, v1, v0
	v_sub_nc_u32_e32 v1, 32, v15
	v_cvt_f32_i32_e32 v0, v0
	s_delay_alu instid0(VALU_DEP_1)
	v_ldexp_f32 v15, v0, v1
                                        ; implicit-def: $vgpr0_vgpr1
.LBB47_2213:                            ;   in Loop: Header=BB47_17 Depth=1
	s_and_not1_saveexec_b32 vcc_lo, vcc_lo
	s_cbranch_execz .LBB47_2215
; %bb.2214:                             ;   in Loop: Header=BB47_17 Depth=1
	flat_load_b32 v0, v[0:1]
	s_waitcnt vmcnt(0) lgkmcnt(0)
	v_cvt_f32_i32_e32 v15, v0
.LBB47_2215:                            ;   in Loop: Header=BB47_17 Depth=1
	s_or_b32 exec_lo, exec_lo, vcc_lo
                                        ; implicit-def: $vgpr0_vgpr1
.LBB47_2216:                            ;   in Loop: Header=BB47_17 Depth=1
	s_and_not1_saveexec_b32 vcc_lo, s44
	s_cbranch_execz .LBB47_2218
; %bb.2217:                             ;   in Loop: Header=BB47_17 Depth=1
	flat_load_i16 v0, v[0:1]
	s_waitcnt vmcnt(0) lgkmcnt(0)
	v_cvt_f32_i32_e32 v15, v0
.LBB47_2218:                            ;   in Loop: Header=BB47_17 Depth=1
	s_or_b32 exec_lo, exec_lo, vcc_lo
                                        ; implicit-def: $vgpr0_vgpr1
                                        ; implicit-def: $vgpr16
.LBB47_2219:                            ;   in Loop: Header=BB47_17 Depth=1
	s_and_not1_saveexec_b32 s43, s43
	s_cbranch_execz .LBB47_2225
; %bb.2220:                             ;   in Loop: Header=BB47_17 Depth=1
	v_cmp_lt_i16_e32 vcc_lo, 0, v16
                                        ; implicit-def: $vgpr15
	s_and_saveexec_b32 s44, vcc_lo
	s_delay_alu instid0(SALU_CYCLE_1)
	s_xor_b32 vcc_lo, exec_lo, s44
	s_cbranch_execz .LBB47_2222
; %bb.2221:                             ;   in Loop: Header=BB47_17 Depth=1
	flat_load_i8 v0, v[0:1]
	s_waitcnt vmcnt(0) lgkmcnt(0)
	v_cvt_f32_i32_e32 v15, v0
                                        ; implicit-def: $vgpr0_vgpr1
.LBB47_2222:                            ;   in Loop: Header=BB47_17 Depth=1
	s_and_not1_saveexec_b32 vcc_lo, vcc_lo
	s_cbranch_execz .LBB47_2224
; %bb.2223:                             ;   in Loop: Header=BB47_17 Depth=1
	flat_load_u8 v0, v[0:1]
	s_waitcnt vmcnt(0) lgkmcnt(0)
	v_cvt_f32_ubyte0_e32 v15, v0
.LBB47_2224:                            ;   in Loop: Header=BB47_17 Depth=1
	s_or_b32 exec_lo, exec_lo, vcc_lo
.LBB47_2225:                            ;   in Loop: Header=BB47_17 Depth=1
	s_delay_alu instid0(SALU_CYCLE_1)
	s_or_b32 exec_lo, exec_lo, s43
.LBB47_2226:                            ;   in Loop: Header=BB47_17 Depth=1
	s_delay_alu instid0(SALU_CYCLE_1) | instskip(NEXT) | instid1(SALU_CYCLE_1)
	s_or_b32 exec_lo, exec_lo, s42
	s_and_not1_b32 s40, s40, exec_lo
	s_and_not1_b32 s39, s39, exec_lo
	s_or_b32 s41, s41, exec_lo
	s_or_b32 exec_lo, exec_lo, s38
	s_mov_b32 vcc_lo, 0
	s_and_saveexec_b32 s38, s41
	s_cbranch_execnz .LBB47_2103
	s_branch .LBB47_2104
.LBB47_2227:                            ;   in Loop: Header=BB47_17 Depth=1
	s_mov_b32 s36, exec_lo
                                        ; implicit-def: $sgpr42
                                        ; implicit-def: $sgpr37
                                        ; implicit-def: $vgpr16
	v_cmpx_lt_i16_e32 25, v7
	s_xor_b32 s36, exec_lo, s36
	s_cbranch_execz .LBB47_2259
; %bb.2228:                             ;   in Loop: Header=BB47_17 Depth=1
	s_mov_b32 s37, exec_lo
                                        ; implicit-def: $sgpr42
                                        ; implicit-def: $sgpr43
                                        ; implicit-def: $vgpr16
	v_cmpx_lt_i16_e32 28, v7
	s_xor_b32 s37, exec_lo, s37
	s_cbranch_execz .LBB47_2244
; %bb.2229:                             ;   in Loop: Header=BB47_17 Depth=1
	s_mov_b32 s44, 0
	s_mov_b32 s41, exec_lo
                                        ; implicit-def: $sgpr42
                                        ; implicit-def: $sgpr43
                                        ; implicit-def: $vgpr16
	v_cmpx_lt_i16_e32 43, v7
	s_xor_b32 s41, exec_lo, s41
	s_cbranch_execz .LBB47_2239
; %bb.2230:                             ;   in Loop: Header=BB47_17 Depth=1
	s_mov_b32 s43, exec_lo
                                        ; implicit-def: $sgpr42
                                        ; implicit-def: $sgpr45
                                        ; implicit-def: $vgpr16
	v_cmpx_lt_i16_e32 45, v7
	s_xor_b32 s43, exec_lo, s43
	s_cbranch_execz .LBB47_2234
; %bb.2231:                             ;   in Loop: Header=BB47_17 Depth=1
	s_mov_b32 s42, 0
	s_mov_b32 s45, exec_lo
                                        ; implicit-def: $vgpr16
	v_cmpx_eq_u16_e32 46, v7
	s_cbranch_execz .LBB47_2233
; %bb.2232:                             ;   in Loop: Header=BB47_17 Depth=1
	flat_load_b32 v0, v[0:1]
	s_mov_b32 s44, exec_lo
	s_waitcnt vmcnt(0) lgkmcnt(0)
	v_lshlrev_b32_e32 v16, 16, v0
.LBB47_2233:                            ;   in Loop: Header=BB47_17 Depth=1
	s_or_b32 exec_lo, exec_lo, s45
	s_mov_b32 s45, -1
	s_and_b32 s44, s44, exec_lo
                                        ; implicit-def: $vgpr0_vgpr1
.LBB47_2234:                            ;   in Loop: Header=BB47_17 Depth=1
	s_and_not1_saveexec_b32 s43, s43
	s_cbranch_execz .LBB47_2238
; %bb.2235:                             ;   in Loop: Header=BB47_17 Depth=1
	s_mov_b32 s47, s44
	s_mov_b32 s46, exec_lo
                                        ; implicit-def: $vgpr16
	v_cmpx_eq_u16_e32 44, v7
	s_cbranch_execz .LBB47_2237
; %bb.2236:                             ;   in Loop: Header=BB47_17 Depth=1
	flat_load_u8 v0, v[0:1]
	s_or_b32 s47, s44, exec_lo
	s_waitcnt vmcnt(0) lgkmcnt(0)
	v_lshlrev_b32_e32 v1, 23, v0
	v_cmp_ne_u32_e32 vcc_lo, 0xff, v0
	s_delay_alu instid0(VALU_DEP_2) | instskip(SKIP_1) | instid1(VALU_DEP_2)
	v_cndmask_b32_e32 v1, 0x7f800001, v1, vcc_lo
	v_cmp_ne_u32_e32 vcc_lo, 0, v0
	v_cndmask_b32_e32 v16, 0x400000, v1, vcc_lo
.LBB47_2237:                            ;   in Loop: Header=BB47_17 Depth=1
	s_or_b32 exec_lo, exec_lo, s46
	s_delay_alu instid0(SALU_CYCLE_1)
	s_and_not1_b32 vcc_lo, s44, exec_lo
	s_and_b32 s44, s47, exec_lo
	s_and_not1_b32 s42, s42, exec_lo
	s_or_b32 s45, s45, exec_lo
	s_or_b32 s44, vcc_lo, s44
.LBB47_2238:                            ;   in Loop: Header=BB47_17 Depth=1
	s_or_b32 exec_lo, exec_lo, s43
	s_delay_alu instid0(SALU_CYCLE_1)
	s_and_b32 s43, s42, exec_lo
	s_and_b32 s42, s45, exec_lo
	;; [unrolled: 1-line block ×3, first 2 shown]
                                        ; implicit-def: $vgpr0_vgpr1
.LBB47_2239:                            ;   in Loop: Header=BB47_17 Depth=1
	s_and_not1_saveexec_b32 s41, s41
	s_cbranch_execz .LBB47_2243
; %bb.2240:                             ;   in Loop: Header=BB47_17 Depth=1
	s_mov_b32 s46, s44
	s_mov_b32 s45, exec_lo
                                        ; implicit-def: $vgpr16
	v_cmpx_eq_u16_e32 29, v7
	s_cbranch_execz .LBB47_2242
; %bb.2241:                             ;   in Loop: Header=BB47_17 Depth=1
	flat_load_b64 v[0:1], v[0:1]
	s_or_b32 s46, s44, exec_lo
	s_waitcnt vmcnt(0) lgkmcnt(0)
	v_clz_i32_u32_e32 v14, v1
	s_delay_alu instid0(VALU_DEP_1) | instskip(NEXT) | instid1(VALU_DEP_1)
	v_min_u32_e32 v14, 32, v14
	v_lshlrev_b64 v[0:1], v14, v[0:1]
	s_delay_alu instid0(VALU_DEP_1) | instskip(NEXT) | instid1(VALU_DEP_1)
	v_min_u32_e32 v0, 1, v0
	v_or_b32_e32 v0, v1, v0
	v_sub_nc_u32_e32 v1, 32, v14
	s_delay_alu instid0(VALU_DEP_2) | instskip(NEXT) | instid1(VALU_DEP_1)
	v_cvt_f32_u32_e32 v0, v0
	v_ldexp_f32 v16, v0, v1
.LBB47_2242:                            ;   in Loop: Header=BB47_17 Depth=1
	s_or_b32 exec_lo, exec_lo, s45
	s_delay_alu instid0(SALU_CYCLE_1)
	s_and_not1_b32 vcc_lo, s44, exec_lo
	s_and_b32 s44, s46, exec_lo
	s_and_not1_b32 s43, s43, exec_lo
	s_or_b32 s42, s42, exec_lo
	s_or_b32 s44, vcc_lo, s44
.LBB47_2243:                            ;   in Loop: Header=BB47_17 Depth=1
	s_or_b32 exec_lo, exec_lo, s41
	s_delay_alu instid0(SALU_CYCLE_1)
	s_and_b32 s43, s43, exec_lo
	s_and_b32 s42, s42, exec_lo
	;; [unrolled: 1-line block ×3, first 2 shown]
                                        ; implicit-def: $vgpr0_vgpr1
.LBB47_2244:                            ;   in Loop: Header=BB47_17 Depth=1
	s_and_not1_saveexec_b32 s37, s37
	s_cbranch_execz .LBB47_2258
; %bb.2245:                             ;   in Loop: Header=BB47_17 Depth=1
	s_mov_b32 s44, exec_lo
                                        ; implicit-def: $vgpr16
	v_cmpx_lt_i16_e32 26, v7
	s_xor_b32 s44, exec_lo, s44
	s_cbranch_execz .LBB47_2251
; %bb.2246:                             ;   in Loop: Header=BB47_17 Depth=1
	v_cmp_lt_i16_e32 vcc_lo, 27, v7
                                        ; implicit-def: $vgpr16
	s_and_saveexec_b32 s45, vcc_lo
	s_delay_alu instid0(SALU_CYCLE_1)
	s_xor_b32 vcc_lo, exec_lo, s45
	s_cbranch_execz .LBB47_2248
; %bb.2247:                             ;   in Loop: Header=BB47_17 Depth=1
	flat_load_b32 v0, v[0:1]
	s_waitcnt vmcnt(0) lgkmcnt(0)
	v_cvt_f32_u32_e32 v16, v0
                                        ; implicit-def: $vgpr0_vgpr1
.LBB47_2248:                            ;   in Loop: Header=BB47_17 Depth=1
	s_and_not1_saveexec_b32 vcc_lo, vcc_lo
	s_cbranch_execz .LBB47_2250
; %bb.2249:                             ;   in Loop: Header=BB47_17 Depth=1
	flat_load_u16 v0, v[0:1]
	s_waitcnt vmcnt(0) lgkmcnt(0)
	v_cvt_f32_u32_e32 v16, v0
.LBB47_2250:                            ;   in Loop: Header=BB47_17 Depth=1
	s_or_b32 exec_lo, exec_lo, vcc_lo
                                        ; implicit-def: $vgpr0_vgpr1
.LBB47_2251:                            ;   in Loop: Header=BB47_17 Depth=1
	s_and_not1_saveexec_b32 s44, s44
	s_cbranch_execz .LBB47_2257
; %bb.2252:                             ;   in Loop: Header=BB47_17 Depth=1
	flat_load_u8 v0, v[0:1]
	s_mov_b32 s45, 0
	s_mov_b32 s47, exec_lo
                                        ; implicit-def: $sgpr46
	s_waitcnt vmcnt(0) lgkmcnt(0)
	v_cmpx_lt_i16_e32 0x7f, v0
	s_xor_b32 s47, exec_lo, s47
	s_cbranch_execnz .LBB47_3031
; %bb.2253:                             ;   in Loop: Header=BB47_17 Depth=1
	s_or_saveexec_b32 s47, s47
	v_mov_b32_e32 v16, s46
	s_xor_b32 exec_lo, exec_lo, s47
	s_cbranch_execnz .LBB47_3034
.LBB47_2254:                            ;   in Loop: Header=BB47_17 Depth=1
	s_or_b32 exec_lo, exec_lo, s47
	s_and_saveexec_b32 s46, s45
	s_cbranch_execz .LBB47_2256
.LBB47_2255:                            ;   in Loop: Header=BB47_17 Depth=1
	v_and_b32_e32 v1, 0xffff, v0
	v_lshlrev_b32_e32 v0, 24, v0
	s_delay_alu instid0(VALU_DEP_2) | instskip(NEXT) | instid1(VALU_DEP_2)
	v_and_b32_e32 v14, 7, v1
	v_and_b32_e32 v0, 0x80000000, v0
	s_delay_alu instid0(VALU_DEP_2) | instskip(NEXT) | instid1(VALU_DEP_1)
	v_clz_i32_u32_e32 v16, v14
	v_min_u32_e32 v16, 32, v16
	s_delay_alu instid0(VALU_DEP_1) | instskip(SKIP_1) | instid1(VALU_DEP_2)
	v_subrev_nc_u32_e32 v17, 28, v16
	v_sub_nc_u32_e32 v16, 29, v16
	v_lshlrev_b32_e32 v17, v17, v1
	v_bfe_u32 v1, v1, 3, 4
	s_delay_alu instid0(VALU_DEP_2) | instskip(NEXT) | instid1(VALU_DEP_2)
	v_and_b32_e32 v17, 7, v17
	v_cmp_eq_u32_e32 vcc_lo, 0, v1
	s_delay_alu instid0(VALU_DEP_2) | instskip(NEXT) | instid1(VALU_DEP_1)
	v_dual_cndmask_b32 v1, v1, v16 :: v_dual_cndmask_b32 v14, v14, v17
	v_lshl_add_u32 v1, v1, 23, 0x3b800000
	s_delay_alu instid0(VALU_DEP_2) | instskip(NEXT) | instid1(VALU_DEP_1)
	v_lshlrev_b32_e32 v14, 20, v14
	v_or3_b32 v16, v0, v1, v14
.LBB47_2256:                            ;   in Loop: Header=BB47_17 Depth=1
	s_or_b32 exec_lo, exec_lo, s46
.LBB47_2257:                            ;   in Loop: Header=BB47_17 Depth=1
	s_delay_alu instid0(SALU_CYCLE_1) | instskip(NEXT) | instid1(SALU_CYCLE_1)
	s_or_b32 exec_lo, exec_lo, s44
	s_and_not1_b32 s43, s43, exec_lo
	s_and_not1_b32 s42, s42, exec_lo
	s_or_b32 s41, s41, exec_lo
.LBB47_2258:                            ;   in Loop: Header=BB47_17 Depth=1
	s_or_b32 exec_lo, exec_lo, s37
	s_delay_alu instid0(SALU_CYCLE_1)
	s_and_b32 s37, s43, exec_lo
	s_and_b32 s42, s42, exec_lo
	;; [unrolled: 1-line block ×3, first 2 shown]
                                        ; implicit-def: $vgpr0_vgpr1
.LBB47_2259:                            ;   in Loop: Header=BB47_17 Depth=1
	s_and_not1_saveexec_b32 s36, s36
	s_cbranch_execz .LBB47_2285
; %bb.2260:                             ;   in Loop: Header=BB47_17 Depth=1
	s_mov_b32 s44, s41
	s_mov_b32 s43, exec_lo
                                        ; implicit-def: $vgpr16
	v_cmpx_lt_i16_e32 22, v7
	s_xor_b32 s43, exec_lo, s43
	s_cbranch_execz .LBB47_2274
; %bb.2261:                             ;   in Loop: Header=BB47_17 Depth=1
	s_mov_b32 s44, exec_lo
                                        ; implicit-def: $vgpr16
	v_cmpx_lt_i16_e32 23, v7
	s_xor_b32 s44, exec_lo, s44
	s_cbranch_execz .LBB47_2271
; %bb.2262:                             ;   in Loop: Header=BB47_17 Depth=1
	;; [unrolled: 6-line block ×3, first 2 shown]
	flat_load_u8 v0, v[0:1]
	s_mov_b32 s46, 0
	s_mov_b32 s48, exec_lo
                                        ; implicit-def: $sgpr47
	s_waitcnt vmcnt(0) lgkmcnt(0)
	v_cmpx_lt_i16_e32 0x7f, v0
	s_xor_b32 s48, exec_lo, s48
	s_cbranch_execnz .LBB47_3250
; %bb.2264:                             ;   in Loop: Header=BB47_17 Depth=1
	s_or_saveexec_b32 s48, s48
	v_mov_b32_e32 v16, s47
	s_xor_b32 exec_lo, exec_lo, s48
	s_cbranch_execnz .LBB47_3253
.LBB47_2265:                            ;   in Loop: Header=BB47_17 Depth=1
	s_or_b32 exec_lo, exec_lo, s48
	s_and_saveexec_b32 s47, s46
	s_cbranch_execz .LBB47_2267
.LBB47_2266:                            ;   in Loop: Header=BB47_17 Depth=1
	v_and_b32_e32 v1, 0xffff, v0
	v_lshlrev_b32_e32 v0, 24, v0
	s_delay_alu instid0(VALU_DEP_2) | instskip(NEXT) | instid1(VALU_DEP_2)
	v_and_b32_e32 v14, 3, v1
	v_and_b32_e32 v0, 0x80000000, v0
	s_delay_alu instid0(VALU_DEP_2) | instskip(NEXT) | instid1(VALU_DEP_1)
	v_clz_i32_u32_e32 v16, v14
	v_min_u32_e32 v16, 32, v16
	s_delay_alu instid0(VALU_DEP_1) | instskip(SKIP_1) | instid1(VALU_DEP_2)
	v_subrev_nc_u32_e32 v17, 29, v16
	v_sub_nc_u32_e32 v16, 30, v16
	v_lshlrev_b32_e32 v17, v17, v1
	v_bfe_u32 v1, v1, 2, 5
	s_delay_alu instid0(VALU_DEP_2) | instskip(NEXT) | instid1(VALU_DEP_2)
	v_and_b32_e32 v17, 3, v17
	v_cmp_eq_u32_e32 vcc_lo, 0, v1
	s_delay_alu instid0(VALU_DEP_2) | instskip(NEXT) | instid1(VALU_DEP_1)
	v_dual_cndmask_b32 v1, v1, v16 :: v_dual_cndmask_b32 v14, v14, v17
	v_lshl_add_u32 v1, v1, 23, 0x37800000
	s_delay_alu instid0(VALU_DEP_2) | instskip(NEXT) | instid1(VALU_DEP_1)
	v_lshlrev_b32_e32 v14, 21, v14
	v_or3_b32 v16, v0, v1, v14
.LBB47_2267:                            ;   in Loop: Header=BB47_17 Depth=1
	s_or_b32 exec_lo, exec_lo, s47
                                        ; implicit-def: $vgpr0_vgpr1
.LBB47_2268:                            ;   in Loop: Header=BB47_17 Depth=1
	s_and_not1_saveexec_b32 s45, s45
	s_cbranch_execz .LBB47_2270
; %bb.2269:                             ;   in Loop: Header=BB47_17 Depth=1
	flat_load_u8 v0, v[0:1]
	s_waitcnt vmcnt(0) lgkmcnt(0)
	v_lshlrev_b32_e32 v0, 24, v0
	s_delay_alu instid0(VALU_DEP_1) | instskip(NEXT) | instid1(VALU_DEP_1)
	v_and_b32_e32 v1, 0x7f000000, v0
	v_clz_i32_u32_e32 v14, v1
	v_add_nc_u32_e32 v17, 0x1000000, v1
	v_cmp_ne_u32_e32 vcc_lo, 0, v1
	s_delay_alu instid0(VALU_DEP_3) | instskip(NEXT) | instid1(VALU_DEP_1)
	v_min_u32_e32 v14, 32, v14
	v_sub_nc_u32_e64 v14, v14, 4 clamp
	s_delay_alu instid0(VALU_DEP_1) | instskip(SKIP_1) | instid1(VALU_DEP_2)
	v_lshlrev_b32_e32 v16, v14, v1
	v_lshlrev_b32_e32 v14, 23, v14
	v_lshrrev_b32_e32 v16, 4, v16
	s_delay_alu instid0(VALU_DEP_1) | instskip(SKIP_1) | instid1(VALU_DEP_2)
	v_sub_nc_u32_e32 v14, v16, v14
	v_ashrrev_i32_e32 v16, 8, v17
	v_add_nc_u32_e32 v14, 0x3c000000, v14
	s_delay_alu instid0(VALU_DEP_1) | instskip(NEXT) | instid1(VALU_DEP_1)
	v_and_or_b32 v14, 0x7f800000, v16, v14
	v_cndmask_b32_e32 v1, 0, v14, vcc_lo
	s_delay_alu instid0(VALU_DEP_1)
	v_and_or_b32 v16, 0x80000000, v0, v1
.LBB47_2270:                            ;   in Loop: Header=BB47_17 Depth=1
	s_or_b32 exec_lo, exec_lo, s45
                                        ; implicit-def: $vgpr0_vgpr1
.LBB47_2271:                            ;   in Loop: Header=BB47_17 Depth=1
	s_and_not1_saveexec_b32 s44, s44
	s_cbranch_execz .LBB47_2273
; %bb.2272:                             ;   in Loop: Header=BB47_17 Depth=1
	flat_load_u8 v0, v[0:1]
	s_waitcnt vmcnt(0) lgkmcnt(0)
	v_lshlrev_b32_e32 v1, 25, v0
	v_lshlrev_b16 v0, 8, v0
	s_delay_alu instid0(VALU_DEP_2) | instskip(NEXT) | instid1(VALU_DEP_2)
	v_lshrrev_b32_e32 v14, 4, v1
	v_and_or_b32 v16, 0x7f00, v0, 0.5
	v_bfe_i32 v0, v0, 0, 16
	s_delay_alu instid0(VALU_DEP_3) | instskip(NEXT) | instid1(VALU_DEP_3)
	v_or_b32_e32 v14, 0x70000000, v14
	v_add_f32_e32 v16, -0.5, v16
	s_delay_alu instid0(VALU_DEP_2) | instskip(SKIP_1) | instid1(VALU_DEP_2)
	v_mul_f32_e32 v14, 0x7800000, v14
	v_cmp_gt_u32_e32 vcc_lo, 0x8000000, v1
	v_cndmask_b32_e32 v1, v14, v16, vcc_lo
	s_delay_alu instid0(VALU_DEP_1)
	v_and_or_b32 v16, 0x80000000, v0, v1
.LBB47_2273:                            ;   in Loop: Header=BB47_17 Depth=1
	s_or_b32 exec_lo, exec_lo, s44
	s_delay_alu instid0(SALU_CYCLE_1)
	s_or_b32 s44, s41, exec_lo
                                        ; implicit-def: $vgpr0_vgpr1
.LBB47_2274:                            ;   in Loop: Header=BB47_17 Depth=1
	s_or_saveexec_b32 s43, s43
                                        ; implicit-def: $sgpr45
                                        ; implicit-def: $vcc_lo
	s_delay_alu instid0(SALU_CYCLE_1)
	s_xor_b32 exec_lo, exec_lo, s43
	s_cbranch_execz .LBB47_2284
; %bb.2275:                             ;   in Loop: Header=BB47_17 Depth=1
	s_mov_b32 s46, s44
	s_mov_b32 s48, exec_lo
                                        ; implicit-def: $sgpr47
                                        ; implicit-def: $sgpr45
                                        ; implicit-def: $vgpr16
	v_cmpx_lt_i16_e32 14, v7
	s_xor_b32 s48, exec_lo, s48
	s_cbranch_execz .LBB47_2279
; %bb.2276:                             ;   in Loop: Header=BB47_17 Depth=1
	s_mov_b32 s46, s44
	s_mov_b32 s45, exec_lo
                                        ; implicit-def: $vgpr16
	v_cmpx_eq_u16_e32 15, v7
	s_cbranch_execz .LBB47_2278
; %bb.2277:                             ;   in Loop: Header=BB47_17 Depth=1
	flat_load_u16 v0, v[0:1]
	s_or_b32 s46, s44, exec_lo
	s_waitcnt vmcnt(0) lgkmcnt(0)
	v_lshlrev_b32_e32 v16, 16, v0
.LBB47_2278:                            ;   in Loop: Header=BB47_17 Depth=1
	s_or_b32 exec_lo, exec_lo, s45
	s_delay_alu instid0(SALU_CYCLE_1)
	s_and_not1_b32 vcc_lo, s44, exec_lo
	s_and_b32 s46, s46, exec_lo
	s_mov_b32 s45, -1
	s_mov_b32 s47, 0
	s_or_b32 s46, vcc_lo, s46
                                        ; implicit-def: $vgpr0_vgpr1
.LBB47_2279:                            ;   in Loop: Header=BB47_17 Depth=1
	s_and_not1_saveexec_b32 s48, s48
	s_cbranch_execz .LBB47_2283
; %bb.2280:                             ;   in Loop: Header=BB47_17 Depth=1
	s_mov_b32 s49, s46
	s_mov_b32 s50, exec_lo
                                        ; implicit-def: $vgpr16
	v_cmpx_eq_u16_e32 11, v7
	s_cbranch_execz .LBB47_2282
; %bb.2281:                             ;   in Loop: Header=BB47_17 Depth=1
	flat_load_u8 v0, v[0:1]
	s_or_b32 s49, s46, exec_lo
	s_waitcnt vmcnt(0) lgkmcnt(0)
	v_cmp_ne_u16_e32 vcc_lo, 0, v0
	v_cndmask_b32_e64 v16, 0, 1.0, vcc_lo
.LBB47_2282:                            ;   in Loop: Header=BB47_17 Depth=1
	s_or_b32 exec_lo, exec_lo, s50
	s_delay_alu instid0(SALU_CYCLE_1)
	s_and_not1_b32 vcc_lo, s46, exec_lo
	s_and_b32 s46, s49, exec_lo
	s_and_not1_b32 s47, s47, exec_lo
	s_or_b32 s45, s45, exec_lo
	s_or_b32 s46, vcc_lo, s46
.LBB47_2283:                            ;   in Loop: Header=BB47_17 Depth=1
	s_or_b32 exec_lo, exec_lo, s48
	s_delay_alu instid0(SALU_CYCLE_1)
	s_and_not1_b32 s44, s44, exec_lo
	s_and_b32 s46, s46, exec_lo
	s_and_b32 vcc_lo, s47, exec_lo
	s_and_b32 s45, s45, exec_lo
	s_or_b32 s44, s44, s46
.LBB47_2284:                            ;   in Loop: Header=BB47_17 Depth=1
	s_or_b32 exec_lo, exec_lo, s43
	s_delay_alu instid0(SALU_CYCLE_1)
	s_and_not1_b32 s37, s37, exec_lo
	s_and_b32 vcc_lo, vcc_lo, exec_lo
	s_and_not1_b32 s41, s41, exec_lo
	s_or_b32 s37, s37, vcc_lo
	s_and_not1_b32 vcc_lo, s42, exec_lo
	s_and_b32 s42, s45, exec_lo
	s_and_b32 s43, s44, exec_lo
	s_or_b32 s42, vcc_lo, s42
	s_or_b32 s41, s41, s43
.LBB47_2285:                            ;   in Loop: Header=BB47_17 Depth=1
	s_or_b32 exec_lo, exec_lo, s36
	s_delay_alu instid0(SALU_CYCLE_1)
	s_and_b32 s37, s37, exec_lo
	s_and_b32 s36, s42, exec_lo
	;; [unrolled: 1-line block ×3, first 2 shown]
                                        ; implicit-def: $vgpr0_vgpr1
	s_and_not1_saveexec_b32 s40, s40
	s_cbranch_execz .LBB47_2110
.LBB47_2286:                            ;   in Loop: Header=BB47_17 Depth=1
	s_mov_b32 s42, exec_lo
                                        ; implicit-def: $vgpr16
	v_cmpx_lt_i16_e32 4, v7
	s_xor_b32 s42, exec_lo, s42
	s_cbranch_execz .LBB47_2308
; %bb.2287:                             ;   in Loop: Header=BB47_17 Depth=1
	s_mov_b32 s43, exec_lo
                                        ; implicit-def: $vgpr16
	v_cmpx_lt_i16_e32 7, v7
	s_xor_b32 s43, exec_lo, s43
	s_cbranch_execz .LBB47_2297
; %bb.2288:                             ;   in Loop: Header=BB47_17 Depth=1
	;; [unrolled: 6-line block ×3, first 2 shown]
	v_cmp_lt_i16_e32 vcc_lo, 9, v7
                                        ; implicit-def: $vgpr16
	s_and_saveexec_b32 s45, vcc_lo
	s_delay_alu instid0(SALU_CYCLE_1)
	s_xor_b32 vcc_lo, exec_lo, s45
	s_cbranch_execz .LBB47_2291
; %bb.2290:                             ;   in Loop: Header=BB47_17 Depth=1
	flat_load_b64 v[0:1], v[0:1]
	s_waitcnt vmcnt(0) lgkmcnt(0)
	v_cvt_f32_f64_e32 v16, v[0:1]
                                        ; implicit-def: $vgpr0_vgpr1
.LBB47_2291:                            ;   in Loop: Header=BB47_17 Depth=1
	s_and_not1_saveexec_b32 vcc_lo, vcc_lo
	s_cbranch_execz .LBB47_2293
; %bb.2292:                             ;   in Loop: Header=BB47_17 Depth=1
	flat_load_b32 v16, v[0:1]
.LBB47_2293:                            ;   in Loop: Header=BB47_17 Depth=1
	s_or_b32 exec_lo, exec_lo, vcc_lo
                                        ; implicit-def: $vgpr0_vgpr1
.LBB47_2294:                            ;   in Loop: Header=BB47_17 Depth=1
	s_and_not1_saveexec_b32 vcc_lo, s44
	s_cbranch_execz .LBB47_2296
; %bb.2295:                             ;   in Loop: Header=BB47_17 Depth=1
	flat_load_b32 v0, v[0:1]
	s_waitcnt vmcnt(0) lgkmcnt(0)
	v_cvt_f32_f16_e32 v16, v0
.LBB47_2296:                            ;   in Loop: Header=BB47_17 Depth=1
	s_or_b32 exec_lo, exec_lo, vcc_lo
                                        ; implicit-def: $vgpr0_vgpr1
.LBB47_2297:                            ;   in Loop: Header=BB47_17 Depth=1
	s_and_not1_saveexec_b32 s43, s43
	s_cbranch_execz .LBB47_2307
; %bb.2298:                             ;   in Loop: Header=BB47_17 Depth=1
	s_mov_b32 s44, exec_lo
                                        ; implicit-def: $vgpr16
	v_cmpx_lt_i16_e32 5, v7
	s_xor_b32 s44, exec_lo, s44
	s_cbranch_execz .LBB47_2304
; %bb.2299:                             ;   in Loop: Header=BB47_17 Depth=1
	v_cmp_lt_i16_e32 vcc_lo, 6, v7
                                        ; implicit-def: $vgpr16
	s_and_saveexec_b32 s45, vcc_lo
	s_delay_alu instid0(SALU_CYCLE_1)
	s_xor_b32 vcc_lo, exec_lo, s45
	s_cbranch_execz .LBB47_2301
; %bb.2300:                             ;   in Loop: Header=BB47_17 Depth=1
	flat_load_b64 v[0:1], v[0:1]
	s_waitcnt vmcnt(0) lgkmcnt(0)
	v_cvt_f32_f64_e32 v16, v[0:1]
                                        ; implicit-def: $vgpr0_vgpr1
.LBB47_2301:                            ;   in Loop: Header=BB47_17 Depth=1
	s_and_not1_saveexec_b32 vcc_lo, vcc_lo
	s_cbranch_execz .LBB47_2303
; %bb.2302:                             ;   in Loop: Header=BB47_17 Depth=1
	s_waitcnt vmcnt(0) lgkmcnt(0)
	flat_load_b32 v16, v[0:1]
.LBB47_2303:                            ;   in Loop: Header=BB47_17 Depth=1
	s_or_b32 exec_lo, exec_lo, vcc_lo
                                        ; implicit-def: $vgpr0_vgpr1
.LBB47_2304:                            ;   in Loop: Header=BB47_17 Depth=1
	s_and_not1_saveexec_b32 vcc_lo, s44
	s_cbranch_execz .LBB47_2306
; %bb.2305:                             ;   in Loop: Header=BB47_17 Depth=1
	flat_load_u16 v0, v[0:1]
	s_waitcnt vmcnt(0) lgkmcnt(0)
	v_cvt_f32_f16_e32 v16, v0
.LBB47_2306:                            ;   in Loop: Header=BB47_17 Depth=1
	s_or_b32 exec_lo, exec_lo, vcc_lo
.LBB47_2307:                            ;   in Loop: Header=BB47_17 Depth=1
	s_delay_alu instid0(SALU_CYCLE_1)
	s_or_b32 exec_lo, exec_lo, s43
                                        ; implicit-def: $vgpr0_vgpr1
.LBB47_2308:                            ;   in Loop: Header=BB47_17 Depth=1
	s_and_not1_saveexec_b32 s42, s42
	s_cbranch_execz .LBB47_2326
; %bb.2309:                             ;   in Loop: Header=BB47_17 Depth=1
	s_mov_b32 s43, exec_lo
                                        ; implicit-def: $vgpr16
	v_cmpx_lt_i16_e32 1, v7
	s_xor_b32 s43, exec_lo, s43
	s_cbranch_execz .LBB47_2319
; %bb.2310:                             ;   in Loop: Header=BB47_17 Depth=1
	s_mov_b32 s44, exec_lo
                                        ; implicit-def: $vgpr16
	v_cmpx_lt_i16_e32 2, v7
	s_xor_b32 s44, exec_lo, s44
	s_cbranch_execz .LBB47_2316
; %bb.2311:                             ;   in Loop: Header=BB47_17 Depth=1
	v_cmp_lt_i16_e32 vcc_lo, 3, v7
                                        ; implicit-def: $vgpr16
	s_and_saveexec_b32 s45, vcc_lo
	s_delay_alu instid0(SALU_CYCLE_1)
	s_xor_b32 vcc_lo, exec_lo, s45
	s_cbranch_execz .LBB47_2313
; %bb.2312:                             ;   in Loop: Header=BB47_17 Depth=1
	flat_load_b64 v[0:1], v[0:1]
	s_waitcnt vmcnt(0) lgkmcnt(0)
	v_xor_b32_e32 v14, v0, v1
	v_cls_i32_e32 v16, v1
	s_delay_alu instid0(VALU_DEP_2) | instskip(NEXT) | instid1(VALU_DEP_2)
	v_ashrrev_i32_e32 v14, 31, v14
	v_add_nc_u32_e32 v16, -1, v16
	s_delay_alu instid0(VALU_DEP_2) | instskip(NEXT) | instid1(VALU_DEP_1)
	v_add_nc_u32_e32 v14, 32, v14
	v_min_u32_e32 v14, v16, v14
	s_delay_alu instid0(VALU_DEP_1) | instskip(NEXT) | instid1(VALU_DEP_1)
	v_lshlrev_b64 v[0:1], v14, v[0:1]
	v_min_u32_e32 v0, 1, v0
	s_delay_alu instid0(VALU_DEP_1) | instskip(SKIP_1) | instid1(VALU_DEP_2)
	v_or_b32_e32 v0, v1, v0
	v_sub_nc_u32_e32 v1, 32, v14
	v_cvt_f32_i32_e32 v0, v0
	s_delay_alu instid0(VALU_DEP_1)
	v_ldexp_f32 v16, v0, v1
                                        ; implicit-def: $vgpr0_vgpr1
.LBB47_2313:                            ;   in Loop: Header=BB47_17 Depth=1
	s_and_not1_saveexec_b32 vcc_lo, vcc_lo
	s_cbranch_execz .LBB47_2315
; %bb.2314:                             ;   in Loop: Header=BB47_17 Depth=1
	flat_load_b32 v0, v[0:1]
	s_waitcnt vmcnt(0) lgkmcnt(0)
	v_cvt_f32_i32_e32 v16, v0
.LBB47_2315:                            ;   in Loop: Header=BB47_17 Depth=1
	s_or_b32 exec_lo, exec_lo, vcc_lo
                                        ; implicit-def: $vgpr0_vgpr1
.LBB47_2316:                            ;   in Loop: Header=BB47_17 Depth=1
	s_and_not1_saveexec_b32 vcc_lo, s44
	s_cbranch_execz .LBB47_2318
; %bb.2317:                             ;   in Loop: Header=BB47_17 Depth=1
	flat_load_i16 v0, v[0:1]
	s_waitcnt vmcnt(0) lgkmcnt(0)
	v_cvt_f32_i32_e32 v16, v0
.LBB47_2318:                            ;   in Loop: Header=BB47_17 Depth=1
	s_or_b32 exec_lo, exec_lo, vcc_lo
                                        ; implicit-def: $vgpr0_vgpr1
.LBB47_2319:                            ;   in Loop: Header=BB47_17 Depth=1
	s_and_not1_saveexec_b32 s43, s43
	s_cbranch_execz .LBB47_2325
; %bb.2320:                             ;   in Loop: Header=BB47_17 Depth=1
	v_cmp_lt_i16_e32 vcc_lo, 0, v7
                                        ; implicit-def: $vgpr16
	s_and_saveexec_b32 s44, vcc_lo
	s_delay_alu instid0(SALU_CYCLE_1)
	s_xor_b32 vcc_lo, exec_lo, s44
	s_cbranch_execz .LBB47_2322
; %bb.2321:                             ;   in Loop: Header=BB47_17 Depth=1
	flat_load_i8 v0, v[0:1]
	s_waitcnt vmcnt(0) lgkmcnt(0)
	v_cvt_f32_i32_e32 v16, v0
                                        ; implicit-def: $vgpr0_vgpr1
.LBB47_2322:                            ;   in Loop: Header=BB47_17 Depth=1
	s_and_not1_saveexec_b32 vcc_lo, vcc_lo
	s_cbranch_execz .LBB47_2324
; %bb.2323:                             ;   in Loop: Header=BB47_17 Depth=1
	flat_load_u8 v0, v[0:1]
	s_waitcnt vmcnt(0) lgkmcnt(0)
	v_cvt_f32_ubyte0_e32 v16, v0
.LBB47_2324:                            ;   in Loop: Header=BB47_17 Depth=1
	s_or_b32 exec_lo, exec_lo, vcc_lo
.LBB47_2325:                            ;   in Loop: Header=BB47_17 Depth=1
	s_delay_alu instid0(SALU_CYCLE_1)
	s_or_b32 exec_lo, exec_lo, s43
.LBB47_2326:                            ;   in Loop: Header=BB47_17 Depth=1
	s_delay_alu instid0(SALU_CYCLE_1) | instskip(NEXT) | instid1(SALU_CYCLE_1)
	s_or_b32 exec_lo, exec_lo, s42
	s_and_not1_b32 s37, s37, exec_lo
	s_and_not1_b32 s36, s36, exec_lo
	s_or_b32 s41, s41, exec_lo
	s_or_b32 exec_lo, exec_lo, s40
	s_mov_b32 vcc_lo, 0
	s_and_saveexec_b32 s40, s41
	s_cbranch_execz .LBB47_2332
.LBB47_2327:                            ;   in Loop: Header=BB47_17 Depth=1
	v_add_nc_u32_e64 v14, s1, s33
	s_mov_b32 s44, 0
	s_mov_b32 s41, exec_lo
                                        ; implicit-def: $sgpr42
                                        ; implicit-def: $sgpr43
	s_delay_alu instid0(VALU_DEP_1) | instskip(SKIP_4) | instid1(VALU_DEP_2)
	v_add_nc_u32_e32 v0, 0x54, v14
	s_waitcnt vmcnt(0) lgkmcnt(0)
	scratch_store_b32 v0, v16, off
	v_mul_lo_u32 v0, v15, v10
	v_and_b32_e32 v16, 0xff, v8
                                        ; implicit-def: $vgpr15
	v_add_co_u32 v0, vcc_lo, v4, v0
	v_add_co_ci_u32_e32 v1, vcc_lo, 0, v5, vcc_lo
	s_delay_alu instid0(VALU_DEP_3)
	v_cmpx_lt_i16_e32 10, v16
	s_xor_b32 s41, exec_lo, s41
	s_cbranch_execnz .LBB47_2354
; %bb.2328:                             ;   in Loop: Header=BB47_17 Depth=1
	s_and_not1_saveexec_b32 s41, s41
	s_cbranch_execnz .LBB47_2413
.LBB47_2329:                            ;   in Loop: Header=BB47_17 Depth=1
	s_or_b32 exec_lo, exec_lo, s41
	s_mov_b32 vcc_lo, 0
	s_and_saveexec_b32 s41, s44
	s_cbranch_execz .LBB47_2331
.LBB47_2330:                            ;   in Loop: Header=BB47_17 Depth=1
	v_add_nc_u32_e32 v0, 0x50, v14
	v_add_nc_u32_e32 v13, 0x200, v13
	s_mov_b32 vcc_lo, exec_lo
	s_and_not1_b32 s43, s43, exec_lo
	s_and_not1_b32 s42, s42, exec_lo
	s_waitcnt vmcnt(0) lgkmcnt(0)
	scratch_store_b32 v0, v15, off
.LBB47_2331:                            ;   in Loop: Header=BB47_17 Depth=1
	s_or_b32 exec_lo, exec_lo, s41
	s_delay_alu instid0(SALU_CYCLE_1)
	s_and_not1_b32 s37, s37, exec_lo
	s_and_b32 s41, s43, exec_lo
	s_and_not1_b32 s36, s36, exec_lo
	s_and_b32 s42, s42, exec_lo
	s_or_b32 s37, s37, s41
	s_or_b32 s36, s36, s42
	s_and_b32 vcc_lo, vcc_lo, exec_lo
.LBB47_2332:                            ;   in Loop: Header=BB47_17 Depth=1
	s_or_b32 exec_lo, exec_lo, s40
	s_delay_alu instid0(SALU_CYCLE_1)
	s_and_b32 s37, s37, exec_lo
	s_and_b32 s36, s36, exec_lo
	s_or_not1_b32 s40, vcc_lo, exec_lo
.LBB47_2333:                            ;   in Loop: Header=BB47_17 Depth=1
	s_or_b32 exec_lo, exec_lo, s38
	s_and_saveexec_b32 s38, s40
	s_cbranch_execz .LBB47_6
; %bb.2334:                             ;   in Loop: Header=BB47_17 Depth=1
	s_mov_b32 s42, -1
	s_mov_b32 s43, -1
	s_mov_b32 s41, exec_lo
                                        ; implicit-def: $sgpr39
                                        ; implicit-def: $sgpr40
	v_cmpx_lt_i32_e64 v13, v6
	s_cbranch_execz .LBB47_2560
; %bb.2335:                             ;   in Loop: Header=BB47_17 Depth=1
	s_waitcnt vmcnt(0) lgkmcnt(0)
	v_add_nc_u32_e32 v15, s11, v13
	s_mov_b32 s44, 0
	s_mov_b32 s43, exec_lo
                                        ; implicit-def: $sgpr39
                                        ; implicit-def: $sgpr40
                                        ; implicit-def: $vgpr16
	s_delay_alu instid0(VALU_DEP_1) | instskip(NEXT) | instid1(VALU_DEP_1)
	v_mul_lo_u32 v0, v15, v9
	v_add_co_u32 v0, vcc_lo, v2, v0
	v_add_co_ci_u32_e32 v1, vcc_lo, 0, v3, vcc_lo
	v_cmpx_lt_i16_e32 10, v7
	s_xor_b32 s43, exec_lo, s43
	s_cbranch_execnz .LBB47_2454
; %bb.2336:                             ;   in Loop: Header=BB47_17 Depth=1
	s_and_not1_saveexec_b32 s43, s43
	s_cbranch_execnz .LBB47_2513
.LBB47_2337:                            ;   in Loop: Header=BB47_17 Depth=1
	s_or_b32 exec_lo, exec_lo, s43
	s_mov_b32 vcc_lo, 0
	s_and_saveexec_b32 s43, s44
	s_cbranch_execnz .LBB47_2554
	s_branch .LBB47_2559
.LBB47_2338:                            ;   in Loop: Header=BB47_17 Depth=1
	s_mov_b32 s34, -1
	s_mov_b32 s37, exec_lo
                                        ; implicit-def: $sgpr35
	v_cmpx_eq_u16_e32 0x80, v0
; %bb.2339:                             ;   in Loop: Header=BB47_17 Depth=1
	s_mov_b32 s35, 0x7f800001
	s_xor_b32 s34, exec_lo, -1
; %bb.2340:                             ;   in Loop: Header=BB47_17 Depth=1
	s_or_b32 exec_lo, exec_lo, s37
	s_delay_alu instid0(SALU_CYCLE_1)
	s_and_b32 s34, s34, exec_lo
	s_or_saveexec_b32 s36, s36
	v_mov_b32_e32 v15, s35
	s_xor_b32 exec_lo, exec_lo, s36
	s_cbranch_execz .LBB47_1257
.LBB47_2341:                            ;   in Loop: Header=BB47_17 Depth=1
	v_cmp_ne_u16_e32 vcc_lo, 0, v0
	v_mov_b32_e32 v15, 0
	s_and_not1_b32 s34, s34, exec_lo
	s_and_b32 vcc_lo, vcc_lo, exec_lo
	s_delay_alu instid0(SALU_CYCLE_1)
	s_or_b32 s34, s34, vcc_lo
	s_or_b32 exec_lo, exec_lo, s36
	s_and_saveexec_b32 s35, s34
	s_cbranch_execnz .LBB47_1258
	s_branch .LBB47_1259
.LBB47_2342:                            ;   in Loop: Header=BB47_17 Depth=1
	s_mov_b32 s34, -1
	s_mov_b32 s37, exec_lo
                                        ; implicit-def: $sgpr35
	v_cmpx_eq_u16_e32 0x80, v0
; %bb.2343:                             ;   in Loop: Header=BB47_17 Depth=1
	s_mov_b32 s35, 0x7f800001
	s_xor_b32 s34, exec_lo, -1
; %bb.2344:                             ;   in Loop: Header=BB47_17 Depth=1
	s_or_b32 exec_lo, exec_lo, s37
	s_delay_alu instid0(SALU_CYCLE_1)
	s_and_b32 s34, s34, exec_lo
	s_or_saveexec_b32 s36, s36
	v_mov_b32_e32 v16, s35
	s_xor_b32 exec_lo, exec_lo, s36
	s_cbranch_execz .LBB47_1357
.LBB47_2345:                            ;   in Loop: Header=BB47_17 Depth=1
	v_cmp_ne_u16_e32 vcc_lo, 0, v0
	v_mov_b32_e32 v16, 0
	s_and_not1_b32 s34, s34, exec_lo
	s_and_b32 vcc_lo, vcc_lo, exec_lo
	s_delay_alu instid0(SALU_CYCLE_1)
	s_or_b32 s34, s34, vcc_lo
	s_or_b32 exec_lo, exec_lo, s36
	s_and_saveexec_b32 s35, s34
	s_cbranch_execnz .LBB47_1358
	s_branch .LBB47_1359
.LBB47_2346:                            ;   in Loop: Header=BB47_17 Depth=1
	s_mov_b32 s36, -1
	s_mov_b32 s39, exec_lo
                                        ; implicit-def: $sgpr37
	v_cmpx_eq_u16_e32 0x80, v0
; %bb.2347:                             ;   in Loop: Header=BB47_17 Depth=1
	s_mov_b32 s37, 0x7f800001
	s_xor_b32 s36, exec_lo, -1
; %bb.2348:                             ;   in Loop: Header=BB47_17 Depth=1
	s_or_b32 exec_lo, exec_lo, s39
	s_delay_alu instid0(SALU_CYCLE_1)
	s_and_b32 s36, s36, exec_lo
	s_or_saveexec_b32 s38, s38
	v_mov_b32_e32 v15, s37
	s_xor_b32 exec_lo, exec_lo, s38
	s_cbranch_execz .LBB47_1473
.LBB47_2349:                            ;   in Loop: Header=BB47_17 Depth=1
	v_cmp_ne_u16_e32 vcc_lo, 0, v0
	v_mov_b32_e32 v15, 0
	s_and_not1_b32 s36, s36, exec_lo
	s_and_b32 vcc_lo, vcc_lo, exec_lo
	s_delay_alu instid0(SALU_CYCLE_1)
	s_or_b32 s36, s36, vcc_lo
	s_or_b32 exec_lo, exec_lo, s38
	s_and_saveexec_b32 s37, s36
	s_cbranch_execnz .LBB47_1474
	s_branch .LBB47_1475
.LBB47_2350:                            ;   in Loop: Header=BB47_17 Depth=1
	s_mov_b32 s36, -1
	s_mov_b32 s39, exec_lo
                                        ; implicit-def: $sgpr37
	v_cmpx_eq_u16_e32 0x80, v0
; %bb.2351:                             ;   in Loop: Header=BB47_17 Depth=1
	s_mov_b32 s37, 0x7f800001
	s_xor_b32 s36, exec_lo, -1
; %bb.2352:                             ;   in Loop: Header=BB47_17 Depth=1
	s_or_b32 exec_lo, exec_lo, s39
	s_delay_alu instid0(SALU_CYCLE_1)
	s_and_b32 s36, s36, exec_lo
	s_or_saveexec_b32 s38, s38
	v_mov_b32_e32 v16, s37
	s_xor_b32 exec_lo, exec_lo, s38
	s_cbranch_execz .LBB47_1573
.LBB47_2353:                            ;   in Loop: Header=BB47_17 Depth=1
	v_cmp_ne_u16_e32 vcc_lo, 0, v0
	v_mov_b32_e32 v16, 0
	s_and_not1_b32 s36, s36, exec_lo
	s_and_b32 vcc_lo, vcc_lo, exec_lo
	s_delay_alu instid0(SALU_CYCLE_1)
	s_or_b32 s36, s36, vcc_lo
	s_or_b32 exec_lo, exec_lo, s38
	s_and_saveexec_b32 s37, s36
	s_cbranch_execnz .LBB47_1574
	s_branch .LBB47_1575
.LBB47_2354:                            ;   in Loop: Header=BB47_17 Depth=1
	s_mov_b32 s42, exec_lo
                                        ; implicit-def: $sgpr45
                                        ; implicit-def: $sgpr43
                                        ; implicit-def: $vgpr15
	v_cmpx_lt_i16_e32 25, v16
	s_xor_b32 s42, exec_lo, s42
	s_cbranch_execz .LBB47_2386
; %bb.2355:                             ;   in Loop: Header=BB47_17 Depth=1
	s_mov_b32 s43, exec_lo
                                        ; implicit-def: $sgpr45
                                        ; implicit-def: $sgpr46
                                        ; implicit-def: $vgpr15
	v_cmpx_lt_i16_e32 28, v16
	s_xor_b32 s43, exec_lo, s43
	s_cbranch_execz .LBB47_2371
; %bb.2356:                             ;   in Loop: Header=BB47_17 Depth=1
	s_mov_b32 s47, 0
	s_mov_b32 s44, exec_lo
                                        ; implicit-def: $sgpr45
                                        ; implicit-def: $sgpr46
                                        ; implicit-def: $vgpr15
	v_cmpx_lt_i16_e32 43, v16
	s_xor_b32 s44, exec_lo, s44
	s_cbranch_execz .LBB47_2366
; %bb.2357:                             ;   in Loop: Header=BB47_17 Depth=1
	s_mov_b32 s48, exec_lo
                                        ; implicit-def: $sgpr46
                                        ; implicit-def: $sgpr45
                                        ; implicit-def: $vgpr15
	v_cmpx_lt_i16_e32 45, v16
	s_xor_b32 s48, exec_lo, s48
	s_cbranch_execz .LBB47_2361
; %bb.2358:                             ;   in Loop: Header=BB47_17 Depth=1
	s_mov_b32 s45, 0
	s_mov_b32 s46, exec_lo
                                        ; implicit-def: $vgpr15
	v_cmpx_eq_u16_e32 46, v16
	s_cbranch_execz .LBB47_2360
; %bb.2359:                             ;   in Loop: Header=BB47_17 Depth=1
	flat_load_b32 v0, v[0:1]
	s_mov_b32 s47, exec_lo
	s_waitcnt vmcnt(0) lgkmcnt(0)
	v_lshlrev_b32_e32 v15, 16, v0
.LBB47_2360:                            ;   in Loop: Header=BB47_17 Depth=1
	s_or_b32 exec_lo, exec_lo, s46
	s_mov_b32 s46, -1
	s_and_b32 s47, s47, exec_lo
                                        ; implicit-def: $vgpr16
                                        ; implicit-def: $vgpr0_vgpr1
.LBB47_2361:                            ;   in Loop: Header=BB47_17 Depth=1
	s_and_not1_saveexec_b32 s48, s48
	s_cbranch_execz .LBB47_2365
; %bb.2362:                             ;   in Loop: Header=BB47_17 Depth=1
	s_mov_b32 s50, s47
	s_mov_b32 s49, exec_lo
                                        ; implicit-def: $vgpr15
	v_cmpx_eq_u16_e32 44, v16
	s_cbranch_execz .LBB47_2364
; %bb.2363:                             ;   in Loop: Header=BB47_17 Depth=1
	flat_load_u8 v0, v[0:1]
	s_or_b32 s50, s47, exec_lo
	s_waitcnt vmcnt(0) lgkmcnt(0)
	v_lshlrev_b32_e32 v1, 23, v0
	v_cmp_ne_u32_e32 vcc_lo, 0xff, v0
	s_delay_alu instid0(VALU_DEP_2) | instskip(SKIP_1) | instid1(VALU_DEP_2)
	v_cndmask_b32_e32 v1, 0x7f800001, v1, vcc_lo
	v_cmp_ne_u32_e32 vcc_lo, 0, v0
	v_cndmask_b32_e32 v15, 0x400000, v1, vcc_lo
.LBB47_2364:                            ;   in Loop: Header=BB47_17 Depth=1
	s_or_b32 exec_lo, exec_lo, s49
	s_delay_alu instid0(SALU_CYCLE_1)
	s_and_not1_b32 vcc_lo, s47, exec_lo
	s_and_b32 s47, s50, exec_lo
	s_or_b32 s46, s46, exec_lo
	s_and_not1_b32 s45, s45, exec_lo
	s_or_b32 s47, vcc_lo, s47
.LBB47_2365:                            ;   in Loop: Header=BB47_17 Depth=1
	s_or_b32 exec_lo, exec_lo, s48
	s_delay_alu instid0(SALU_CYCLE_1)
	s_and_b32 s46, s46, exec_lo
	s_and_b32 s45, s45, exec_lo
	;; [unrolled: 1-line block ×3, first 2 shown]
                                        ; implicit-def: $vgpr16
                                        ; implicit-def: $vgpr0_vgpr1
.LBB47_2366:                            ;   in Loop: Header=BB47_17 Depth=1
	s_and_not1_saveexec_b32 s44, s44
	s_cbranch_execz .LBB47_2370
; %bb.2367:                             ;   in Loop: Header=BB47_17 Depth=1
	s_mov_b32 s49, s47
	s_mov_b32 s48, exec_lo
                                        ; implicit-def: $vgpr15
	v_cmpx_eq_u16_e32 29, v16
	s_cbranch_execz .LBB47_2369
; %bb.2368:                             ;   in Loop: Header=BB47_17 Depth=1
	flat_load_b64 v[0:1], v[0:1]
	s_or_b32 s49, s47, exec_lo
	s_waitcnt vmcnt(0) lgkmcnt(0)
	v_clz_i32_u32_e32 v15, v1
	s_delay_alu instid0(VALU_DEP_1) | instskip(NEXT) | instid1(VALU_DEP_1)
	v_min_u32_e32 v15, 32, v15
	v_lshlrev_b64 v[0:1], v15, v[0:1]
	s_delay_alu instid0(VALU_DEP_1) | instskip(NEXT) | instid1(VALU_DEP_1)
	v_min_u32_e32 v0, 1, v0
	v_or_b32_e32 v0, v1, v0
	v_sub_nc_u32_e32 v1, 32, v15
	s_delay_alu instid0(VALU_DEP_2) | instskip(NEXT) | instid1(VALU_DEP_1)
	v_cvt_f32_u32_e32 v0, v0
	v_ldexp_f32 v15, v0, v1
.LBB47_2369:                            ;   in Loop: Header=BB47_17 Depth=1
	s_or_b32 exec_lo, exec_lo, s48
	s_delay_alu instid0(SALU_CYCLE_1)
	s_and_not1_b32 vcc_lo, s47, exec_lo
	s_and_b32 s47, s49, exec_lo
	s_or_b32 s46, s46, exec_lo
	s_and_not1_b32 s45, s45, exec_lo
	s_or_b32 s47, vcc_lo, s47
.LBB47_2370:                            ;   in Loop: Header=BB47_17 Depth=1
	s_or_b32 exec_lo, exec_lo, s44
	s_delay_alu instid0(SALU_CYCLE_1)
	s_and_b32 s46, s46, exec_lo
	s_and_b32 s45, s45, exec_lo
	;; [unrolled: 1-line block ×3, first 2 shown]
                                        ; implicit-def: $vgpr16
                                        ; implicit-def: $vgpr0_vgpr1
.LBB47_2371:                            ;   in Loop: Header=BB47_17 Depth=1
	s_and_not1_saveexec_b32 s43, s43
	s_cbranch_execz .LBB47_2385
; %bb.2372:                             ;   in Loop: Header=BB47_17 Depth=1
	s_mov_b32 s47, exec_lo
                                        ; implicit-def: $vgpr15
	v_cmpx_lt_i16_e32 26, v16
	s_xor_b32 s47, exec_lo, s47
	s_cbranch_execz .LBB47_2378
; %bb.2373:                             ;   in Loop: Header=BB47_17 Depth=1
	v_cmp_lt_i16_e32 vcc_lo, 27, v16
                                        ; implicit-def: $vgpr15
	s_and_saveexec_b32 s48, vcc_lo
	s_delay_alu instid0(SALU_CYCLE_1)
	s_xor_b32 vcc_lo, exec_lo, s48
	s_cbranch_execz .LBB47_2375
; %bb.2374:                             ;   in Loop: Header=BB47_17 Depth=1
	flat_load_b32 v0, v[0:1]
	s_waitcnt vmcnt(0) lgkmcnt(0)
	v_cvt_f32_u32_e32 v15, v0
                                        ; implicit-def: $vgpr0_vgpr1
.LBB47_2375:                            ;   in Loop: Header=BB47_17 Depth=1
	s_and_not1_saveexec_b32 vcc_lo, vcc_lo
	s_cbranch_execz .LBB47_2377
; %bb.2376:                             ;   in Loop: Header=BB47_17 Depth=1
	flat_load_u16 v0, v[0:1]
	s_waitcnt vmcnt(0) lgkmcnt(0)
	v_cvt_f32_u32_e32 v15, v0
.LBB47_2377:                            ;   in Loop: Header=BB47_17 Depth=1
	s_or_b32 exec_lo, exec_lo, vcc_lo
                                        ; implicit-def: $vgpr0_vgpr1
.LBB47_2378:                            ;   in Loop: Header=BB47_17 Depth=1
	s_and_not1_saveexec_b32 s47, s47
	s_cbranch_execz .LBB47_2384
; %bb.2379:                             ;   in Loop: Header=BB47_17 Depth=1
	flat_load_u8 v0, v[0:1]
	s_mov_b32 s48, 0
	s_mov_b32 s50, exec_lo
                                        ; implicit-def: $sgpr49
	s_waitcnt vmcnt(0) lgkmcnt(0)
	v_cmpx_lt_i16_e32 0x7f, v0
	s_xor_b32 s50, exec_lo, s50
	s_cbranch_execnz .LBB47_3254
; %bb.2380:                             ;   in Loop: Header=BB47_17 Depth=1
	s_or_saveexec_b32 s50, s50
	v_mov_b32_e32 v15, s49
	s_xor_b32 exec_lo, exec_lo, s50
	s_cbranch_execnz .LBB47_3257
.LBB47_2381:                            ;   in Loop: Header=BB47_17 Depth=1
	s_or_b32 exec_lo, exec_lo, s50
	s_and_saveexec_b32 s49, s48
	s_cbranch_execz .LBB47_2383
.LBB47_2382:                            ;   in Loop: Header=BB47_17 Depth=1
	v_and_b32_e32 v1, 0xffff, v0
	s_delay_alu instid0(VALU_DEP_1) | instskip(NEXT) | instid1(VALU_DEP_1)
	v_and_b32_e32 v15, 7, v1
	v_clz_i32_u32_e32 v16, v15
	s_delay_alu instid0(VALU_DEP_1) | instskip(NEXT) | instid1(VALU_DEP_1)
	v_min_u32_e32 v16, 32, v16
	v_subrev_nc_u32_e32 v17, 28, v16
	v_sub_nc_u32_e32 v16, 29, v16
	s_delay_alu instid0(VALU_DEP_2) | instskip(SKIP_1) | instid1(VALU_DEP_2)
	v_lshlrev_b32_e32 v17, v17, v1
	v_bfe_u32 v1, v1, 3, 4
	v_and_b32_e32 v17, 7, v17
	s_delay_alu instid0(VALU_DEP_2) | instskip(NEXT) | instid1(VALU_DEP_2)
	v_cmp_eq_u32_e32 vcc_lo, 0, v1
	v_dual_cndmask_b32 v15, v15, v17 :: v_dual_lshlrev_b32 v0, 24, v0
	v_cndmask_b32_e32 v1, v1, v16, vcc_lo
	s_delay_alu instid0(VALU_DEP_2) | instskip(NEXT) | instid1(VALU_DEP_3)
	v_and_b32_e32 v0, 0x80000000, v0
	v_lshlrev_b32_e32 v15, 20, v15
	s_delay_alu instid0(VALU_DEP_3) | instskip(NEXT) | instid1(VALU_DEP_1)
	v_lshl_add_u32 v1, v1, 23, 0x3b800000
	v_or3_b32 v15, v0, v1, v15
.LBB47_2383:                            ;   in Loop: Header=BB47_17 Depth=1
	s_or_b32 exec_lo, exec_lo, s49
.LBB47_2384:                            ;   in Loop: Header=BB47_17 Depth=1
	s_delay_alu instid0(SALU_CYCLE_1) | instskip(NEXT) | instid1(SALU_CYCLE_1)
	s_or_b32 exec_lo, exec_lo, s47
	s_and_not1_b32 s46, s46, exec_lo
	s_and_not1_b32 s45, s45, exec_lo
	s_or_b32 s44, s44, exec_lo
.LBB47_2385:                            ;   in Loop: Header=BB47_17 Depth=1
	s_or_b32 exec_lo, exec_lo, s43
	s_delay_alu instid0(SALU_CYCLE_1)
	s_and_b32 s43, s46, exec_lo
	s_and_b32 s45, s45, exec_lo
	;; [unrolled: 1-line block ×3, first 2 shown]
                                        ; implicit-def: $vgpr16
                                        ; implicit-def: $vgpr0_vgpr1
.LBB47_2386:                            ;   in Loop: Header=BB47_17 Depth=1
	s_and_not1_saveexec_b32 s42, s42
	s_cbranch_execz .LBB47_2412
; %bb.2387:                             ;   in Loop: Header=BB47_17 Depth=1
	s_mov_b32 s47, s44
	s_mov_b32 s46, exec_lo
                                        ; implicit-def: $vgpr15
	v_cmpx_lt_i16_e32 22, v16
	s_xor_b32 s46, exec_lo, s46
	s_cbranch_execz .LBB47_2401
; %bb.2388:                             ;   in Loop: Header=BB47_17 Depth=1
	s_mov_b32 s47, exec_lo
                                        ; implicit-def: $vgpr15
	v_cmpx_lt_i16_e32 23, v16
	s_xor_b32 s47, exec_lo, s47
	s_cbranch_execz .LBB47_2398
; %bb.2389:                             ;   in Loop: Header=BB47_17 Depth=1
	;; [unrolled: 6-line block ×3, first 2 shown]
	flat_load_u8 v0, v[0:1]
	s_mov_b32 s49, 0
	s_mov_b32 s51, exec_lo
                                        ; implicit-def: $sgpr50
	s_waitcnt vmcnt(0) lgkmcnt(0)
	v_cmpx_lt_i16_e32 0x7f, v0
	s_xor_b32 s51, exec_lo, s51
	s_cbranch_execnz .LBB47_3470
; %bb.2391:                             ;   in Loop: Header=BB47_17 Depth=1
	s_or_saveexec_b32 s51, s51
	v_mov_b32_e32 v15, s50
	s_xor_b32 exec_lo, exec_lo, s51
	s_cbranch_execnz .LBB47_3473
.LBB47_2392:                            ;   in Loop: Header=BB47_17 Depth=1
	s_or_b32 exec_lo, exec_lo, s51
	s_and_saveexec_b32 s50, s49
	s_cbranch_execz .LBB47_2394
.LBB47_2393:                            ;   in Loop: Header=BB47_17 Depth=1
	v_and_b32_e32 v1, 0xffff, v0
	s_delay_alu instid0(VALU_DEP_1) | instskip(NEXT) | instid1(VALU_DEP_1)
	v_and_b32_e32 v15, 3, v1
	v_clz_i32_u32_e32 v16, v15
	s_delay_alu instid0(VALU_DEP_1) | instskip(NEXT) | instid1(VALU_DEP_1)
	v_min_u32_e32 v16, 32, v16
	v_subrev_nc_u32_e32 v17, 29, v16
	v_sub_nc_u32_e32 v16, 30, v16
	s_delay_alu instid0(VALU_DEP_2) | instskip(SKIP_1) | instid1(VALU_DEP_2)
	v_lshlrev_b32_e32 v17, v17, v1
	v_bfe_u32 v1, v1, 2, 5
	v_and_b32_e32 v17, 3, v17
	s_delay_alu instid0(VALU_DEP_2) | instskip(NEXT) | instid1(VALU_DEP_2)
	v_cmp_eq_u32_e32 vcc_lo, 0, v1
	v_dual_cndmask_b32 v15, v15, v17 :: v_dual_lshlrev_b32 v0, 24, v0
	v_cndmask_b32_e32 v1, v1, v16, vcc_lo
	s_delay_alu instid0(VALU_DEP_2) | instskip(NEXT) | instid1(VALU_DEP_3)
	v_and_b32_e32 v0, 0x80000000, v0
	v_lshlrev_b32_e32 v15, 21, v15
	s_delay_alu instid0(VALU_DEP_3) | instskip(NEXT) | instid1(VALU_DEP_1)
	v_lshl_add_u32 v1, v1, 23, 0x37800000
	v_or3_b32 v15, v0, v1, v15
.LBB47_2394:                            ;   in Loop: Header=BB47_17 Depth=1
	s_or_b32 exec_lo, exec_lo, s50
                                        ; implicit-def: $vgpr0_vgpr1
.LBB47_2395:                            ;   in Loop: Header=BB47_17 Depth=1
	s_and_not1_saveexec_b32 s48, s48
	s_cbranch_execz .LBB47_2397
; %bb.2396:                             ;   in Loop: Header=BB47_17 Depth=1
	flat_load_u8 v0, v[0:1]
	s_waitcnt vmcnt(0) lgkmcnt(0)
	v_lshlrev_b32_e32 v0, 24, v0
	s_delay_alu instid0(VALU_DEP_1) | instskip(NEXT) | instid1(VALU_DEP_1)
	v_and_b32_e32 v1, 0x7f000000, v0
	v_clz_i32_u32_e32 v15, v1
	v_add_nc_u32_e32 v17, 0x1000000, v1
	v_cmp_ne_u32_e32 vcc_lo, 0, v1
	s_delay_alu instid0(VALU_DEP_3) | instskip(NEXT) | instid1(VALU_DEP_1)
	v_min_u32_e32 v15, 32, v15
	v_sub_nc_u32_e64 v15, v15, 4 clamp
	s_delay_alu instid0(VALU_DEP_1) | instskip(SKIP_1) | instid1(VALU_DEP_2)
	v_lshlrev_b32_e32 v16, v15, v1
	v_lshlrev_b32_e32 v15, 23, v15
	v_lshrrev_b32_e32 v16, 4, v16
	s_delay_alu instid0(VALU_DEP_1) | instskip(SKIP_1) | instid1(VALU_DEP_2)
	v_sub_nc_u32_e32 v15, v16, v15
	v_ashrrev_i32_e32 v16, 8, v17
	v_add_nc_u32_e32 v15, 0x3c000000, v15
	s_delay_alu instid0(VALU_DEP_1) | instskip(NEXT) | instid1(VALU_DEP_1)
	v_and_or_b32 v15, 0x7f800000, v16, v15
	v_cndmask_b32_e32 v1, 0, v15, vcc_lo
	s_delay_alu instid0(VALU_DEP_1)
	v_and_or_b32 v15, 0x80000000, v0, v1
.LBB47_2397:                            ;   in Loop: Header=BB47_17 Depth=1
	s_or_b32 exec_lo, exec_lo, s48
                                        ; implicit-def: $vgpr0_vgpr1
.LBB47_2398:                            ;   in Loop: Header=BB47_17 Depth=1
	s_and_not1_saveexec_b32 s47, s47
	s_cbranch_execz .LBB47_2400
; %bb.2399:                             ;   in Loop: Header=BB47_17 Depth=1
	flat_load_u8 v0, v[0:1]
	s_waitcnt vmcnt(0) lgkmcnt(0)
	v_lshlrev_b32_e32 v1, 25, v0
	v_lshlrev_b16 v0, 8, v0
	s_delay_alu instid0(VALU_DEP_2) | instskip(NEXT) | instid1(VALU_DEP_2)
	v_lshrrev_b32_e32 v15, 4, v1
	v_and_or_b32 v16, 0x7f00, v0, 0.5
	v_cmp_gt_u32_e32 vcc_lo, 0x8000000, v1
	v_bfe_i32 v0, v0, 0, 16
	s_delay_alu instid0(VALU_DEP_4) | instskip(NEXT) | instid1(VALU_DEP_1)
	v_or_b32_e32 v15, 0x70000000, v15
	v_dual_add_f32 v16, -0.5, v16 :: v_dual_mul_f32 v15, 0x7800000, v15
	s_delay_alu instid0(VALU_DEP_1) | instskip(NEXT) | instid1(VALU_DEP_1)
	v_cndmask_b32_e32 v1, v15, v16, vcc_lo
	v_and_or_b32 v15, 0x80000000, v0, v1
.LBB47_2400:                            ;   in Loop: Header=BB47_17 Depth=1
	s_or_b32 exec_lo, exec_lo, s47
	s_delay_alu instid0(SALU_CYCLE_1)
	s_or_b32 s47, s44, exec_lo
                                        ; implicit-def: $vgpr16
                                        ; implicit-def: $vgpr0_vgpr1
.LBB47_2401:                            ;   in Loop: Header=BB47_17 Depth=1
	s_or_saveexec_b32 s46, s46
                                        ; implicit-def: $sgpr48
                                        ; implicit-def: $vcc_lo
	s_delay_alu instid0(SALU_CYCLE_1)
	s_xor_b32 exec_lo, exec_lo, s46
	s_cbranch_execz .LBB47_2411
; %bb.2402:                             ;   in Loop: Header=BB47_17 Depth=1
	s_mov_b32 s49, s47
	s_mov_b32 s51, exec_lo
                                        ; implicit-def: $sgpr50
                                        ; implicit-def: $sgpr48
                                        ; implicit-def: $vgpr15
	v_cmpx_lt_i16_e32 14, v16
	s_xor_b32 s51, exec_lo, s51
	s_cbranch_execz .LBB47_2406
; %bb.2403:                             ;   in Loop: Header=BB47_17 Depth=1
	s_mov_b32 s49, s47
	s_mov_b32 s48, exec_lo
                                        ; implicit-def: $vgpr15
	v_cmpx_eq_u16_e32 15, v16
	s_cbranch_execz .LBB47_2405
; %bb.2404:                             ;   in Loop: Header=BB47_17 Depth=1
	flat_load_u16 v0, v[0:1]
	s_or_b32 s49, s47, exec_lo
	s_waitcnt vmcnt(0) lgkmcnt(0)
	v_lshlrev_b32_e32 v15, 16, v0
.LBB47_2405:                            ;   in Loop: Header=BB47_17 Depth=1
	s_or_b32 exec_lo, exec_lo, s48
	s_delay_alu instid0(SALU_CYCLE_1)
	s_and_not1_b32 vcc_lo, s47, exec_lo
	s_and_b32 s49, s49, exec_lo
	s_mov_b32 s48, 0
	s_mov_b32 s50, -1
	s_or_b32 s49, vcc_lo, s49
                                        ; implicit-def: $vgpr16
                                        ; implicit-def: $vgpr0_vgpr1
.LBB47_2406:                            ;   in Loop: Header=BB47_17 Depth=1
	s_and_not1_saveexec_b32 s51, s51
	s_cbranch_execz .LBB47_2410
; %bb.2407:                             ;   in Loop: Header=BB47_17 Depth=1
	s_mov_b32 s52, s49
	s_mov_b32 s53, exec_lo
                                        ; implicit-def: $vgpr15
	v_cmpx_eq_u16_e32 11, v16
	s_cbranch_execz .LBB47_2409
; %bb.2408:                             ;   in Loop: Header=BB47_17 Depth=1
	flat_load_u8 v0, v[0:1]
	s_or_b32 s52, s49, exec_lo
	s_waitcnt vmcnt(0) lgkmcnt(0)
	v_cmp_ne_u16_e32 vcc_lo, 0, v0
	v_cndmask_b32_e64 v15, 0, 1.0, vcc_lo
.LBB47_2409:                            ;   in Loop: Header=BB47_17 Depth=1
	s_or_b32 exec_lo, exec_lo, s53
	s_delay_alu instid0(SALU_CYCLE_1)
	s_and_not1_b32 vcc_lo, s49, exec_lo
	s_and_b32 s49, s52, exec_lo
	s_or_b32 s50, s50, exec_lo
	s_and_not1_b32 s48, s48, exec_lo
	s_or_b32 s49, vcc_lo, s49
.LBB47_2410:                            ;   in Loop: Header=BB47_17 Depth=1
	s_or_b32 exec_lo, exec_lo, s51
	s_delay_alu instid0(SALU_CYCLE_1)
	s_and_not1_b32 s47, s47, exec_lo
	s_and_b32 s49, s49, exec_lo
	s_and_b32 vcc_lo, s50, exec_lo
	s_and_b32 s48, s48, exec_lo
	s_or_b32 s47, s47, s49
.LBB47_2411:                            ;   in Loop: Header=BB47_17 Depth=1
	s_or_b32 exec_lo, exec_lo, s46
	s_delay_alu instid0(SALU_CYCLE_1)
	s_and_not1_b32 s43, s43, exec_lo
	s_and_b32 vcc_lo, vcc_lo, exec_lo
	s_and_not1_b32 s44, s44, exec_lo
	s_or_b32 s43, s43, vcc_lo
	s_and_not1_b32 vcc_lo, s45, exec_lo
	s_and_b32 s45, s48, exec_lo
	s_and_b32 s46, s47, exec_lo
	s_or_b32 s45, vcc_lo, s45
	s_or_b32 s44, s44, s46
.LBB47_2412:                            ;   in Loop: Header=BB47_17 Depth=1
	s_or_b32 exec_lo, exec_lo, s42
	s_delay_alu instid0(SALU_CYCLE_1)
	s_and_b32 s43, s43, exec_lo
	s_and_b32 s42, s45, exec_lo
	;; [unrolled: 1-line block ×3, first 2 shown]
                                        ; implicit-def: $vgpr16
                                        ; implicit-def: $vgpr0_vgpr1
	s_and_not1_saveexec_b32 s41, s41
	s_cbranch_execz .LBB47_2329
.LBB47_2413:                            ;   in Loop: Header=BB47_17 Depth=1
	s_mov_b32 s45, exec_lo
                                        ; implicit-def: $vgpr15
	v_cmpx_lt_i16_e32 4, v16
	s_xor_b32 s45, exec_lo, s45
	s_cbranch_execz .LBB47_2435
; %bb.2414:                             ;   in Loop: Header=BB47_17 Depth=1
	s_mov_b32 s46, exec_lo
                                        ; implicit-def: $vgpr15
	v_cmpx_lt_i16_e32 7, v16
	s_xor_b32 s46, exec_lo, s46
	s_cbranch_execz .LBB47_2424
; %bb.2415:                             ;   in Loop: Header=BB47_17 Depth=1
	;; [unrolled: 6-line block ×3, first 2 shown]
	v_cmp_lt_i16_e32 vcc_lo, 9, v16
                                        ; implicit-def: $vgpr15
	s_and_saveexec_b32 s48, vcc_lo
	s_delay_alu instid0(SALU_CYCLE_1)
	s_xor_b32 vcc_lo, exec_lo, s48
	s_cbranch_execz .LBB47_2418
; %bb.2417:                             ;   in Loop: Header=BB47_17 Depth=1
	flat_load_b64 v[0:1], v[0:1]
	s_waitcnt vmcnt(0) lgkmcnt(0)
	v_cvt_f32_f64_e32 v15, v[0:1]
                                        ; implicit-def: $vgpr0_vgpr1
.LBB47_2418:                            ;   in Loop: Header=BB47_17 Depth=1
	s_and_not1_saveexec_b32 vcc_lo, vcc_lo
	s_cbranch_execz .LBB47_2420
; %bb.2419:                             ;   in Loop: Header=BB47_17 Depth=1
	flat_load_b32 v15, v[0:1]
.LBB47_2420:                            ;   in Loop: Header=BB47_17 Depth=1
	s_or_b32 exec_lo, exec_lo, vcc_lo
                                        ; implicit-def: $vgpr0_vgpr1
.LBB47_2421:                            ;   in Loop: Header=BB47_17 Depth=1
	s_and_not1_saveexec_b32 vcc_lo, s47
	s_cbranch_execz .LBB47_2423
; %bb.2422:                             ;   in Loop: Header=BB47_17 Depth=1
	flat_load_b32 v0, v[0:1]
	s_waitcnt vmcnt(0) lgkmcnt(0)
	v_cvt_f32_f16_e32 v15, v0
.LBB47_2423:                            ;   in Loop: Header=BB47_17 Depth=1
	s_or_b32 exec_lo, exec_lo, vcc_lo
                                        ; implicit-def: $vgpr0_vgpr1
                                        ; implicit-def: $vgpr16
.LBB47_2424:                            ;   in Loop: Header=BB47_17 Depth=1
	s_and_not1_saveexec_b32 s46, s46
	s_cbranch_execz .LBB47_2434
; %bb.2425:                             ;   in Loop: Header=BB47_17 Depth=1
	s_mov_b32 s47, exec_lo
                                        ; implicit-def: $vgpr15
	v_cmpx_lt_i16_e32 5, v16
	s_xor_b32 s47, exec_lo, s47
	s_cbranch_execz .LBB47_2431
; %bb.2426:                             ;   in Loop: Header=BB47_17 Depth=1
	v_cmp_lt_i16_e32 vcc_lo, 6, v16
                                        ; implicit-def: $vgpr15
	s_and_saveexec_b32 s48, vcc_lo
	s_delay_alu instid0(SALU_CYCLE_1)
	s_xor_b32 vcc_lo, exec_lo, s48
	s_cbranch_execz .LBB47_2428
; %bb.2427:                             ;   in Loop: Header=BB47_17 Depth=1
	flat_load_b64 v[0:1], v[0:1]
	s_waitcnt vmcnt(0) lgkmcnt(0)
	v_cvt_f32_f64_e32 v15, v[0:1]
                                        ; implicit-def: $vgpr0_vgpr1
.LBB47_2428:                            ;   in Loop: Header=BB47_17 Depth=1
	s_and_not1_saveexec_b32 vcc_lo, vcc_lo
	s_cbranch_execz .LBB47_2430
; %bb.2429:                             ;   in Loop: Header=BB47_17 Depth=1
	s_waitcnt vmcnt(0) lgkmcnt(0)
	flat_load_b32 v15, v[0:1]
.LBB47_2430:                            ;   in Loop: Header=BB47_17 Depth=1
	s_or_b32 exec_lo, exec_lo, vcc_lo
                                        ; implicit-def: $vgpr0_vgpr1
.LBB47_2431:                            ;   in Loop: Header=BB47_17 Depth=1
	s_and_not1_saveexec_b32 vcc_lo, s47
	s_cbranch_execz .LBB47_2433
; %bb.2432:                             ;   in Loop: Header=BB47_17 Depth=1
	flat_load_u16 v0, v[0:1]
	s_waitcnt vmcnt(0) lgkmcnt(0)
	v_cvt_f32_f16_e32 v15, v0
.LBB47_2433:                            ;   in Loop: Header=BB47_17 Depth=1
	s_or_b32 exec_lo, exec_lo, vcc_lo
.LBB47_2434:                            ;   in Loop: Header=BB47_17 Depth=1
	s_delay_alu instid0(SALU_CYCLE_1)
	s_or_b32 exec_lo, exec_lo, s46
                                        ; implicit-def: $vgpr16
                                        ; implicit-def: $vgpr0_vgpr1
.LBB47_2435:                            ;   in Loop: Header=BB47_17 Depth=1
	s_and_not1_saveexec_b32 s45, s45
	s_cbranch_execz .LBB47_2453
; %bb.2436:                             ;   in Loop: Header=BB47_17 Depth=1
	s_mov_b32 s46, exec_lo
                                        ; implicit-def: $vgpr15
	v_cmpx_lt_i16_e32 1, v16
	s_xor_b32 s46, exec_lo, s46
	s_cbranch_execz .LBB47_2446
; %bb.2437:                             ;   in Loop: Header=BB47_17 Depth=1
	s_mov_b32 s47, exec_lo
                                        ; implicit-def: $vgpr15
	v_cmpx_lt_i16_e32 2, v16
	s_xor_b32 s47, exec_lo, s47
	s_cbranch_execz .LBB47_2443
; %bb.2438:                             ;   in Loop: Header=BB47_17 Depth=1
	v_cmp_lt_i16_e32 vcc_lo, 3, v16
                                        ; implicit-def: $vgpr15
	s_and_saveexec_b32 s48, vcc_lo
	s_delay_alu instid0(SALU_CYCLE_1)
	s_xor_b32 vcc_lo, exec_lo, s48
	s_cbranch_execz .LBB47_2440
; %bb.2439:                             ;   in Loop: Header=BB47_17 Depth=1
	flat_load_b64 v[0:1], v[0:1]
	s_waitcnt vmcnt(0) lgkmcnt(0)
	v_xor_b32_e32 v15, v0, v1
	v_cls_i32_e32 v16, v1
	s_delay_alu instid0(VALU_DEP_2) | instskip(NEXT) | instid1(VALU_DEP_2)
	v_ashrrev_i32_e32 v15, 31, v15
	v_add_nc_u32_e32 v16, -1, v16
	s_delay_alu instid0(VALU_DEP_2) | instskip(NEXT) | instid1(VALU_DEP_1)
	v_add_nc_u32_e32 v15, 32, v15
	v_min_u32_e32 v15, v16, v15
	s_delay_alu instid0(VALU_DEP_1) | instskip(NEXT) | instid1(VALU_DEP_1)
	v_lshlrev_b64 v[0:1], v15, v[0:1]
	v_min_u32_e32 v0, 1, v0
	s_delay_alu instid0(VALU_DEP_1) | instskip(SKIP_1) | instid1(VALU_DEP_2)
	v_or_b32_e32 v0, v1, v0
	v_sub_nc_u32_e32 v1, 32, v15
	v_cvt_f32_i32_e32 v0, v0
	s_delay_alu instid0(VALU_DEP_1)
	v_ldexp_f32 v15, v0, v1
                                        ; implicit-def: $vgpr0_vgpr1
.LBB47_2440:                            ;   in Loop: Header=BB47_17 Depth=1
	s_and_not1_saveexec_b32 vcc_lo, vcc_lo
	s_cbranch_execz .LBB47_2442
; %bb.2441:                             ;   in Loop: Header=BB47_17 Depth=1
	flat_load_b32 v0, v[0:1]
	s_waitcnt vmcnt(0) lgkmcnt(0)
	v_cvt_f32_i32_e32 v15, v0
.LBB47_2442:                            ;   in Loop: Header=BB47_17 Depth=1
	s_or_b32 exec_lo, exec_lo, vcc_lo
                                        ; implicit-def: $vgpr0_vgpr1
.LBB47_2443:                            ;   in Loop: Header=BB47_17 Depth=1
	s_and_not1_saveexec_b32 vcc_lo, s47
	s_cbranch_execz .LBB47_2445
; %bb.2444:                             ;   in Loop: Header=BB47_17 Depth=1
	flat_load_i16 v0, v[0:1]
	s_waitcnt vmcnt(0) lgkmcnt(0)
	v_cvt_f32_i32_e32 v15, v0
.LBB47_2445:                            ;   in Loop: Header=BB47_17 Depth=1
	s_or_b32 exec_lo, exec_lo, vcc_lo
                                        ; implicit-def: $vgpr0_vgpr1
                                        ; implicit-def: $vgpr16
.LBB47_2446:                            ;   in Loop: Header=BB47_17 Depth=1
	s_and_not1_saveexec_b32 s46, s46
	s_cbranch_execz .LBB47_2452
; %bb.2447:                             ;   in Loop: Header=BB47_17 Depth=1
	v_cmp_lt_i16_e32 vcc_lo, 0, v16
                                        ; implicit-def: $vgpr15
	s_and_saveexec_b32 s47, vcc_lo
	s_delay_alu instid0(SALU_CYCLE_1)
	s_xor_b32 vcc_lo, exec_lo, s47
	s_cbranch_execz .LBB47_2449
; %bb.2448:                             ;   in Loop: Header=BB47_17 Depth=1
	flat_load_i8 v0, v[0:1]
	s_waitcnt vmcnt(0) lgkmcnt(0)
	v_cvt_f32_i32_e32 v15, v0
                                        ; implicit-def: $vgpr0_vgpr1
.LBB47_2449:                            ;   in Loop: Header=BB47_17 Depth=1
	s_and_not1_saveexec_b32 vcc_lo, vcc_lo
	s_cbranch_execz .LBB47_2451
; %bb.2450:                             ;   in Loop: Header=BB47_17 Depth=1
	flat_load_u8 v0, v[0:1]
	s_waitcnt vmcnt(0) lgkmcnt(0)
	v_cvt_f32_ubyte0_e32 v15, v0
.LBB47_2451:                            ;   in Loop: Header=BB47_17 Depth=1
	s_or_b32 exec_lo, exec_lo, vcc_lo
.LBB47_2452:                            ;   in Loop: Header=BB47_17 Depth=1
	s_delay_alu instid0(SALU_CYCLE_1)
	s_or_b32 exec_lo, exec_lo, s46
.LBB47_2453:                            ;   in Loop: Header=BB47_17 Depth=1
	s_delay_alu instid0(SALU_CYCLE_1) | instskip(NEXT) | instid1(SALU_CYCLE_1)
	s_or_b32 exec_lo, exec_lo, s45
	s_and_not1_b32 s43, s43, exec_lo
	s_and_not1_b32 s42, s42, exec_lo
	s_or_b32 s44, s44, exec_lo
	s_or_b32 exec_lo, exec_lo, s41
	s_mov_b32 vcc_lo, 0
	s_and_saveexec_b32 s41, s44
	s_cbranch_execnz .LBB47_2330
	s_branch .LBB47_2331
.LBB47_2454:                            ;   in Loop: Header=BB47_17 Depth=1
	s_mov_b32 s39, exec_lo
                                        ; implicit-def: $sgpr45
                                        ; implicit-def: $sgpr40
                                        ; implicit-def: $vgpr16
	v_cmpx_lt_i16_e32 25, v7
	s_xor_b32 s39, exec_lo, s39
	s_cbranch_execz .LBB47_2486
; %bb.2455:                             ;   in Loop: Header=BB47_17 Depth=1
	s_mov_b32 s40, exec_lo
                                        ; implicit-def: $sgpr45
                                        ; implicit-def: $sgpr46
                                        ; implicit-def: $vgpr16
	v_cmpx_lt_i16_e32 28, v7
	s_xor_b32 s40, exec_lo, s40
	s_cbranch_execz .LBB47_2471
; %bb.2456:                             ;   in Loop: Header=BB47_17 Depth=1
	s_mov_b32 s47, 0
	s_mov_b32 s44, exec_lo
                                        ; implicit-def: $sgpr45
                                        ; implicit-def: $sgpr46
                                        ; implicit-def: $vgpr16
	v_cmpx_lt_i16_e32 43, v7
	s_xor_b32 s44, exec_lo, s44
	s_cbranch_execz .LBB47_2466
; %bb.2457:                             ;   in Loop: Header=BB47_17 Depth=1
	s_mov_b32 s46, exec_lo
                                        ; implicit-def: $sgpr45
                                        ; implicit-def: $sgpr48
                                        ; implicit-def: $vgpr16
	v_cmpx_lt_i16_e32 45, v7
	s_xor_b32 s46, exec_lo, s46
	s_cbranch_execz .LBB47_2461
; %bb.2458:                             ;   in Loop: Header=BB47_17 Depth=1
	s_mov_b32 s45, 0
	s_mov_b32 s48, exec_lo
                                        ; implicit-def: $vgpr16
	v_cmpx_eq_u16_e32 46, v7
	s_cbranch_execz .LBB47_2460
; %bb.2459:                             ;   in Loop: Header=BB47_17 Depth=1
	flat_load_b32 v0, v[0:1]
	s_mov_b32 s47, exec_lo
	s_waitcnt vmcnt(0) lgkmcnt(0)
	v_lshlrev_b32_e32 v16, 16, v0
.LBB47_2460:                            ;   in Loop: Header=BB47_17 Depth=1
	s_or_b32 exec_lo, exec_lo, s48
	s_mov_b32 s48, -1
	s_and_b32 s47, s47, exec_lo
                                        ; implicit-def: $vgpr0_vgpr1
.LBB47_2461:                            ;   in Loop: Header=BB47_17 Depth=1
	s_and_not1_saveexec_b32 s46, s46
	s_cbranch_execz .LBB47_2465
; %bb.2462:                             ;   in Loop: Header=BB47_17 Depth=1
	s_mov_b32 s50, s47
	s_mov_b32 s49, exec_lo
                                        ; implicit-def: $vgpr16
	v_cmpx_eq_u16_e32 44, v7
	s_cbranch_execz .LBB47_2464
; %bb.2463:                             ;   in Loop: Header=BB47_17 Depth=1
	flat_load_u8 v0, v[0:1]
	s_or_b32 s50, s47, exec_lo
	s_waitcnt vmcnt(0) lgkmcnt(0)
	v_lshlrev_b32_e32 v1, 23, v0
	v_cmp_ne_u32_e32 vcc_lo, 0xff, v0
	s_delay_alu instid0(VALU_DEP_2) | instskip(SKIP_1) | instid1(VALU_DEP_2)
	v_cndmask_b32_e32 v1, 0x7f800001, v1, vcc_lo
	v_cmp_ne_u32_e32 vcc_lo, 0, v0
	v_cndmask_b32_e32 v16, 0x400000, v1, vcc_lo
.LBB47_2464:                            ;   in Loop: Header=BB47_17 Depth=1
	s_or_b32 exec_lo, exec_lo, s49
	s_delay_alu instid0(SALU_CYCLE_1)
	s_and_not1_b32 vcc_lo, s47, exec_lo
	s_and_b32 s47, s50, exec_lo
	s_and_not1_b32 s45, s45, exec_lo
	s_or_b32 s48, s48, exec_lo
	s_or_b32 s47, vcc_lo, s47
.LBB47_2465:                            ;   in Loop: Header=BB47_17 Depth=1
	s_or_b32 exec_lo, exec_lo, s46
	s_delay_alu instid0(SALU_CYCLE_1)
	s_and_b32 s46, s45, exec_lo
	s_and_b32 s45, s48, exec_lo
	;; [unrolled: 1-line block ×3, first 2 shown]
                                        ; implicit-def: $vgpr0_vgpr1
.LBB47_2466:                            ;   in Loop: Header=BB47_17 Depth=1
	s_and_not1_saveexec_b32 s44, s44
	s_cbranch_execz .LBB47_2470
; %bb.2467:                             ;   in Loop: Header=BB47_17 Depth=1
	s_mov_b32 s49, s47
	s_mov_b32 s48, exec_lo
                                        ; implicit-def: $vgpr16
	v_cmpx_eq_u16_e32 29, v7
	s_cbranch_execz .LBB47_2469
; %bb.2468:                             ;   in Loop: Header=BB47_17 Depth=1
	flat_load_b64 v[0:1], v[0:1]
	s_or_b32 s49, s47, exec_lo
	s_waitcnt vmcnt(0) lgkmcnt(0)
	v_clz_i32_u32_e32 v14, v1
	s_delay_alu instid0(VALU_DEP_1) | instskip(NEXT) | instid1(VALU_DEP_1)
	v_min_u32_e32 v14, 32, v14
	v_lshlrev_b64 v[0:1], v14, v[0:1]
	s_delay_alu instid0(VALU_DEP_1) | instskip(NEXT) | instid1(VALU_DEP_1)
	v_min_u32_e32 v0, 1, v0
	v_or_b32_e32 v0, v1, v0
	v_sub_nc_u32_e32 v1, 32, v14
	s_delay_alu instid0(VALU_DEP_2) | instskip(NEXT) | instid1(VALU_DEP_1)
	v_cvt_f32_u32_e32 v0, v0
	v_ldexp_f32 v16, v0, v1
.LBB47_2469:                            ;   in Loop: Header=BB47_17 Depth=1
	s_or_b32 exec_lo, exec_lo, s48
	s_delay_alu instid0(SALU_CYCLE_1)
	s_and_not1_b32 vcc_lo, s47, exec_lo
	s_and_b32 s47, s49, exec_lo
	s_and_not1_b32 s46, s46, exec_lo
	s_or_b32 s45, s45, exec_lo
	s_or_b32 s47, vcc_lo, s47
.LBB47_2470:                            ;   in Loop: Header=BB47_17 Depth=1
	s_or_b32 exec_lo, exec_lo, s44
	s_delay_alu instid0(SALU_CYCLE_1)
	s_and_b32 s46, s46, exec_lo
	s_and_b32 s45, s45, exec_lo
	;; [unrolled: 1-line block ×3, first 2 shown]
                                        ; implicit-def: $vgpr0_vgpr1
.LBB47_2471:                            ;   in Loop: Header=BB47_17 Depth=1
	s_and_not1_saveexec_b32 s40, s40
	s_cbranch_execz .LBB47_2485
; %bb.2472:                             ;   in Loop: Header=BB47_17 Depth=1
	s_mov_b32 s47, exec_lo
                                        ; implicit-def: $vgpr16
	v_cmpx_lt_i16_e32 26, v7
	s_xor_b32 s47, exec_lo, s47
	s_cbranch_execz .LBB47_2478
; %bb.2473:                             ;   in Loop: Header=BB47_17 Depth=1
	v_cmp_lt_i16_e32 vcc_lo, 27, v7
                                        ; implicit-def: $vgpr16
	s_and_saveexec_b32 s48, vcc_lo
	s_delay_alu instid0(SALU_CYCLE_1)
	s_xor_b32 vcc_lo, exec_lo, s48
	s_cbranch_execz .LBB47_2475
; %bb.2474:                             ;   in Loop: Header=BB47_17 Depth=1
	flat_load_b32 v0, v[0:1]
	s_waitcnt vmcnt(0) lgkmcnt(0)
	v_cvt_f32_u32_e32 v16, v0
                                        ; implicit-def: $vgpr0_vgpr1
.LBB47_2475:                            ;   in Loop: Header=BB47_17 Depth=1
	s_and_not1_saveexec_b32 vcc_lo, vcc_lo
	s_cbranch_execz .LBB47_2477
; %bb.2476:                             ;   in Loop: Header=BB47_17 Depth=1
	flat_load_u16 v0, v[0:1]
	s_waitcnt vmcnt(0) lgkmcnt(0)
	v_cvt_f32_u32_e32 v16, v0
.LBB47_2477:                            ;   in Loop: Header=BB47_17 Depth=1
	s_or_b32 exec_lo, exec_lo, vcc_lo
                                        ; implicit-def: $vgpr0_vgpr1
.LBB47_2478:                            ;   in Loop: Header=BB47_17 Depth=1
	s_and_not1_saveexec_b32 s47, s47
	s_cbranch_execz .LBB47_2484
; %bb.2479:                             ;   in Loop: Header=BB47_17 Depth=1
	flat_load_u8 v0, v[0:1]
	s_mov_b32 s48, 0
	s_mov_b32 s50, exec_lo
                                        ; implicit-def: $sgpr49
	s_waitcnt vmcnt(0) lgkmcnt(0)
	v_cmpx_lt_i16_e32 0x7f, v0
	s_xor_b32 s50, exec_lo, s50
	s_cbranch_execnz .LBB47_3258
; %bb.2480:                             ;   in Loop: Header=BB47_17 Depth=1
	s_or_saveexec_b32 s50, s50
	v_mov_b32_e32 v16, s49
	s_xor_b32 exec_lo, exec_lo, s50
	s_cbranch_execnz .LBB47_3261
.LBB47_2481:                            ;   in Loop: Header=BB47_17 Depth=1
	s_or_b32 exec_lo, exec_lo, s50
	s_and_saveexec_b32 s49, s48
	s_cbranch_execz .LBB47_2483
.LBB47_2482:                            ;   in Loop: Header=BB47_17 Depth=1
	v_and_b32_e32 v1, 0xffff, v0
	v_lshlrev_b32_e32 v0, 24, v0
	s_delay_alu instid0(VALU_DEP_2) | instskip(NEXT) | instid1(VALU_DEP_2)
	v_and_b32_e32 v14, 7, v1
	v_and_b32_e32 v0, 0x80000000, v0
	s_delay_alu instid0(VALU_DEP_2) | instskip(NEXT) | instid1(VALU_DEP_1)
	v_clz_i32_u32_e32 v16, v14
	v_min_u32_e32 v16, 32, v16
	s_delay_alu instid0(VALU_DEP_1) | instskip(SKIP_1) | instid1(VALU_DEP_2)
	v_subrev_nc_u32_e32 v17, 28, v16
	v_sub_nc_u32_e32 v16, 29, v16
	v_lshlrev_b32_e32 v17, v17, v1
	v_bfe_u32 v1, v1, 3, 4
	s_delay_alu instid0(VALU_DEP_2) | instskip(NEXT) | instid1(VALU_DEP_2)
	v_and_b32_e32 v17, 7, v17
	v_cmp_eq_u32_e32 vcc_lo, 0, v1
	s_delay_alu instid0(VALU_DEP_2) | instskip(NEXT) | instid1(VALU_DEP_1)
	v_dual_cndmask_b32 v1, v1, v16 :: v_dual_cndmask_b32 v14, v14, v17
	v_lshl_add_u32 v1, v1, 23, 0x3b800000
	s_delay_alu instid0(VALU_DEP_2) | instskip(NEXT) | instid1(VALU_DEP_1)
	v_lshlrev_b32_e32 v14, 20, v14
	v_or3_b32 v16, v0, v1, v14
.LBB47_2483:                            ;   in Loop: Header=BB47_17 Depth=1
	s_or_b32 exec_lo, exec_lo, s49
.LBB47_2484:                            ;   in Loop: Header=BB47_17 Depth=1
	s_delay_alu instid0(SALU_CYCLE_1) | instskip(NEXT) | instid1(SALU_CYCLE_1)
	s_or_b32 exec_lo, exec_lo, s47
	s_and_not1_b32 s46, s46, exec_lo
	s_and_not1_b32 s45, s45, exec_lo
	s_or_b32 s44, s44, exec_lo
.LBB47_2485:                            ;   in Loop: Header=BB47_17 Depth=1
	s_or_b32 exec_lo, exec_lo, s40
	s_delay_alu instid0(SALU_CYCLE_1)
	s_and_b32 s40, s46, exec_lo
	s_and_b32 s45, s45, exec_lo
	;; [unrolled: 1-line block ×3, first 2 shown]
                                        ; implicit-def: $vgpr0_vgpr1
.LBB47_2486:                            ;   in Loop: Header=BB47_17 Depth=1
	s_and_not1_saveexec_b32 s39, s39
	s_cbranch_execz .LBB47_2512
; %bb.2487:                             ;   in Loop: Header=BB47_17 Depth=1
	s_mov_b32 s47, s44
	s_mov_b32 s46, exec_lo
                                        ; implicit-def: $vgpr16
	v_cmpx_lt_i16_e32 22, v7
	s_xor_b32 s46, exec_lo, s46
	s_cbranch_execz .LBB47_2501
; %bb.2488:                             ;   in Loop: Header=BB47_17 Depth=1
	s_mov_b32 s47, exec_lo
                                        ; implicit-def: $vgpr16
	v_cmpx_lt_i16_e32 23, v7
	s_xor_b32 s47, exec_lo, s47
	s_cbranch_execz .LBB47_2498
; %bb.2489:                             ;   in Loop: Header=BB47_17 Depth=1
	;; [unrolled: 6-line block ×3, first 2 shown]
	flat_load_u8 v0, v[0:1]
	s_mov_b32 s49, 0
	s_mov_b32 s51, exec_lo
                                        ; implicit-def: $sgpr50
	s_waitcnt vmcnt(0) lgkmcnt(0)
	v_cmpx_lt_i16_e32 0x7f, v0
	s_xor_b32 s51, exec_lo, s51
	s_cbranch_execnz .LBB47_3474
; %bb.2491:                             ;   in Loop: Header=BB47_17 Depth=1
	s_or_saveexec_b32 s51, s51
	v_mov_b32_e32 v16, s50
	s_xor_b32 exec_lo, exec_lo, s51
	s_cbranch_execnz .LBB47_3477
.LBB47_2492:                            ;   in Loop: Header=BB47_17 Depth=1
	s_or_b32 exec_lo, exec_lo, s51
	s_and_saveexec_b32 s50, s49
	s_cbranch_execz .LBB47_2494
.LBB47_2493:                            ;   in Loop: Header=BB47_17 Depth=1
	v_and_b32_e32 v1, 0xffff, v0
	v_lshlrev_b32_e32 v0, 24, v0
	s_delay_alu instid0(VALU_DEP_2) | instskip(NEXT) | instid1(VALU_DEP_2)
	v_and_b32_e32 v14, 3, v1
	v_and_b32_e32 v0, 0x80000000, v0
	s_delay_alu instid0(VALU_DEP_2) | instskip(NEXT) | instid1(VALU_DEP_1)
	v_clz_i32_u32_e32 v16, v14
	v_min_u32_e32 v16, 32, v16
	s_delay_alu instid0(VALU_DEP_1) | instskip(SKIP_1) | instid1(VALU_DEP_2)
	v_subrev_nc_u32_e32 v17, 29, v16
	v_sub_nc_u32_e32 v16, 30, v16
	v_lshlrev_b32_e32 v17, v17, v1
	v_bfe_u32 v1, v1, 2, 5
	s_delay_alu instid0(VALU_DEP_2) | instskip(NEXT) | instid1(VALU_DEP_2)
	v_and_b32_e32 v17, 3, v17
	v_cmp_eq_u32_e32 vcc_lo, 0, v1
	s_delay_alu instid0(VALU_DEP_2) | instskip(NEXT) | instid1(VALU_DEP_1)
	v_dual_cndmask_b32 v1, v1, v16 :: v_dual_cndmask_b32 v14, v14, v17
	v_lshl_add_u32 v1, v1, 23, 0x37800000
	s_delay_alu instid0(VALU_DEP_2) | instskip(NEXT) | instid1(VALU_DEP_1)
	v_lshlrev_b32_e32 v14, 21, v14
	v_or3_b32 v16, v0, v1, v14
.LBB47_2494:                            ;   in Loop: Header=BB47_17 Depth=1
	s_or_b32 exec_lo, exec_lo, s50
                                        ; implicit-def: $vgpr0_vgpr1
.LBB47_2495:                            ;   in Loop: Header=BB47_17 Depth=1
	s_and_not1_saveexec_b32 s48, s48
	s_cbranch_execz .LBB47_2497
; %bb.2496:                             ;   in Loop: Header=BB47_17 Depth=1
	flat_load_u8 v0, v[0:1]
	s_waitcnt vmcnt(0) lgkmcnt(0)
	v_lshlrev_b32_e32 v0, 24, v0
	s_delay_alu instid0(VALU_DEP_1) | instskip(NEXT) | instid1(VALU_DEP_1)
	v_and_b32_e32 v1, 0x7f000000, v0
	v_clz_i32_u32_e32 v14, v1
	v_add_nc_u32_e32 v17, 0x1000000, v1
	v_cmp_ne_u32_e32 vcc_lo, 0, v1
	s_delay_alu instid0(VALU_DEP_3) | instskip(NEXT) | instid1(VALU_DEP_1)
	v_min_u32_e32 v14, 32, v14
	v_sub_nc_u32_e64 v14, v14, 4 clamp
	s_delay_alu instid0(VALU_DEP_1) | instskip(SKIP_1) | instid1(VALU_DEP_2)
	v_lshlrev_b32_e32 v16, v14, v1
	v_lshlrev_b32_e32 v14, 23, v14
	v_lshrrev_b32_e32 v16, 4, v16
	s_delay_alu instid0(VALU_DEP_1) | instskip(SKIP_1) | instid1(VALU_DEP_2)
	v_sub_nc_u32_e32 v14, v16, v14
	v_ashrrev_i32_e32 v16, 8, v17
	v_add_nc_u32_e32 v14, 0x3c000000, v14
	s_delay_alu instid0(VALU_DEP_1) | instskip(NEXT) | instid1(VALU_DEP_1)
	v_and_or_b32 v14, 0x7f800000, v16, v14
	v_cndmask_b32_e32 v1, 0, v14, vcc_lo
	s_delay_alu instid0(VALU_DEP_1)
	v_and_or_b32 v16, 0x80000000, v0, v1
.LBB47_2497:                            ;   in Loop: Header=BB47_17 Depth=1
	s_or_b32 exec_lo, exec_lo, s48
                                        ; implicit-def: $vgpr0_vgpr1
.LBB47_2498:                            ;   in Loop: Header=BB47_17 Depth=1
	s_and_not1_saveexec_b32 s47, s47
	s_cbranch_execz .LBB47_2500
; %bb.2499:                             ;   in Loop: Header=BB47_17 Depth=1
	flat_load_u8 v0, v[0:1]
	s_waitcnt vmcnt(0) lgkmcnt(0)
	v_lshlrev_b32_e32 v1, 25, v0
	v_lshlrev_b16 v0, 8, v0
	s_delay_alu instid0(VALU_DEP_2) | instskip(NEXT) | instid1(VALU_DEP_2)
	v_lshrrev_b32_e32 v14, 4, v1
	v_and_or_b32 v16, 0x7f00, v0, 0.5
	v_bfe_i32 v0, v0, 0, 16
	s_delay_alu instid0(VALU_DEP_3) | instskip(NEXT) | instid1(VALU_DEP_3)
	v_or_b32_e32 v14, 0x70000000, v14
	v_add_f32_e32 v16, -0.5, v16
	s_delay_alu instid0(VALU_DEP_2) | instskip(SKIP_1) | instid1(VALU_DEP_2)
	v_mul_f32_e32 v14, 0x7800000, v14
	v_cmp_gt_u32_e32 vcc_lo, 0x8000000, v1
	v_cndmask_b32_e32 v1, v14, v16, vcc_lo
	s_delay_alu instid0(VALU_DEP_1)
	v_and_or_b32 v16, 0x80000000, v0, v1
.LBB47_2500:                            ;   in Loop: Header=BB47_17 Depth=1
	s_or_b32 exec_lo, exec_lo, s47
	s_delay_alu instid0(SALU_CYCLE_1)
	s_or_b32 s47, s44, exec_lo
                                        ; implicit-def: $vgpr0_vgpr1
.LBB47_2501:                            ;   in Loop: Header=BB47_17 Depth=1
	s_or_saveexec_b32 s46, s46
                                        ; implicit-def: $sgpr48
                                        ; implicit-def: $vcc_lo
	s_delay_alu instid0(SALU_CYCLE_1)
	s_xor_b32 exec_lo, exec_lo, s46
	s_cbranch_execz .LBB47_2511
; %bb.2502:                             ;   in Loop: Header=BB47_17 Depth=1
	s_mov_b32 s49, s47
	s_mov_b32 s51, exec_lo
                                        ; implicit-def: $sgpr50
                                        ; implicit-def: $sgpr48
                                        ; implicit-def: $vgpr16
	v_cmpx_lt_i16_e32 14, v7
	s_xor_b32 s51, exec_lo, s51
	s_cbranch_execz .LBB47_2506
; %bb.2503:                             ;   in Loop: Header=BB47_17 Depth=1
	s_mov_b32 s49, s47
	s_mov_b32 s48, exec_lo
                                        ; implicit-def: $vgpr16
	v_cmpx_eq_u16_e32 15, v7
	s_cbranch_execz .LBB47_2505
; %bb.2504:                             ;   in Loop: Header=BB47_17 Depth=1
	flat_load_u16 v0, v[0:1]
	s_or_b32 s49, s47, exec_lo
	s_waitcnt vmcnt(0) lgkmcnt(0)
	v_lshlrev_b32_e32 v16, 16, v0
.LBB47_2505:                            ;   in Loop: Header=BB47_17 Depth=1
	s_or_b32 exec_lo, exec_lo, s48
	s_delay_alu instid0(SALU_CYCLE_1)
	s_and_not1_b32 vcc_lo, s47, exec_lo
	s_and_b32 s49, s49, exec_lo
	s_mov_b32 s48, -1
	s_mov_b32 s50, 0
	s_or_b32 s49, vcc_lo, s49
                                        ; implicit-def: $vgpr0_vgpr1
.LBB47_2506:                            ;   in Loop: Header=BB47_17 Depth=1
	s_and_not1_saveexec_b32 s51, s51
	s_cbranch_execz .LBB47_2510
; %bb.2507:                             ;   in Loop: Header=BB47_17 Depth=1
	s_mov_b32 s52, s49
	s_mov_b32 s53, exec_lo
                                        ; implicit-def: $vgpr16
	v_cmpx_eq_u16_e32 11, v7
	s_cbranch_execz .LBB47_2509
; %bb.2508:                             ;   in Loop: Header=BB47_17 Depth=1
	flat_load_u8 v0, v[0:1]
	s_or_b32 s52, s49, exec_lo
	s_waitcnt vmcnt(0) lgkmcnt(0)
	v_cmp_ne_u16_e32 vcc_lo, 0, v0
	v_cndmask_b32_e64 v16, 0, 1.0, vcc_lo
.LBB47_2509:                            ;   in Loop: Header=BB47_17 Depth=1
	s_or_b32 exec_lo, exec_lo, s53
	s_delay_alu instid0(SALU_CYCLE_1)
	s_and_not1_b32 vcc_lo, s49, exec_lo
	s_and_b32 s49, s52, exec_lo
	s_and_not1_b32 s50, s50, exec_lo
	s_or_b32 s48, s48, exec_lo
	s_or_b32 s49, vcc_lo, s49
.LBB47_2510:                            ;   in Loop: Header=BB47_17 Depth=1
	s_or_b32 exec_lo, exec_lo, s51
	s_delay_alu instid0(SALU_CYCLE_1)
	s_and_not1_b32 s47, s47, exec_lo
	s_and_b32 s49, s49, exec_lo
	s_and_b32 vcc_lo, s50, exec_lo
	s_and_b32 s48, s48, exec_lo
	s_or_b32 s47, s47, s49
.LBB47_2511:                            ;   in Loop: Header=BB47_17 Depth=1
	s_or_b32 exec_lo, exec_lo, s46
	s_delay_alu instid0(SALU_CYCLE_1)
	s_and_not1_b32 s40, s40, exec_lo
	s_and_b32 vcc_lo, vcc_lo, exec_lo
	s_and_not1_b32 s44, s44, exec_lo
	s_or_b32 s40, s40, vcc_lo
	s_and_not1_b32 vcc_lo, s45, exec_lo
	s_and_b32 s45, s48, exec_lo
	s_and_b32 s46, s47, exec_lo
	s_or_b32 s45, vcc_lo, s45
	s_or_b32 s44, s44, s46
.LBB47_2512:                            ;   in Loop: Header=BB47_17 Depth=1
	s_or_b32 exec_lo, exec_lo, s39
	s_delay_alu instid0(SALU_CYCLE_1)
	s_and_b32 s40, s40, exec_lo
	s_and_b32 s39, s45, exec_lo
	;; [unrolled: 1-line block ×3, first 2 shown]
                                        ; implicit-def: $vgpr0_vgpr1
	s_and_not1_saveexec_b32 s43, s43
	s_cbranch_execz .LBB47_2337
.LBB47_2513:                            ;   in Loop: Header=BB47_17 Depth=1
	s_mov_b32 s45, exec_lo
                                        ; implicit-def: $vgpr16
	v_cmpx_lt_i16_e32 4, v7
	s_xor_b32 s45, exec_lo, s45
	s_cbranch_execz .LBB47_2535
; %bb.2514:                             ;   in Loop: Header=BB47_17 Depth=1
	s_mov_b32 s46, exec_lo
                                        ; implicit-def: $vgpr16
	v_cmpx_lt_i16_e32 7, v7
	s_xor_b32 s46, exec_lo, s46
	s_cbranch_execz .LBB47_2524
; %bb.2515:                             ;   in Loop: Header=BB47_17 Depth=1
	;; [unrolled: 6-line block ×3, first 2 shown]
	v_cmp_lt_i16_e32 vcc_lo, 9, v7
                                        ; implicit-def: $vgpr16
	s_and_saveexec_b32 s48, vcc_lo
	s_delay_alu instid0(SALU_CYCLE_1)
	s_xor_b32 vcc_lo, exec_lo, s48
	s_cbranch_execz .LBB47_2518
; %bb.2517:                             ;   in Loop: Header=BB47_17 Depth=1
	flat_load_b64 v[0:1], v[0:1]
	s_waitcnt vmcnt(0) lgkmcnt(0)
	v_cvt_f32_f64_e32 v16, v[0:1]
                                        ; implicit-def: $vgpr0_vgpr1
.LBB47_2518:                            ;   in Loop: Header=BB47_17 Depth=1
	s_and_not1_saveexec_b32 vcc_lo, vcc_lo
	s_cbranch_execz .LBB47_2520
; %bb.2519:                             ;   in Loop: Header=BB47_17 Depth=1
	flat_load_b32 v16, v[0:1]
.LBB47_2520:                            ;   in Loop: Header=BB47_17 Depth=1
	s_or_b32 exec_lo, exec_lo, vcc_lo
                                        ; implicit-def: $vgpr0_vgpr1
.LBB47_2521:                            ;   in Loop: Header=BB47_17 Depth=1
	s_and_not1_saveexec_b32 vcc_lo, s47
	s_cbranch_execz .LBB47_2523
; %bb.2522:                             ;   in Loop: Header=BB47_17 Depth=1
	flat_load_b32 v0, v[0:1]
	s_waitcnt vmcnt(0) lgkmcnt(0)
	v_cvt_f32_f16_e32 v16, v0
.LBB47_2523:                            ;   in Loop: Header=BB47_17 Depth=1
	s_or_b32 exec_lo, exec_lo, vcc_lo
                                        ; implicit-def: $vgpr0_vgpr1
.LBB47_2524:                            ;   in Loop: Header=BB47_17 Depth=1
	s_and_not1_saveexec_b32 s46, s46
	s_cbranch_execz .LBB47_2534
; %bb.2525:                             ;   in Loop: Header=BB47_17 Depth=1
	s_mov_b32 s47, exec_lo
                                        ; implicit-def: $vgpr16
	v_cmpx_lt_i16_e32 5, v7
	s_xor_b32 s47, exec_lo, s47
	s_cbranch_execz .LBB47_2531
; %bb.2526:                             ;   in Loop: Header=BB47_17 Depth=1
	v_cmp_lt_i16_e32 vcc_lo, 6, v7
                                        ; implicit-def: $vgpr16
	s_and_saveexec_b32 s48, vcc_lo
	s_delay_alu instid0(SALU_CYCLE_1)
	s_xor_b32 vcc_lo, exec_lo, s48
	s_cbranch_execz .LBB47_2528
; %bb.2527:                             ;   in Loop: Header=BB47_17 Depth=1
	flat_load_b64 v[0:1], v[0:1]
	s_waitcnt vmcnt(0) lgkmcnt(0)
	v_cvt_f32_f64_e32 v16, v[0:1]
                                        ; implicit-def: $vgpr0_vgpr1
.LBB47_2528:                            ;   in Loop: Header=BB47_17 Depth=1
	s_and_not1_saveexec_b32 vcc_lo, vcc_lo
	s_cbranch_execz .LBB47_2530
; %bb.2529:                             ;   in Loop: Header=BB47_17 Depth=1
	s_waitcnt vmcnt(0) lgkmcnt(0)
	flat_load_b32 v16, v[0:1]
.LBB47_2530:                            ;   in Loop: Header=BB47_17 Depth=1
	s_or_b32 exec_lo, exec_lo, vcc_lo
                                        ; implicit-def: $vgpr0_vgpr1
.LBB47_2531:                            ;   in Loop: Header=BB47_17 Depth=1
	s_and_not1_saveexec_b32 vcc_lo, s47
	s_cbranch_execz .LBB47_2533
; %bb.2532:                             ;   in Loop: Header=BB47_17 Depth=1
	flat_load_u16 v0, v[0:1]
	s_waitcnt vmcnt(0) lgkmcnt(0)
	v_cvt_f32_f16_e32 v16, v0
.LBB47_2533:                            ;   in Loop: Header=BB47_17 Depth=1
	s_or_b32 exec_lo, exec_lo, vcc_lo
.LBB47_2534:                            ;   in Loop: Header=BB47_17 Depth=1
	s_delay_alu instid0(SALU_CYCLE_1)
	s_or_b32 exec_lo, exec_lo, s46
                                        ; implicit-def: $vgpr0_vgpr1
.LBB47_2535:                            ;   in Loop: Header=BB47_17 Depth=1
	s_and_not1_saveexec_b32 s45, s45
	s_cbranch_execz .LBB47_2553
; %bb.2536:                             ;   in Loop: Header=BB47_17 Depth=1
	s_mov_b32 s46, exec_lo
                                        ; implicit-def: $vgpr16
	v_cmpx_lt_i16_e32 1, v7
	s_xor_b32 s46, exec_lo, s46
	s_cbranch_execz .LBB47_2546
; %bb.2537:                             ;   in Loop: Header=BB47_17 Depth=1
	s_mov_b32 s47, exec_lo
                                        ; implicit-def: $vgpr16
	v_cmpx_lt_i16_e32 2, v7
	s_xor_b32 s47, exec_lo, s47
	s_cbranch_execz .LBB47_2543
; %bb.2538:                             ;   in Loop: Header=BB47_17 Depth=1
	v_cmp_lt_i16_e32 vcc_lo, 3, v7
                                        ; implicit-def: $vgpr16
	s_and_saveexec_b32 s48, vcc_lo
	s_delay_alu instid0(SALU_CYCLE_1)
	s_xor_b32 vcc_lo, exec_lo, s48
	s_cbranch_execz .LBB47_2540
; %bb.2539:                             ;   in Loop: Header=BB47_17 Depth=1
	flat_load_b64 v[0:1], v[0:1]
	s_waitcnt vmcnt(0) lgkmcnt(0)
	v_xor_b32_e32 v14, v0, v1
	v_cls_i32_e32 v16, v1
	s_delay_alu instid0(VALU_DEP_2) | instskip(NEXT) | instid1(VALU_DEP_2)
	v_ashrrev_i32_e32 v14, 31, v14
	v_add_nc_u32_e32 v16, -1, v16
	s_delay_alu instid0(VALU_DEP_2) | instskip(NEXT) | instid1(VALU_DEP_1)
	v_add_nc_u32_e32 v14, 32, v14
	v_min_u32_e32 v14, v16, v14
	s_delay_alu instid0(VALU_DEP_1) | instskip(NEXT) | instid1(VALU_DEP_1)
	v_lshlrev_b64 v[0:1], v14, v[0:1]
	v_min_u32_e32 v0, 1, v0
	s_delay_alu instid0(VALU_DEP_1) | instskip(SKIP_1) | instid1(VALU_DEP_2)
	v_or_b32_e32 v0, v1, v0
	v_sub_nc_u32_e32 v1, 32, v14
	v_cvt_f32_i32_e32 v0, v0
	s_delay_alu instid0(VALU_DEP_1)
	v_ldexp_f32 v16, v0, v1
                                        ; implicit-def: $vgpr0_vgpr1
.LBB47_2540:                            ;   in Loop: Header=BB47_17 Depth=1
	s_and_not1_saveexec_b32 vcc_lo, vcc_lo
	s_cbranch_execz .LBB47_2542
; %bb.2541:                             ;   in Loop: Header=BB47_17 Depth=1
	flat_load_b32 v0, v[0:1]
	s_waitcnt vmcnt(0) lgkmcnt(0)
	v_cvt_f32_i32_e32 v16, v0
.LBB47_2542:                            ;   in Loop: Header=BB47_17 Depth=1
	s_or_b32 exec_lo, exec_lo, vcc_lo
                                        ; implicit-def: $vgpr0_vgpr1
.LBB47_2543:                            ;   in Loop: Header=BB47_17 Depth=1
	s_and_not1_saveexec_b32 vcc_lo, s47
	s_cbranch_execz .LBB47_2545
; %bb.2544:                             ;   in Loop: Header=BB47_17 Depth=1
	flat_load_i16 v0, v[0:1]
	s_waitcnt vmcnt(0) lgkmcnt(0)
	v_cvt_f32_i32_e32 v16, v0
.LBB47_2545:                            ;   in Loop: Header=BB47_17 Depth=1
	s_or_b32 exec_lo, exec_lo, vcc_lo
                                        ; implicit-def: $vgpr0_vgpr1
.LBB47_2546:                            ;   in Loop: Header=BB47_17 Depth=1
	s_and_not1_saveexec_b32 s46, s46
	s_cbranch_execz .LBB47_2552
; %bb.2547:                             ;   in Loop: Header=BB47_17 Depth=1
	v_cmp_lt_i16_e32 vcc_lo, 0, v7
                                        ; implicit-def: $vgpr16
	s_and_saveexec_b32 s47, vcc_lo
	s_delay_alu instid0(SALU_CYCLE_1)
	s_xor_b32 vcc_lo, exec_lo, s47
	s_cbranch_execz .LBB47_2549
; %bb.2548:                             ;   in Loop: Header=BB47_17 Depth=1
	flat_load_i8 v0, v[0:1]
	s_waitcnt vmcnt(0) lgkmcnt(0)
	v_cvt_f32_i32_e32 v16, v0
                                        ; implicit-def: $vgpr0_vgpr1
.LBB47_2549:                            ;   in Loop: Header=BB47_17 Depth=1
	s_and_not1_saveexec_b32 vcc_lo, vcc_lo
	s_cbranch_execz .LBB47_2551
; %bb.2550:                             ;   in Loop: Header=BB47_17 Depth=1
	flat_load_u8 v0, v[0:1]
	s_waitcnt vmcnt(0) lgkmcnt(0)
	v_cvt_f32_ubyte0_e32 v16, v0
.LBB47_2551:                            ;   in Loop: Header=BB47_17 Depth=1
	s_or_b32 exec_lo, exec_lo, vcc_lo
.LBB47_2552:                            ;   in Loop: Header=BB47_17 Depth=1
	s_delay_alu instid0(SALU_CYCLE_1)
	s_or_b32 exec_lo, exec_lo, s46
.LBB47_2553:                            ;   in Loop: Header=BB47_17 Depth=1
	s_delay_alu instid0(SALU_CYCLE_1) | instskip(NEXT) | instid1(SALU_CYCLE_1)
	s_or_b32 exec_lo, exec_lo, s45
	s_and_not1_b32 s40, s40, exec_lo
	s_and_not1_b32 s39, s39, exec_lo
	s_or_b32 s44, s44, exec_lo
	s_or_b32 exec_lo, exec_lo, s43
	s_mov_b32 vcc_lo, 0
	s_and_saveexec_b32 s43, s44
	s_cbranch_execz .LBB47_2559
.LBB47_2554:                            ;   in Loop: Header=BB47_17 Depth=1
	v_add_nc_u32_e64 v14, s1, s33
	s_mov_b32 s47, 0
	s_mov_b32 s44, exec_lo
                                        ; implicit-def: $sgpr45
                                        ; implicit-def: $sgpr46
	s_delay_alu instid0(VALU_DEP_1) | instskip(SKIP_4) | instid1(VALU_DEP_2)
	v_add_nc_u32_e32 v0, 0x5c, v14
	s_waitcnt vmcnt(0) lgkmcnt(0)
	scratch_store_b32 v0, v16, off
	v_mul_lo_u32 v0, v15, v10
	v_and_b32_e32 v16, 0xff, v8
                                        ; implicit-def: $vgpr15
	v_add_co_u32 v0, vcc_lo, v4, v0
	v_add_co_ci_u32_e32 v1, vcc_lo, 0, v5, vcc_lo
	s_delay_alu instid0(VALU_DEP_3)
	v_cmpx_lt_i16_e32 10, v16
	s_xor_b32 s44, exec_lo, s44
	s_cbranch_execnz .LBB47_2581
; %bb.2555:                             ;   in Loop: Header=BB47_17 Depth=1
	s_and_not1_saveexec_b32 s44, s44
	s_cbranch_execnz .LBB47_2640
.LBB47_2556:                            ;   in Loop: Header=BB47_17 Depth=1
	s_or_b32 exec_lo, exec_lo, s44
	s_mov_b32 vcc_lo, 0
	s_and_saveexec_b32 s44, s47
	s_cbranch_execz .LBB47_2558
.LBB47_2557:                            ;   in Loop: Header=BB47_17 Depth=1
	v_add_nc_u32_e32 v0, 0x58, v14
	v_add_nc_u32_e32 v13, 0x200, v13
	s_mov_b32 vcc_lo, exec_lo
	s_and_not1_b32 s46, s46, exec_lo
	s_and_not1_b32 s45, s45, exec_lo
	s_waitcnt vmcnt(0) lgkmcnt(0)
	scratch_store_b32 v0, v15, off
.LBB47_2558:                            ;   in Loop: Header=BB47_17 Depth=1
	s_or_b32 exec_lo, exec_lo, s44
	s_delay_alu instid0(SALU_CYCLE_1)
	s_and_not1_b32 s40, s40, exec_lo
	s_and_b32 s44, s46, exec_lo
	s_and_not1_b32 s39, s39, exec_lo
	s_and_b32 s45, s45, exec_lo
	s_or_b32 s40, s40, s44
	s_or_b32 s39, s39, s45
	s_and_b32 vcc_lo, vcc_lo, exec_lo
.LBB47_2559:                            ;   in Loop: Header=BB47_17 Depth=1
	s_or_b32 exec_lo, exec_lo, s43
	s_delay_alu instid0(SALU_CYCLE_1)
	s_and_b32 s40, s40, exec_lo
	s_and_b32 s39, s39, exec_lo
	s_or_not1_b32 s43, vcc_lo, exec_lo
.LBB47_2560:                            ;   in Loop: Header=BB47_17 Depth=1
	s_or_b32 exec_lo, exec_lo, s41
	s_and_saveexec_b32 s41, s43
	s_cbranch_execz .LBB47_5
; %bb.2561:                             ;   in Loop: Header=BB47_17 Depth=1
	s_mov_b32 s45, -1
	s_mov_b32 s46, -1
	s_mov_b32 s44, exec_lo
                                        ; implicit-def: $sgpr42
                                        ; implicit-def: $sgpr43
	v_cmpx_lt_i32_e64 v13, v6
	s_cbranch_execz .LBB47_2787
; %bb.2562:                             ;   in Loop: Header=BB47_17 Depth=1
	s_waitcnt vmcnt(0) lgkmcnt(0)
	v_add_nc_u32_e32 v15, s11, v13
	s_mov_b32 s47, 0
	s_mov_b32 s46, exec_lo
                                        ; implicit-def: $sgpr42
                                        ; implicit-def: $sgpr43
                                        ; implicit-def: $vgpr16
	s_delay_alu instid0(VALU_DEP_1) | instskip(NEXT) | instid1(VALU_DEP_1)
	v_mul_lo_u32 v0, v15, v9
	v_add_co_u32 v0, vcc_lo, v2, v0
	v_add_co_ci_u32_e32 v1, vcc_lo, 0, v3, vcc_lo
	v_cmpx_lt_i16_e32 10, v7
	s_xor_b32 s46, exec_lo, s46
	s_cbranch_execnz .LBB47_2681
; %bb.2563:                             ;   in Loop: Header=BB47_17 Depth=1
	s_and_not1_saveexec_b32 s46, s46
	s_cbranch_execnz .LBB47_2740
.LBB47_2564:                            ;   in Loop: Header=BB47_17 Depth=1
	s_or_b32 exec_lo, exec_lo, s46
	s_mov_b32 vcc_lo, 0
	s_and_saveexec_b32 s46, s47
	s_cbranch_execnz .LBB47_2781
	s_branch .LBB47_2786
.LBB47_2565:                            ;   in Loop: Header=BB47_17 Depth=1
	s_mov_b32 s37, -1
	s_mov_b32 s40, exec_lo
                                        ; implicit-def: $sgpr38
	v_cmpx_eq_u16_e32 0x80, v0
; %bb.2566:                             ;   in Loop: Header=BB47_17 Depth=1
	s_mov_b32 s38, 0x7f800001
	s_xor_b32 s37, exec_lo, -1
; %bb.2567:                             ;   in Loop: Header=BB47_17 Depth=1
	s_or_b32 exec_lo, exec_lo, s40
	s_delay_alu instid0(SALU_CYCLE_1)
	s_and_b32 s37, s37, exec_lo
	s_or_saveexec_b32 s39, s39
	v_mov_b32_e32 v15, s38
	s_xor_b32 exec_lo, exec_lo, s39
	s_cbranch_execz .LBB47_1484
.LBB47_2568:                            ;   in Loop: Header=BB47_17 Depth=1
	v_cmp_ne_u16_e32 vcc_lo, 0, v0
	v_mov_b32_e32 v15, 0
	s_and_not1_b32 s37, s37, exec_lo
	s_and_b32 vcc_lo, vcc_lo, exec_lo
	s_delay_alu instid0(SALU_CYCLE_1)
	s_or_b32 s37, s37, vcc_lo
	s_or_b32 exec_lo, exec_lo, s39
	s_and_saveexec_b32 s38, s37
	s_cbranch_execnz .LBB47_1485
	s_branch .LBB47_1486
.LBB47_2569:                            ;   in Loop: Header=BB47_17 Depth=1
	s_mov_b32 s37, -1
	s_mov_b32 s40, exec_lo
                                        ; implicit-def: $sgpr38
	v_cmpx_eq_u16_e32 0x80, v0
; %bb.2570:                             ;   in Loop: Header=BB47_17 Depth=1
	s_mov_b32 s38, 0x7f800001
	s_xor_b32 s37, exec_lo, -1
; %bb.2571:                             ;   in Loop: Header=BB47_17 Depth=1
	s_or_b32 exec_lo, exec_lo, s40
	s_delay_alu instid0(SALU_CYCLE_1)
	s_and_b32 s37, s37, exec_lo
	s_or_saveexec_b32 s39, s39
	v_mov_b32_e32 v16, s38
	s_xor_b32 exec_lo, exec_lo, s39
	s_cbranch_execz .LBB47_1584
.LBB47_2572:                            ;   in Loop: Header=BB47_17 Depth=1
	v_cmp_ne_u16_e32 vcc_lo, 0, v0
	v_mov_b32_e32 v16, 0
	s_and_not1_b32 s37, s37, exec_lo
	s_and_b32 vcc_lo, vcc_lo, exec_lo
	s_delay_alu instid0(SALU_CYCLE_1)
	s_or_b32 s37, s37, vcc_lo
	s_or_b32 exec_lo, exec_lo, s39
	s_and_saveexec_b32 s38, s37
	s_cbranch_execnz .LBB47_1585
	s_branch .LBB47_1586
.LBB47_2573:                            ;   in Loop: Header=BB47_17 Depth=1
	s_mov_b32 s39, -1
	s_mov_b32 s42, exec_lo
                                        ; implicit-def: $sgpr40
	v_cmpx_eq_u16_e32 0x80, v0
; %bb.2574:                             ;   in Loop: Header=BB47_17 Depth=1
	s_mov_b32 s40, 0x7f800001
	s_xor_b32 s39, exec_lo, -1
; %bb.2575:                             ;   in Loop: Header=BB47_17 Depth=1
	s_or_b32 exec_lo, exec_lo, s42
	s_delay_alu instid0(SALU_CYCLE_1)
	s_and_b32 s39, s39, exec_lo
	s_or_saveexec_b32 s41, s41
	v_mov_b32_e32 v15, s40
	s_xor_b32 exec_lo, exec_lo, s41
	s_cbranch_execz .LBB47_1700
.LBB47_2576:                            ;   in Loop: Header=BB47_17 Depth=1
	v_cmp_ne_u16_e32 vcc_lo, 0, v0
	v_mov_b32_e32 v15, 0
	s_and_not1_b32 s39, s39, exec_lo
	s_and_b32 vcc_lo, vcc_lo, exec_lo
	s_delay_alu instid0(SALU_CYCLE_1)
	s_or_b32 s39, s39, vcc_lo
	s_or_b32 exec_lo, exec_lo, s41
	s_and_saveexec_b32 s40, s39
	s_cbranch_execnz .LBB47_1701
	s_branch .LBB47_1702
.LBB47_2577:                            ;   in Loop: Header=BB47_17 Depth=1
	s_mov_b32 s39, -1
	s_mov_b32 s42, exec_lo
                                        ; implicit-def: $sgpr40
	v_cmpx_eq_u16_e32 0x80, v0
; %bb.2578:                             ;   in Loop: Header=BB47_17 Depth=1
	s_mov_b32 s40, 0x7f800001
	s_xor_b32 s39, exec_lo, -1
; %bb.2579:                             ;   in Loop: Header=BB47_17 Depth=1
	s_or_b32 exec_lo, exec_lo, s42
	s_delay_alu instid0(SALU_CYCLE_1)
	s_and_b32 s39, s39, exec_lo
	s_or_saveexec_b32 s41, s41
	v_mov_b32_e32 v16, s40
	s_xor_b32 exec_lo, exec_lo, s41
	s_cbranch_execz .LBB47_1800
.LBB47_2580:                            ;   in Loop: Header=BB47_17 Depth=1
	v_cmp_ne_u16_e32 vcc_lo, 0, v0
	v_mov_b32_e32 v16, 0
	s_and_not1_b32 s39, s39, exec_lo
	s_and_b32 vcc_lo, vcc_lo, exec_lo
	s_delay_alu instid0(SALU_CYCLE_1)
	s_or_b32 s39, s39, vcc_lo
	s_or_b32 exec_lo, exec_lo, s41
	s_and_saveexec_b32 s40, s39
	s_cbranch_execnz .LBB47_1801
	s_branch .LBB47_1802
.LBB47_2581:                            ;   in Loop: Header=BB47_17 Depth=1
	s_mov_b32 s45, exec_lo
                                        ; implicit-def: $sgpr48
                                        ; implicit-def: $sgpr46
                                        ; implicit-def: $vgpr15
	v_cmpx_lt_i16_e32 25, v16
	s_xor_b32 s45, exec_lo, s45
	s_cbranch_execz .LBB47_2613
; %bb.2582:                             ;   in Loop: Header=BB47_17 Depth=1
	s_mov_b32 s46, exec_lo
                                        ; implicit-def: $sgpr48
                                        ; implicit-def: $sgpr49
                                        ; implicit-def: $vgpr15
	v_cmpx_lt_i16_e32 28, v16
	s_xor_b32 s46, exec_lo, s46
	s_cbranch_execz .LBB47_2598
; %bb.2583:                             ;   in Loop: Header=BB47_17 Depth=1
	s_mov_b32 s50, 0
	s_mov_b32 s47, exec_lo
                                        ; implicit-def: $sgpr48
                                        ; implicit-def: $sgpr49
                                        ; implicit-def: $vgpr15
	v_cmpx_lt_i16_e32 43, v16
	s_xor_b32 s47, exec_lo, s47
	s_cbranch_execz .LBB47_2593
; %bb.2584:                             ;   in Loop: Header=BB47_17 Depth=1
	s_mov_b32 s51, exec_lo
                                        ; implicit-def: $sgpr49
                                        ; implicit-def: $sgpr48
                                        ; implicit-def: $vgpr15
	v_cmpx_lt_i16_e32 45, v16
	s_xor_b32 s51, exec_lo, s51
	s_cbranch_execz .LBB47_2588
; %bb.2585:                             ;   in Loop: Header=BB47_17 Depth=1
	s_mov_b32 s48, 0
	s_mov_b32 s49, exec_lo
                                        ; implicit-def: $vgpr15
	v_cmpx_eq_u16_e32 46, v16
	s_cbranch_execz .LBB47_2587
; %bb.2586:                             ;   in Loop: Header=BB47_17 Depth=1
	flat_load_b32 v0, v[0:1]
	s_mov_b32 s50, exec_lo
	s_waitcnt vmcnt(0) lgkmcnt(0)
	v_lshlrev_b32_e32 v15, 16, v0
.LBB47_2587:                            ;   in Loop: Header=BB47_17 Depth=1
	s_or_b32 exec_lo, exec_lo, s49
	s_mov_b32 s49, -1
	s_and_b32 s50, s50, exec_lo
                                        ; implicit-def: $vgpr16
                                        ; implicit-def: $vgpr0_vgpr1
.LBB47_2588:                            ;   in Loop: Header=BB47_17 Depth=1
	s_and_not1_saveexec_b32 s51, s51
	s_cbranch_execz .LBB47_2592
; %bb.2589:                             ;   in Loop: Header=BB47_17 Depth=1
	s_mov_b32 s53, s50
	s_mov_b32 s52, exec_lo
                                        ; implicit-def: $vgpr15
	v_cmpx_eq_u16_e32 44, v16
	s_cbranch_execz .LBB47_2591
; %bb.2590:                             ;   in Loop: Header=BB47_17 Depth=1
	flat_load_u8 v0, v[0:1]
	s_or_b32 s53, s50, exec_lo
	s_waitcnt vmcnt(0) lgkmcnt(0)
	v_lshlrev_b32_e32 v1, 23, v0
	v_cmp_ne_u32_e32 vcc_lo, 0xff, v0
	s_delay_alu instid0(VALU_DEP_2) | instskip(SKIP_1) | instid1(VALU_DEP_2)
	v_cndmask_b32_e32 v1, 0x7f800001, v1, vcc_lo
	v_cmp_ne_u32_e32 vcc_lo, 0, v0
	v_cndmask_b32_e32 v15, 0x400000, v1, vcc_lo
.LBB47_2591:                            ;   in Loop: Header=BB47_17 Depth=1
	s_or_b32 exec_lo, exec_lo, s52
	s_delay_alu instid0(SALU_CYCLE_1)
	s_and_not1_b32 vcc_lo, s50, exec_lo
	s_and_b32 s50, s53, exec_lo
	s_or_b32 s49, s49, exec_lo
	s_and_not1_b32 s48, s48, exec_lo
	s_or_b32 s50, vcc_lo, s50
.LBB47_2592:                            ;   in Loop: Header=BB47_17 Depth=1
	s_or_b32 exec_lo, exec_lo, s51
	s_delay_alu instid0(SALU_CYCLE_1)
	s_and_b32 s49, s49, exec_lo
	s_and_b32 s48, s48, exec_lo
	;; [unrolled: 1-line block ×3, first 2 shown]
                                        ; implicit-def: $vgpr16
                                        ; implicit-def: $vgpr0_vgpr1
.LBB47_2593:                            ;   in Loop: Header=BB47_17 Depth=1
	s_and_not1_saveexec_b32 s47, s47
	s_cbranch_execz .LBB47_2597
; %bb.2594:                             ;   in Loop: Header=BB47_17 Depth=1
	s_mov_b32 s52, s50
	s_mov_b32 s51, exec_lo
                                        ; implicit-def: $vgpr15
	v_cmpx_eq_u16_e32 29, v16
	s_cbranch_execz .LBB47_2596
; %bb.2595:                             ;   in Loop: Header=BB47_17 Depth=1
	flat_load_b64 v[0:1], v[0:1]
	s_or_b32 s52, s50, exec_lo
	s_waitcnt vmcnt(0) lgkmcnt(0)
	v_clz_i32_u32_e32 v15, v1
	s_delay_alu instid0(VALU_DEP_1) | instskip(NEXT) | instid1(VALU_DEP_1)
	v_min_u32_e32 v15, 32, v15
	v_lshlrev_b64 v[0:1], v15, v[0:1]
	s_delay_alu instid0(VALU_DEP_1) | instskip(NEXT) | instid1(VALU_DEP_1)
	v_min_u32_e32 v0, 1, v0
	v_or_b32_e32 v0, v1, v0
	v_sub_nc_u32_e32 v1, 32, v15
	s_delay_alu instid0(VALU_DEP_2) | instskip(NEXT) | instid1(VALU_DEP_1)
	v_cvt_f32_u32_e32 v0, v0
	v_ldexp_f32 v15, v0, v1
.LBB47_2596:                            ;   in Loop: Header=BB47_17 Depth=1
	s_or_b32 exec_lo, exec_lo, s51
	s_delay_alu instid0(SALU_CYCLE_1)
	s_and_not1_b32 vcc_lo, s50, exec_lo
	s_and_b32 s50, s52, exec_lo
	s_or_b32 s49, s49, exec_lo
	s_and_not1_b32 s48, s48, exec_lo
	s_or_b32 s50, vcc_lo, s50
.LBB47_2597:                            ;   in Loop: Header=BB47_17 Depth=1
	s_or_b32 exec_lo, exec_lo, s47
	s_delay_alu instid0(SALU_CYCLE_1)
	s_and_b32 s49, s49, exec_lo
	s_and_b32 s48, s48, exec_lo
	;; [unrolled: 1-line block ×3, first 2 shown]
                                        ; implicit-def: $vgpr16
                                        ; implicit-def: $vgpr0_vgpr1
.LBB47_2598:                            ;   in Loop: Header=BB47_17 Depth=1
	s_and_not1_saveexec_b32 s46, s46
	s_cbranch_execz .LBB47_2612
; %bb.2599:                             ;   in Loop: Header=BB47_17 Depth=1
	s_mov_b32 s50, exec_lo
                                        ; implicit-def: $vgpr15
	v_cmpx_lt_i16_e32 26, v16
	s_xor_b32 s50, exec_lo, s50
	s_cbranch_execz .LBB47_2605
; %bb.2600:                             ;   in Loop: Header=BB47_17 Depth=1
	v_cmp_lt_i16_e32 vcc_lo, 27, v16
                                        ; implicit-def: $vgpr15
	s_and_saveexec_b32 s51, vcc_lo
	s_delay_alu instid0(SALU_CYCLE_1)
	s_xor_b32 vcc_lo, exec_lo, s51
	s_cbranch_execz .LBB47_2602
; %bb.2601:                             ;   in Loop: Header=BB47_17 Depth=1
	flat_load_b32 v0, v[0:1]
	s_waitcnt vmcnt(0) lgkmcnt(0)
	v_cvt_f32_u32_e32 v15, v0
                                        ; implicit-def: $vgpr0_vgpr1
.LBB47_2602:                            ;   in Loop: Header=BB47_17 Depth=1
	s_and_not1_saveexec_b32 vcc_lo, vcc_lo
	s_cbranch_execz .LBB47_2604
; %bb.2603:                             ;   in Loop: Header=BB47_17 Depth=1
	flat_load_u16 v0, v[0:1]
	s_waitcnt vmcnt(0) lgkmcnt(0)
	v_cvt_f32_u32_e32 v15, v0
.LBB47_2604:                            ;   in Loop: Header=BB47_17 Depth=1
	s_or_b32 exec_lo, exec_lo, vcc_lo
                                        ; implicit-def: $vgpr0_vgpr1
.LBB47_2605:                            ;   in Loop: Header=BB47_17 Depth=1
	s_and_not1_saveexec_b32 s50, s50
	s_cbranch_execz .LBB47_2611
; %bb.2606:                             ;   in Loop: Header=BB47_17 Depth=1
	flat_load_u8 v0, v[0:1]
	s_mov_b32 s51, 0
	s_mov_b32 s53, exec_lo
                                        ; implicit-def: $sgpr52
	s_waitcnt vmcnt(0) lgkmcnt(0)
	v_cmpx_lt_i16_e32 0x7f, v0
	s_xor_b32 s53, exec_lo, s53
	s_cbranch_execnz .LBB47_3478
; %bb.2607:                             ;   in Loop: Header=BB47_17 Depth=1
	s_or_saveexec_b32 s53, s53
	v_mov_b32_e32 v15, s52
	s_xor_b32 exec_lo, exec_lo, s53
	s_cbranch_execnz .LBB47_3481
.LBB47_2608:                            ;   in Loop: Header=BB47_17 Depth=1
	s_or_b32 exec_lo, exec_lo, s53
	s_and_saveexec_b32 s52, s51
	s_cbranch_execz .LBB47_2610
.LBB47_2609:                            ;   in Loop: Header=BB47_17 Depth=1
	v_and_b32_e32 v1, 0xffff, v0
	s_delay_alu instid0(VALU_DEP_1) | instskip(NEXT) | instid1(VALU_DEP_1)
	v_and_b32_e32 v15, 7, v1
	v_clz_i32_u32_e32 v16, v15
	s_delay_alu instid0(VALU_DEP_1) | instskip(NEXT) | instid1(VALU_DEP_1)
	v_min_u32_e32 v16, 32, v16
	v_subrev_nc_u32_e32 v17, 28, v16
	v_sub_nc_u32_e32 v16, 29, v16
	s_delay_alu instid0(VALU_DEP_2) | instskip(SKIP_1) | instid1(VALU_DEP_2)
	v_lshlrev_b32_e32 v17, v17, v1
	v_bfe_u32 v1, v1, 3, 4
	v_and_b32_e32 v17, 7, v17
	s_delay_alu instid0(VALU_DEP_2) | instskip(NEXT) | instid1(VALU_DEP_2)
	v_cmp_eq_u32_e32 vcc_lo, 0, v1
	v_dual_cndmask_b32 v15, v15, v17 :: v_dual_lshlrev_b32 v0, 24, v0
	v_cndmask_b32_e32 v1, v1, v16, vcc_lo
	s_delay_alu instid0(VALU_DEP_2) | instskip(NEXT) | instid1(VALU_DEP_3)
	v_and_b32_e32 v0, 0x80000000, v0
	v_lshlrev_b32_e32 v15, 20, v15
	s_delay_alu instid0(VALU_DEP_3) | instskip(NEXT) | instid1(VALU_DEP_1)
	v_lshl_add_u32 v1, v1, 23, 0x3b800000
	v_or3_b32 v15, v0, v1, v15
.LBB47_2610:                            ;   in Loop: Header=BB47_17 Depth=1
	s_or_b32 exec_lo, exec_lo, s52
.LBB47_2611:                            ;   in Loop: Header=BB47_17 Depth=1
	s_delay_alu instid0(SALU_CYCLE_1) | instskip(NEXT) | instid1(SALU_CYCLE_1)
	s_or_b32 exec_lo, exec_lo, s50
	s_and_not1_b32 s49, s49, exec_lo
	s_and_not1_b32 s48, s48, exec_lo
	s_or_b32 s47, s47, exec_lo
.LBB47_2612:                            ;   in Loop: Header=BB47_17 Depth=1
	s_or_b32 exec_lo, exec_lo, s46
	s_delay_alu instid0(SALU_CYCLE_1)
	s_and_b32 s46, s49, exec_lo
	s_and_b32 s48, s48, exec_lo
	;; [unrolled: 1-line block ×3, first 2 shown]
                                        ; implicit-def: $vgpr16
                                        ; implicit-def: $vgpr0_vgpr1
.LBB47_2613:                            ;   in Loop: Header=BB47_17 Depth=1
	s_and_not1_saveexec_b32 s45, s45
	s_cbranch_execz .LBB47_2639
; %bb.2614:                             ;   in Loop: Header=BB47_17 Depth=1
	s_mov_b32 s50, s47
	s_mov_b32 s49, exec_lo
                                        ; implicit-def: $vgpr15
	v_cmpx_lt_i16_e32 22, v16
	s_xor_b32 s49, exec_lo, s49
	s_cbranch_execz .LBB47_2628
; %bb.2615:                             ;   in Loop: Header=BB47_17 Depth=1
	s_mov_b32 s50, exec_lo
                                        ; implicit-def: $vgpr15
	v_cmpx_lt_i16_e32 23, v16
	s_xor_b32 s50, exec_lo, s50
	s_cbranch_execz .LBB47_2625
; %bb.2616:                             ;   in Loop: Header=BB47_17 Depth=1
	;; [unrolled: 6-line block ×3, first 2 shown]
	flat_load_u8 v0, v[0:1]
	s_mov_b32 s52, 0
	s_mov_b32 s54, exec_lo
                                        ; implicit-def: $sgpr53
	s_waitcnt vmcnt(0) lgkmcnt(0)
	v_cmpx_lt_i16_e32 0x7f, v0
	s_xor_b32 s54, exec_lo, s54
	s_cbranch_execnz .LBB47_3586
; %bb.2618:                             ;   in Loop: Header=BB47_17 Depth=1
	s_or_saveexec_b32 s54, s54
	v_mov_b32_e32 v15, s53
	s_xor_b32 exec_lo, exec_lo, s54
	s_cbranch_execnz .LBB47_3589
.LBB47_2619:                            ;   in Loop: Header=BB47_17 Depth=1
	s_or_b32 exec_lo, exec_lo, s54
	s_and_saveexec_b32 s53, s52
	s_cbranch_execz .LBB47_2621
.LBB47_2620:                            ;   in Loop: Header=BB47_17 Depth=1
	v_and_b32_e32 v1, 0xffff, v0
	s_delay_alu instid0(VALU_DEP_1) | instskip(NEXT) | instid1(VALU_DEP_1)
	v_and_b32_e32 v15, 3, v1
	v_clz_i32_u32_e32 v16, v15
	s_delay_alu instid0(VALU_DEP_1) | instskip(NEXT) | instid1(VALU_DEP_1)
	v_min_u32_e32 v16, 32, v16
	v_subrev_nc_u32_e32 v17, 29, v16
	v_sub_nc_u32_e32 v16, 30, v16
	s_delay_alu instid0(VALU_DEP_2) | instskip(SKIP_1) | instid1(VALU_DEP_2)
	v_lshlrev_b32_e32 v17, v17, v1
	v_bfe_u32 v1, v1, 2, 5
	v_and_b32_e32 v17, 3, v17
	s_delay_alu instid0(VALU_DEP_2) | instskip(NEXT) | instid1(VALU_DEP_2)
	v_cmp_eq_u32_e32 vcc_lo, 0, v1
	v_dual_cndmask_b32 v15, v15, v17 :: v_dual_lshlrev_b32 v0, 24, v0
	v_cndmask_b32_e32 v1, v1, v16, vcc_lo
	s_delay_alu instid0(VALU_DEP_2) | instskip(NEXT) | instid1(VALU_DEP_3)
	v_and_b32_e32 v0, 0x80000000, v0
	v_lshlrev_b32_e32 v15, 21, v15
	s_delay_alu instid0(VALU_DEP_3) | instskip(NEXT) | instid1(VALU_DEP_1)
	v_lshl_add_u32 v1, v1, 23, 0x37800000
	v_or3_b32 v15, v0, v1, v15
.LBB47_2621:                            ;   in Loop: Header=BB47_17 Depth=1
	s_or_b32 exec_lo, exec_lo, s53
                                        ; implicit-def: $vgpr0_vgpr1
.LBB47_2622:                            ;   in Loop: Header=BB47_17 Depth=1
	s_and_not1_saveexec_b32 s51, s51
	s_cbranch_execz .LBB47_2624
; %bb.2623:                             ;   in Loop: Header=BB47_17 Depth=1
	flat_load_u8 v0, v[0:1]
	s_waitcnt vmcnt(0) lgkmcnt(0)
	v_lshlrev_b32_e32 v0, 24, v0
	s_delay_alu instid0(VALU_DEP_1) | instskip(NEXT) | instid1(VALU_DEP_1)
	v_and_b32_e32 v1, 0x7f000000, v0
	v_clz_i32_u32_e32 v15, v1
	v_add_nc_u32_e32 v17, 0x1000000, v1
	v_cmp_ne_u32_e32 vcc_lo, 0, v1
	s_delay_alu instid0(VALU_DEP_3) | instskip(NEXT) | instid1(VALU_DEP_1)
	v_min_u32_e32 v15, 32, v15
	v_sub_nc_u32_e64 v15, v15, 4 clamp
	s_delay_alu instid0(VALU_DEP_1) | instskip(SKIP_1) | instid1(VALU_DEP_2)
	v_lshlrev_b32_e32 v16, v15, v1
	v_lshlrev_b32_e32 v15, 23, v15
	v_lshrrev_b32_e32 v16, 4, v16
	s_delay_alu instid0(VALU_DEP_1) | instskip(SKIP_1) | instid1(VALU_DEP_2)
	v_sub_nc_u32_e32 v15, v16, v15
	v_ashrrev_i32_e32 v16, 8, v17
	v_add_nc_u32_e32 v15, 0x3c000000, v15
	s_delay_alu instid0(VALU_DEP_1) | instskip(NEXT) | instid1(VALU_DEP_1)
	v_and_or_b32 v15, 0x7f800000, v16, v15
	v_cndmask_b32_e32 v1, 0, v15, vcc_lo
	s_delay_alu instid0(VALU_DEP_1)
	v_and_or_b32 v15, 0x80000000, v0, v1
.LBB47_2624:                            ;   in Loop: Header=BB47_17 Depth=1
	s_or_b32 exec_lo, exec_lo, s51
                                        ; implicit-def: $vgpr0_vgpr1
.LBB47_2625:                            ;   in Loop: Header=BB47_17 Depth=1
	s_and_not1_saveexec_b32 s50, s50
	s_cbranch_execz .LBB47_2627
; %bb.2626:                             ;   in Loop: Header=BB47_17 Depth=1
	flat_load_u8 v0, v[0:1]
	s_waitcnt vmcnt(0) lgkmcnt(0)
	v_lshlrev_b32_e32 v1, 25, v0
	v_lshlrev_b16 v0, 8, v0
	s_delay_alu instid0(VALU_DEP_2) | instskip(NEXT) | instid1(VALU_DEP_2)
	v_lshrrev_b32_e32 v15, 4, v1
	v_and_or_b32 v16, 0x7f00, v0, 0.5
	v_cmp_gt_u32_e32 vcc_lo, 0x8000000, v1
	v_bfe_i32 v0, v0, 0, 16
	s_delay_alu instid0(VALU_DEP_4) | instskip(NEXT) | instid1(VALU_DEP_1)
	v_or_b32_e32 v15, 0x70000000, v15
	v_dual_add_f32 v16, -0.5, v16 :: v_dual_mul_f32 v15, 0x7800000, v15
	s_delay_alu instid0(VALU_DEP_1) | instskip(NEXT) | instid1(VALU_DEP_1)
	v_cndmask_b32_e32 v1, v15, v16, vcc_lo
	v_and_or_b32 v15, 0x80000000, v0, v1
.LBB47_2627:                            ;   in Loop: Header=BB47_17 Depth=1
	s_or_b32 exec_lo, exec_lo, s50
	s_delay_alu instid0(SALU_CYCLE_1)
	s_or_b32 s50, s47, exec_lo
                                        ; implicit-def: $vgpr16
                                        ; implicit-def: $vgpr0_vgpr1
.LBB47_2628:                            ;   in Loop: Header=BB47_17 Depth=1
	s_or_saveexec_b32 s49, s49
                                        ; implicit-def: $sgpr51
                                        ; implicit-def: $vcc_lo
	s_delay_alu instid0(SALU_CYCLE_1)
	s_xor_b32 exec_lo, exec_lo, s49
	s_cbranch_execz .LBB47_2638
; %bb.2629:                             ;   in Loop: Header=BB47_17 Depth=1
	s_mov_b32 s52, s50
	s_mov_b32 s54, exec_lo
                                        ; implicit-def: $sgpr53
                                        ; implicit-def: $sgpr51
                                        ; implicit-def: $vgpr15
	v_cmpx_lt_i16_e32 14, v16
	s_xor_b32 s54, exec_lo, s54
	s_cbranch_execz .LBB47_2633
; %bb.2630:                             ;   in Loop: Header=BB47_17 Depth=1
	s_mov_b32 s52, s50
	s_mov_b32 s51, exec_lo
                                        ; implicit-def: $vgpr15
	v_cmpx_eq_u16_e32 15, v16
	s_cbranch_execz .LBB47_2632
; %bb.2631:                             ;   in Loop: Header=BB47_17 Depth=1
	flat_load_u16 v0, v[0:1]
	s_or_b32 s52, s50, exec_lo
	s_waitcnt vmcnt(0) lgkmcnt(0)
	v_lshlrev_b32_e32 v15, 16, v0
.LBB47_2632:                            ;   in Loop: Header=BB47_17 Depth=1
	s_or_b32 exec_lo, exec_lo, s51
	s_delay_alu instid0(SALU_CYCLE_1)
	s_and_not1_b32 vcc_lo, s50, exec_lo
	s_and_b32 s52, s52, exec_lo
	s_mov_b32 s51, 0
	s_mov_b32 s53, -1
	s_or_b32 s52, vcc_lo, s52
                                        ; implicit-def: $vgpr16
                                        ; implicit-def: $vgpr0_vgpr1
.LBB47_2633:                            ;   in Loop: Header=BB47_17 Depth=1
	s_and_not1_saveexec_b32 s54, s54
	s_cbranch_execz .LBB47_2637
; %bb.2634:                             ;   in Loop: Header=BB47_17 Depth=1
	s_mov_b32 s55, s52
	s_mov_b32 s56, exec_lo
                                        ; implicit-def: $vgpr15
	v_cmpx_eq_u16_e32 11, v16
	s_cbranch_execz .LBB47_2636
; %bb.2635:                             ;   in Loop: Header=BB47_17 Depth=1
	flat_load_u8 v0, v[0:1]
	s_or_b32 s55, s52, exec_lo
	s_waitcnt vmcnt(0) lgkmcnt(0)
	v_cmp_ne_u16_e32 vcc_lo, 0, v0
	v_cndmask_b32_e64 v15, 0, 1.0, vcc_lo
.LBB47_2636:                            ;   in Loop: Header=BB47_17 Depth=1
	s_or_b32 exec_lo, exec_lo, s56
	s_delay_alu instid0(SALU_CYCLE_1)
	s_and_not1_b32 vcc_lo, s52, exec_lo
	s_and_b32 s52, s55, exec_lo
	s_or_b32 s53, s53, exec_lo
	s_and_not1_b32 s51, s51, exec_lo
	s_or_b32 s52, vcc_lo, s52
.LBB47_2637:                            ;   in Loop: Header=BB47_17 Depth=1
	s_or_b32 exec_lo, exec_lo, s54
	s_delay_alu instid0(SALU_CYCLE_1)
	s_and_not1_b32 s50, s50, exec_lo
	s_and_b32 s52, s52, exec_lo
	s_and_b32 vcc_lo, s53, exec_lo
	s_and_b32 s51, s51, exec_lo
	s_or_b32 s50, s50, s52
.LBB47_2638:                            ;   in Loop: Header=BB47_17 Depth=1
	s_or_b32 exec_lo, exec_lo, s49
	s_delay_alu instid0(SALU_CYCLE_1)
	s_and_not1_b32 s46, s46, exec_lo
	s_and_b32 vcc_lo, vcc_lo, exec_lo
	s_and_not1_b32 s47, s47, exec_lo
	s_or_b32 s46, s46, vcc_lo
	s_and_not1_b32 vcc_lo, s48, exec_lo
	s_and_b32 s48, s51, exec_lo
	s_and_b32 s49, s50, exec_lo
	s_or_b32 s48, vcc_lo, s48
	s_or_b32 s47, s47, s49
.LBB47_2639:                            ;   in Loop: Header=BB47_17 Depth=1
	s_or_b32 exec_lo, exec_lo, s45
	s_delay_alu instid0(SALU_CYCLE_1)
	s_and_b32 s46, s46, exec_lo
	s_and_b32 s45, s48, exec_lo
	;; [unrolled: 1-line block ×3, first 2 shown]
                                        ; implicit-def: $vgpr16
                                        ; implicit-def: $vgpr0_vgpr1
	s_and_not1_saveexec_b32 s44, s44
	s_cbranch_execz .LBB47_2556
.LBB47_2640:                            ;   in Loop: Header=BB47_17 Depth=1
	s_mov_b32 s48, exec_lo
                                        ; implicit-def: $vgpr15
	v_cmpx_lt_i16_e32 4, v16
	s_xor_b32 s48, exec_lo, s48
	s_cbranch_execz .LBB47_2662
; %bb.2641:                             ;   in Loop: Header=BB47_17 Depth=1
	s_mov_b32 s49, exec_lo
                                        ; implicit-def: $vgpr15
	v_cmpx_lt_i16_e32 7, v16
	s_xor_b32 s49, exec_lo, s49
	s_cbranch_execz .LBB47_2651
; %bb.2642:                             ;   in Loop: Header=BB47_17 Depth=1
	;; [unrolled: 6-line block ×3, first 2 shown]
	v_cmp_lt_i16_e32 vcc_lo, 9, v16
                                        ; implicit-def: $vgpr15
	s_and_saveexec_b32 s51, vcc_lo
	s_delay_alu instid0(SALU_CYCLE_1)
	s_xor_b32 vcc_lo, exec_lo, s51
	s_cbranch_execz .LBB47_2645
; %bb.2644:                             ;   in Loop: Header=BB47_17 Depth=1
	flat_load_b64 v[0:1], v[0:1]
	s_waitcnt vmcnt(0) lgkmcnt(0)
	v_cvt_f32_f64_e32 v15, v[0:1]
                                        ; implicit-def: $vgpr0_vgpr1
.LBB47_2645:                            ;   in Loop: Header=BB47_17 Depth=1
	s_and_not1_saveexec_b32 vcc_lo, vcc_lo
	s_cbranch_execz .LBB47_2647
; %bb.2646:                             ;   in Loop: Header=BB47_17 Depth=1
	flat_load_b32 v15, v[0:1]
.LBB47_2647:                            ;   in Loop: Header=BB47_17 Depth=1
	s_or_b32 exec_lo, exec_lo, vcc_lo
                                        ; implicit-def: $vgpr0_vgpr1
.LBB47_2648:                            ;   in Loop: Header=BB47_17 Depth=1
	s_and_not1_saveexec_b32 vcc_lo, s50
	s_cbranch_execz .LBB47_2650
; %bb.2649:                             ;   in Loop: Header=BB47_17 Depth=1
	flat_load_b32 v0, v[0:1]
	s_waitcnt vmcnt(0) lgkmcnt(0)
	v_cvt_f32_f16_e32 v15, v0
.LBB47_2650:                            ;   in Loop: Header=BB47_17 Depth=1
	s_or_b32 exec_lo, exec_lo, vcc_lo
                                        ; implicit-def: $vgpr0_vgpr1
                                        ; implicit-def: $vgpr16
.LBB47_2651:                            ;   in Loop: Header=BB47_17 Depth=1
	s_and_not1_saveexec_b32 s49, s49
	s_cbranch_execz .LBB47_2661
; %bb.2652:                             ;   in Loop: Header=BB47_17 Depth=1
	s_mov_b32 s50, exec_lo
                                        ; implicit-def: $vgpr15
	v_cmpx_lt_i16_e32 5, v16
	s_xor_b32 s50, exec_lo, s50
	s_cbranch_execz .LBB47_2658
; %bb.2653:                             ;   in Loop: Header=BB47_17 Depth=1
	v_cmp_lt_i16_e32 vcc_lo, 6, v16
                                        ; implicit-def: $vgpr15
	s_and_saveexec_b32 s51, vcc_lo
	s_delay_alu instid0(SALU_CYCLE_1)
	s_xor_b32 vcc_lo, exec_lo, s51
	s_cbranch_execz .LBB47_2655
; %bb.2654:                             ;   in Loop: Header=BB47_17 Depth=1
	flat_load_b64 v[0:1], v[0:1]
	s_waitcnt vmcnt(0) lgkmcnt(0)
	v_cvt_f32_f64_e32 v15, v[0:1]
                                        ; implicit-def: $vgpr0_vgpr1
.LBB47_2655:                            ;   in Loop: Header=BB47_17 Depth=1
	s_and_not1_saveexec_b32 vcc_lo, vcc_lo
	s_cbranch_execz .LBB47_2657
; %bb.2656:                             ;   in Loop: Header=BB47_17 Depth=1
	s_waitcnt vmcnt(0) lgkmcnt(0)
	flat_load_b32 v15, v[0:1]
.LBB47_2657:                            ;   in Loop: Header=BB47_17 Depth=1
	s_or_b32 exec_lo, exec_lo, vcc_lo
                                        ; implicit-def: $vgpr0_vgpr1
.LBB47_2658:                            ;   in Loop: Header=BB47_17 Depth=1
	s_and_not1_saveexec_b32 vcc_lo, s50
	s_cbranch_execz .LBB47_2660
; %bb.2659:                             ;   in Loop: Header=BB47_17 Depth=1
	flat_load_u16 v0, v[0:1]
	s_waitcnt vmcnt(0) lgkmcnt(0)
	v_cvt_f32_f16_e32 v15, v0
.LBB47_2660:                            ;   in Loop: Header=BB47_17 Depth=1
	s_or_b32 exec_lo, exec_lo, vcc_lo
.LBB47_2661:                            ;   in Loop: Header=BB47_17 Depth=1
	s_delay_alu instid0(SALU_CYCLE_1)
	s_or_b32 exec_lo, exec_lo, s49
                                        ; implicit-def: $vgpr16
                                        ; implicit-def: $vgpr0_vgpr1
.LBB47_2662:                            ;   in Loop: Header=BB47_17 Depth=1
	s_and_not1_saveexec_b32 s48, s48
	s_cbranch_execz .LBB47_2680
; %bb.2663:                             ;   in Loop: Header=BB47_17 Depth=1
	s_mov_b32 s49, exec_lo
                                        ; implicit-def: $vgpr15
	v_cmpx_lt_i16_e32 1, v16
	s_xor_b32 s49, exec_lo, s49
	s_cbranch_execz .LBB47_2673
; %bb.2664:                             ;   in Loop: Header=BB47_17 Depth=1
	s_mov_b32 s50, exec_lo
                                        ; implicit-def: $vgpr15
	v_cmpx_lt_i16_e32 2, v16
	s_xor_b32 s50, exec_lo, s50
	s_cbranch_execz .LBB47_2670
; %bb.2665:                             ;   in Loop: Header=BB47_17 Depth=1
	v_cmp_lt_i16_e32 vcc_lo, 3, v16
                                        ; implicit-def: $vgpr15
	s_and_saveexec_b32 s51, vcc_lo
	s_delay_alu instid0(SALU_CYCLE_1)
	s_xor_b32 vcc_lo, exec_lo, s51
	s_cbranch_execz .LBB47_2667
; %bb.2666:                             ;   in Loop: Header=BB47_17 Depth=1
	flat_load_b64 v[0:1], v[0:1]
	s_waitcnt vmcnt(0) lgkmcnt(0)
	v_xor_b32_e32 v15, v0, v1
	v_cls_i32_e32 v16, v1
	s_delay_alu instid0(VALU_DEP_2) | instskip(NEXT) | instid1(VALU_DEP_2)
	v_ashrrev_i32_e32 v15, 31, v15
	v_add_nc_u32_e32 v16, -1, v16
	s_delay_alu instid0(VALU_DEP_2) | instskip(NEXT) | instid1(VALU_DEP_1)
	v_add_nc_u32_e32 v15, 32, v15
	v_min_u32_e32 v15, v16, v15
	s_delay_alu instid0(VALU_DEP_1) | instskip(NEXT) | instid1(VALU_DEP_1)
	v_lshlrev_b64 v[0:1], v15, v[0:1]
	v_min_u32_e32 v0, 1, v0
	s_delay_alu instid0(VALU_DEP_1) | instskip(SKIP_1) | instid1(VALU_DEP_2)
	v_or_b32_e32 v0, v1, v0
	v_sub_nc_u32_e32 v1, 32, v15
	v_cvt_f32_i32_e32 v0, v0
	s_delay_alu instid0(VALU_DEP_1)
	v_ldexp_f32 v15, v0, v1
                                        ; implicit-def: $vgpr0_vgpr1
.LBB47_2667:                            ;   in Loop: Header=BB47_17 Depth=1
	s_and_not1_saveexec_b32 vcc_lo, vcc_lo
	s_cbranch_execz .LBB47_2669
; %bb.2668:                             ;   in Loop: Header=BB47_17 Depth=1
	flat_load_b32 v0, v[0:1]
	s_waitcnt vmcnt(0) lgkmcnt(0)
	v_cvt_f32_i32_e32 v15, v0
.LBB47_2669:                            ;   in Loop: Header=BB47_17 Depth=1
	s_or_b32 exec_lo, exec_lo, vcc_lo
                                        ; implicit-def: $vgpr0_vgpr1
.LBB47_2670:                            ;   in Loop: Header=BB47_17 Depth=1
	s_and_not1_saveexec_b32 vcc_lo, s50
	s_cbranch_execz .LBB47_2672
; %bb.2671:                             ;   in Loop: Header=BB47_17 Depth=1
	flat_load_i16 v0, v[0:1]
	s_waitcnt vmcnt(0) lgkmcnt(0)
	v_cvt_f32_i32_e32 v15, v0
.LBB47_2672:                            ;   in Loop: Header=BB47_17 Depth=1
	s_or_b32 exec_lo, exec_lo, vcc_lo
                                        ; implicit-def: $vgpr0_vgpr1
                                        ; implicit-def: $vgpr16
.LBB47_2673:                            ;   in Loop: Header=BB47_17 Depth=1
	s_and_not1_saveexec_b32 s49, s49
	s_cbranch_execz .LBB47_2679
; %bb.2674:                             ;   in Loop: Header=BB47_17 Depth=1
	v_cmp_lt_i16_e32 vcc_lo, 0, v16
                                        ; implicit-def: $vgpr15
	s_and_saveexec_b32 s50, vcc_lo
	s_delay_alu instid0(SALU_CYCLE_1)
	s_xor_b32 vcc_lo, exec_lo, s50
	s_cbranch_execz .LBB47_2676
; %bb.2675:                             ;   in Loop: Header=BB47_17 Depth=1
	flat_load_i8 v0, v[0:1]
	s_waitcnt vmcnt(0) lgkmcnt(0)
	v_cvt_f32_i32_e32 v15, v0
                                        ; implicit-def: $vgpr0_vgpr1
.LBB47_2676:                            ;   in Loop: Header=BB47_17 Depth=1
	s_and_not1_saveexec_b32 vcc_lo, vcc_lo
	s_cbranch_execz .LBB47_2678
; %bb.2677:                             ;   in Loop: Header=BB47_17 Depth=1
	flat_load_u8 v0, v[0:1]
	s_waitcnt vmcnt(0) lgkmcnt(0)
	v_cvt_f32_ubyte0_e32 v15, v0
.LBB47_2678:                            ;   in Loop: Header=BB47_17 Depth=1
	s_or_b32 exec_lo, exec_lo, vcc_lo
.LBB47_2679:                            ;   in Loop: Header=BB47_17 Depth=1
	s_delay_alu instid0(SALU_CYCLE_1)
	s_or_b32 exec_lo, exec_lo, s49
.LBB47_2680:                            ;   in Loop: Header=BB47_17 Depth=1
	s_delay_alu instid0(SALU_CYCLE_1) | instskip(NEXT) | instid1(SALU_CYCLE_1)
	s_or_b32 exec_lo, exec_lo, s48
	s_and_not1_b32 s46, s46, exec_lo
	s_and_not1_b32 s45, s45, exec_lo
	s_or_b32 s47, s47, exec_lo
	s_or_b32 exec_lo, exec_lo, s44
	s_mov_b32 vcc_lo, 0
	s_and_saveexec_b32 s44, s47
	s_cbranch_execnz .LBB47_2557
	s_branch .LBB47_2558
.LBB47_2681:                            ;   in Loop: Header=BB47_17 Depth=1
	s_mov_b32 s42, exec_lo
                                        ; implicit-def: $sgpr48
                                        ; implicit-def: $sgpr43
                                        ; implicit-def: $vgpr16
	v_cmpx_lt_i16_e32 25, v7
	s_xor_b32 s42, exec_lo, s42
	s_cbranch_execz .LBB47_2713
; %bb.2682:                             ;   in Loop: Header=BB47_17 Depth=1
	s_mov_b32 s43, exec_lo
                                        ; implicit-def: $sgpr48
                                        ; implicit-def: $sgpr49
                                        ; implicit-def: $vgpr16
	v_cmpx_lt_i16_e32 28, v7
	s_xor_b32 s43, exec_lo, s43
	s_cbranch_execz .LBB47_2698
; %bb.2683:                             ;   in Loop: Header=BB47_17 Depth=1
	s_mov_b32 s50, 0
	s_mov_b32 s47, exec_lo
                                        ; implicit-def: $sgpr48
                                        ; implicit-def: $sgpr49
                                        ; implicit-def: $vgpr16
	v_cmpx_lt_i16_e32 43, v7
	s_xor_b32 s47, exec_lo, s47
	s_cbranch_execz .LBB47_2693
; %bb.2684:                             ;   in Loop: Header=BB47_17 Depth=1
	s_mov_b32 s49, exec_lo
                                        ; implicit-def: $sgpr48
                                        ; implicit-def: $sgpr51
                                        ; implicit-def: $vgpr16
	v_cmpx_lt_i16_e32 45, v7
	s_xor_b32 s49, exec_lo, s49
	s_cbranch_execz .LBB47_2688
; %bb.2685:                             ;   in Loop: Header=BB47_17 Depth=1
	s_mov_b32 s48, 0
	s_mov_b32 s51, exec_lo
                                        ; implicit-def: $vgpr16
	v_cmpx_eq_u16_e32 46, v7
	s_cbranch_execz .LBB47_2687
; %bb.2686:                             ;   in Loop: Header=BB47_17 Depth=1
	flat_load_b32 v0, v[0:1]
	s_mov_b32 s50, exec_lo
	s_waitcnt vmcnt(0) lgkmcnt(0)
	v_lshlrev_b32_e32 v16, 16, v0
.LBB47_2687:                            ;   in Loop: Header=BB47_17 Depth=1
	s_or_b32 exec_lo, exec_lo, s51
	s_mov_b32 s51, -1
	s_and_b32 s50, s50, exec_lo
                                        ; implicit-def: $vgpr0_vgpr1
.LBB47_2688:                            ;   in Loop: Header=BB47_17 Depth=1
	s_and_not1_saveexec_b32 s49, s49
	s_cbranch_execz .LBB47_2692
; %bb.2689:                             ;   in Loop: Header=BB47_17 Depth=1
	s_mov_b32 s53, s50
	s_mov_b32 s52, exec_lo
                                        ; implicit-def: $vgpr16
	v_cmpx_eq_u16_e32 44, v7
	s_cbranch_execz .LBB47_2691
; %bb.2690:                             ;   in Loop: Header=BB47_17 Depth=1
	flat_load_u8 v0, v[0:1]
	s_or_b32 s53, s50, exec_lo
	s_waitcnt vmcnt(0) lgkmcnt(0)
	v_lshlrev_b32_e32 v1, 23, v0
	v_cmp_ne_u32_e32 vcc_lo, 0xff, v0
	s_delay_alu instid0(VALU_DEP_2) | instskip(SKIP_1) | instid1(VALU_DEP_2)
	v_cndmask_b32_e32 v1, 0x7f800001, v1, vcc_lo
	v_cmp_ne_u32_e32 vcc_lo, 0, v0
	v_cndmask_b32_e32 v16, 0x400000, v1, vcc_lo
.LBB47_2691:                            ;   in Loop: Header=BB47_17 Depth=1
	s_or_b32 exec_lo, exec_lo, s52
	s_delay_alu instid0(SALU_CYCLE_1)
	s_and_not1_b32 vcc_lo, s50, exec_lo
	s_and_b32 s50, s53, exec_lo
	s_and_not1_b32 s48, s48, exec_lo
	s_or_b32 s51, s51, exec_lo
	s_or_b32 s50, vcc_lo, s50
.LBB47_2692:                            ;   in Loop: Header=BB47_17 Depth=1
	s_or_b32 exec_lo, exec_lo, s49
	s_delay_alu instid0(SALU_CYCLE_1)
	s_and_b32 s49, s48, exec_lo
	s_and_b32 s48, s51, exec_lo
	;; [unrolled: 1-line block ×3, first 2 shown]
                                        ; implicit-def: $vgpr0_vgpr1
.LBB47_2693:                            ;   in Loop: Header=BB47_17 Depth=1
	s_and_not1_saveexec_b32 s47, s47
	s_cbranch_execz .LBB47_2697
; %bb.2694:                             ;   in Loop: Header=BB47_17 Depth=1
	s_mov_b32 s52, s50
	s_mov_b32 s51, exec_lo
                                        ; implicit-def: $vgpr16
	v_cmpx_eq_u16_e32 29, v7
	s_cbranch_execz .LBB47_2696
; %bb.2695:                             ;   in Loop: Header=BB47_17 Depth=1
	flat_load_b64 v[0:1], v[0:1]
	s_or_b32 s52, s50, exec_lo
	s_waitcnt vmcnt(0) lgkmcnt(0)
	v_clz_i32_u32_e32 v14, v1
	s_delay_alu instid0(VALU_DEP_1) | instskip(NEXT) | instid1(VALU_DEP_1)
	v_min_u32_e32 v14, 32, v14
	v_lshlrev_b64 v[0:1], v14, v[0:1]
	s_delay_alu instid0(VALU_DEP_1) | instskip(NEXT) | instid1(VALU_DEP_1)
	v_min_u32_e32 v0, 1, v0
	v_or_b32_e32 v0, v1, v0
	v_sub_nc_u32_e32 v1, 32, v14
	s_delay_alu instid0(VALU_DEP_2) | instskip(NEXT) | instid1(VALU_DEP_1)
	v_cvt_f32_u32_e32 v0, v0
	v_ldexp_f32 v16, v0, v1
.LBB47_2696:                            ;   in Loop: Header=BB47_17 Depth=1
	s_or_b32 exec_lo, exec_lo, s51
	s_delay_alu instid0(SALU_CYCLE_1)
	s_and_not1_b32 vcc_lo, s50, exec_lo
	s_and_b32 s50, s52, exec_lo
	s_and_not1_b32 s49, s49, exec_lo
	s_or_b32 s48, s48, exec_lo
	s_or_b32 s50, vcc_lo, s50
.LBB47_2697:                            ;   in Loop: Header=BB47_17 Depth=1
	s_or_b32 exec_lo, exec_lo, s47
	s_delay_alu instid0(SALU_CYCLE_1)
	s_and_b32 s49, s49, exec_lo
	s_and_b32 s48, s48, exec_lo
	;; [unrolled: 1-line block ×3, first 2 shown]
                                        ; implicit-def: $vgpr0_vgpr1
.LBB47_2698:                            ;   in Loop: Header=BB47_17 Depth=1
	s_and_not1_saveexec_b32 s43, s43
	s_cbranch_execz .LBB47_2712
; %bb.2699:                             ;   in Loop: Header=BB47_17 Depth=1
	s_mov_b32 s50, exec_lo
                                        ; implicit-def: $vgpr16
	v_cmpx_lt_i16_e32 26, v7
	s_xor_b32 s50, exec_lo, s50
	s_cbranch_execz .LBB47_2705
; %bb.2700:                             ;   in Loop: Header=BB47_17 Depth=1
	v_cmp_lt_i16_e32 vcc_lo, 27, v7
                                        ; implicit-def: $vgpr16
	s_and_saveexec_b32 s51, vcc_lo
	s_delay_alu instid0(SALU_CYCLE_1)
	s_xor_b32 vcc_lo, exec_lo, s51
	s_cbranch_execz .LBB47_2702
; %bb.2701:                             ;   in Loop: Header=BB47_17 Depth=1
	flat_load_b32 v0, v[0:1]
	s_waitcnt vmcnt(0) lgkmcnt(0)
	v_cvt_f32_u32_e32 v16, v0
                                        ; implicit-def: $vgpr0_vgpr1
.LBB47_2702:                            ;   in Loop: Header=BB47_17 Depth=1
	s_and_not1_saveexec_b32 vcc_lo, vcc_lo
	s_cbranch_execz .LBB47_2704
; %bb.2703:                             ;   in Loop: Header=BB47_17 Depth=1
	flat_load_u16 v0, v[0:1]
	s_waitcnt vmcnt(0) lgkmcnt(0)
	v_cvt_f32_u32_e32 v16, v0
.LBB47_2704:                            ;   in Loop: Header=BB47_17 Depth=1
	s_or_b32 exec_lo, exec_lo, vcc_lo
                                        ; implicit-def: $vgpr0_vgpr1
.LBB47_2705:                            ;   in Loop: Header=BB47_17 Depth=1
	s_and_not1_saveexec_b32 s50, s50
	s_cbranch_execz .LBB47_2711
; %bb.2706:                             ;   in Loop: Header=BB47_17 Depth=1
	flat_load_u8 v0, v[0:1]
	s_mov_b32 s51, 0
	s_mov_b32 s53, exec_lo
                                        ; implicit-def: $sgpr52
	s_waitcnt vmcnt(0) lgkmcnt(0)
	v_cmpx_lt_i16_e32 0x7f, v0
	s_xor_b32 s53, exec_lo, s53
	s_cbranch_execnz .LBB47_3482
; %bb.2707:                             ;   in Loop: Header=BB47_17 Depth=1
	s_or_saveexec_b32 s53, s53
	v_mov_b32_e32 v16, s52
	s_xor_b32 exec_lo, exec_lo, s53
	s_cbranch_execnz .LBB47_3485
.LBB47_2708:                            ;   in Loop: Header=BB47_17 Depth=1
	s_or_b32 exec_lo, exec_lo, s53
	s_and_saveexec_b32 s52, s51
	s_cbranch_execz .LBB47_2710
.LBB47_2709:                            ;   in Loop: Header=BB47_17 Depth=1
	v_and_b32_e32 v1, 0xffff, v0
	v_lshlrev_b32_e32 v0, 24, v0
	s_delay_alu instid0(VALU_DEP_2) | instskip(NEXT) | instid1(VALU_DEP_2)
	v_and_b32_e32 v14, 7, v1
	v_and_b32_e32 v0, 0x80000000, v0
	s_delay_alu instid0(VALU_DEP_2) | instskip(NEXT) | instid1(VALU_DEP_1)
	v_clz_i32_u32_e32 v16, v14
	v_min_u32_e32 v16, 32, v16
	s_delay_alu instid0(VALU_DEP_1) | instskip(SKIP_1) | instid1(VALU_DEP_2)
	v_subrev_nc_u32_e32 v17, 28, v16
	v_sub_nc_u32_e32 v16, 29, v16
	v_lshlrev_b32_e32 v17, v17, v1
	v_bfe_u32 v1, v1, 3, 4
	s_delay_alu instid0(VALU_DEP_2) | instskip(NEXT) | instid1(VALU_DEP_2)
	v_and_b32_e32 v17, 7, v17
	v_cmp_eq_u32_e32 vcc_lo, 0, v1
	s_delay_alu instid0(VALU_DEP_2) | instskip(NEXT) | instid1(VALU_DEP_1)
	v_dual_cndmask_b32 v1, v1, v16 :: v_dual_cndmask_b32 v14, v14, v17
	v_lshl_add_u32 v1, v1, 23, 0x3b800000
	s_delay_alu instid0(VALU_DEP_2) | instskip(NEXT) | instid1(VALU_DEP_1)
	v_lshlrev_b32_e32 v14, 20, v14
	v_or3_b32 v16, v0, v1, v14
.LBB47_2710:                            ;   in Loop: Header=BB47_17 Depth=1
	s_or_b32 exec_lo, exec_lo, s52
.LBB47_2711:                            ;   in Loop: Header=BB47_17 Depth=1
	s_delay_alu instid0(SALU_CYCLE_1) | instskip(NEXT) | instid1(SALU_CYCLE_1)
	s_or_b32 exec_lo, exec_lo, s50
	s_and_not1_b32 s49, s49, exec_lo
	s_and_not1_b32 s48, s48, exec_lo
	s_or_b32 s47, s47, exec_lo
.LBB47_2712:                            ;   in Loop: Header=BB47_17 Depth=1
	s_or_b32 exec_lo, exec_lo, s43
	s_delay_alu instid0(SALU_CYCLE_1)
	s_and_b32 s43, s49, exec_lo
	s_and_b32 s48, s48, exec_lo
	;; [unrolled: 1-line block ×3, first 2 shown]
                                        ; implicit-def: $vgpr0_vgpr1
.LBB47_2713:                            ;   in Loop: Header=BB47_17 Depth=1
	s_and_not1_saveexec_b32 s42, s42
	s_cbranch_execz .LBB47_2739
; %bb.2714:                             ;   in Loop: Header=BB47_17 Depth=1
	s_mov_b32 s50, s47
	s_mov_b32 s49, exec_lo
                                        ; implicit-def: $vgpr16
	v_cmpx_lt_i16_e32 22, v7
	s_xor_b32 s49, exec_lo, s49
	s_cbranch_execz .LBB47_2728
; %bb.2715:                             ;   in Loop: Header=BB47_17 Depth=1
	s_mov_b32 s50, exec_lo
                                        ; implicit-def: $vgpr16
	v_cmpx_lt_i16_e32 23, v7
	s_xor_b32 s50, exec_lo, s50
	s_cbranch_execz .LBB47_2725
; %bb.2716:                             ;   in Loop: Header=BB47_17 Depth=1
	;; [unrolled: 6-line block ×3, first 2 shown]
	flat_load_u8 v0, v[0:1]
	s_mov_b32 s52, 0
	s_mov_b32 s54, exec_lo
                                        ; implicit-def: $sgpr53
	s_waitcnt vmcnt(0) lgkmcnt(0)
	v_cmpx_lt_i16_e32 0x7f, v0
	s_xor_b32 s54, exec_lo, s54
	s_cbranch_execnz .LBB47_3590
; %bb.2718:                             ;   in Loop: Header=BB47_17 Depth=1
	s_or_saveexec_b32 s54, s54
	v_mov_b32_e32 v16, s53
	s_xor_b32 exec_lo, exec_lo, s54
	s_cbranch_execnz .LBB47_3593
.LBB47_2719:                            ;   in Loop: Header=BB47_17 Depth=1
	s_or_b32 exec_lo, exec_lo, s54
	s_and_saveexec_b32 s53, s52
	s_cbranch_execz .LBB47_2721
.LBB47_2720:                            ;   in Loop: Header=BB47_17 Depth=1
	v_and_b32_e32 v1, 0xffff, v0
	v_lshlrev_b32_e32 v0, 24, v0
	s_delay_alu instid0(VALU_DEP_2) | instskip(NEXT) | instid1(VALU_DEP_2)
	v_and_b32_e32 v14, 3, v1
	v_and_b32_e32 v0, 0x80000000, v0
	s_delay_alu instid0(VALU_DEP_2) | instskip(NEXT) | instid1(VALU_DEP_1)
	v_clz_i32_u32_e32 v16, v14
	v_min_u32_e32 v16, 32, v16
	s_delay_alu instid0(VALU_DEP_1) | instskip(SKIP_1) | instid1(VALU_DEP_2)
	v_subrev_nc_u32_e32 v17, 29, v16
	v_sub_nc_u32_e32 v16, 30, v16
	v_lshlrev_b32_e32 v17, v17, v1
	v_bfe_u32 v1, v1, 2, 5
	s_delay_alu instid0(VALU_DEP_2) | instskip(NEXT) | instid1(VALU_DEP_2)
	v_and_b32_e32 v17, 3, v17
	v_cmp_eq_u32_e32 vcc_lo, 0, v1
	s_delay_alu instid0(VALU_DEP_2) | instskip(NEXT) | instid1(VALU_DEP_1)
	v_dual_cndmask_b32 v1, v1, v16 :: v_dual_cndmask_b32 v14, v14, v17
	v_lshl_add_u32 v1, v1, 23, 0x37800000
	s_delay_alu instid0(VALU_DEP_2) | instskip(NEXT) | instid1(VALU_DEP_1)
	v_lshlrev_b32_e32 v14, 21, v14
	v_or3_b32 v16, v0, v1, v14
.LBB47_2721:                            ;   in Loop: Header=BB47_17 Depth=1
	s_or_b32 exec_lo, exec_lo, s53
                                        ; implicit-def: $vgpr0_vgpr1
.LBB47_2722:                            ;   in Loop: Header=BB47_17 Depth=1
	s_and_not1_saveexec_b32 s51, s51
	s_cbranch_execz .LBB47_2724
; %bb.2723:                             ;   in Loop: Header=BB47_17 Depth=1
	flat_load_u8 v0, v[0:1]
	s_waitcnt vmcnt(0) lgkmcnt(0)
	v_lshlrev_b32_e32 v0, 24, v0
	s_delay_alu instid0(VALU_DEP_1) | instskip(NEXT) | instid1(VALU_DEP_1)
	v_and_b32_e32 v1, 0x7f000000, v0
	v_clz_i32_u32_e32 v14, v1
	v_add_nc_u32_e32 v17, 0x1000000, v1
	v_cmp_ne_u32_e32 vcc_lo, 0, v1
	s_delay_alu instid0(VALU_DEP_3) | instskip(NEXT) | instid1(VALU_DEP_1)
	v_min_u32_e32 v14, 32, v14
	v_sub_nc_u32_e64 v14, v14, 4 clamp
	s_delay_alu instid0(VALU_DEP_1) | instskip(SKIP_1) | instid1(VALU_DEP_2)
	v_lshlrev_b32_e32 v16, v14, v1
	v_lshlrev_b32_e32 v14, 23, v14
	v_lshrrev_b32_e32 v16, 4, v16
	s_delay_alu instid0(VALU_DEP_1) | instskip(SKIP_1) | instid1(VALU_DEP_2)
	v_sub_nc_u32_e32 v14, v16, v14
	v_ashrrev_i32_e32 v16, 8, v17
	v_add_nc_u32_e32 v14, 0x3c000000, v14
	s_delay_alu instid0(VALU_DEP_1) | instskip(NEXT) | instid1(VALU_DEP_1)
	v_and_or_b32 v14, 0x7f800000, v16, v14
	v_cndmask_b32_e32 v1, 0, v14, vcc_lo
	s_delay_alu instid0(VALU_DEP_1)
	v_and_or_b32 v16, 0x80000000, v0, v1
.LBB47_2724:                            ;   in Loop: Header=BB47_17 Depth=1
	s_or_b32 exec_lo, exec_lo, s51
                                        ; implicit-def: $vgpr0_vgpr1
.LBB47_2725:                            ;   in Loop: Header=BB47_17 Depth=1
	s_and_not1_saveexec_b32 s50, s50
	s_cbranch_execz .LBB47_2727
; %bb.2726:                             ;   in Loop: Header=BB47_17 Depth=1
	flat_load_u8 v0, v[0:1]
	s_waitcnt vmcnt(0) lgkmcnt(0)
	v_lshlrev_b32_e32 v1, 25, v0
	v_lshlrev_b16 v0, 8, v0
	s_delay_alu instid0(VALU_DEP_2) | instskip(NEXT) | instid1(VALU_DEP_2)
	v_lshrrev_b32_e32 v14, 4, v1
	v_and_or_b32 v16, 0x7f00, v0, 0.5
	v_bfe_i32 v0, v0, 0, 16
	s_delay_alu instid0(VALU_DEP_3) | instskip(NEXT) | instid1(VALU_DEP_3)
	v_or_b32_e32 v14, 0x70000000, v14
	v_add_f32_e32 v16, -0.5, v16
	s_delay_alu instid0(VALU_DEP_2) | instskip(SKIP_1) | instid1(VALU_DEP_2)
	v_mul_f32_e32 v14, 0x7800000, v14
	v_cmp_gt_u32_e32 vcc_lo, 0x8000000, v1
	v_cndmask_b32_e32 v1, v14, v16, vcc_lo
	s_delay_alu instid0(VALU_DEP_1)
	v_and_or_b32 v16, 0x80000000, v0, v1
.LBB47_2727:                            ;   in Loop: Header=BB47_17 Depth=1
	s_or_b32 exec_lo, exec_lo, s50
	s_delay_alu instid0(SALU_CYCLE_1)
	s_or_b32 s50, s47, exec_lo
                                        ; implicit-def: $vgpr0_vgpr1
.LBB47_2728:                            ;   in Loop: Header=BB47_17 Depth=1
	s_or_saveexec_b32 s49, s49
                                        ; implicit-def: $sgpr51
                                        ; implicit-def: $vcc_lo
	s_delay_alu instid0(SALU_CYCLE_1)
	s_xor_b32 exec_lo, exec_lo, s49
	s_cbranch_execz .LBB47_2738
; %bb.2729:                             ;   in Loop: Header=BB47_17 Depth=1
	s_mov_b32 s52, s50
	s_mov_b32 s54, exec_lo
                                        ; implicit-def: $sgpr53
                                        ; implicit-def: $sgpr51
                                        ; implicit-def: $vgpr16
	v_cmpx_lt_i16_e32 14, v7
	s_xor_b32 s54, exec_lo, s54
	s_cbranch_execz .LBB47_2733
; %bb.2730:                             ;   in Loop: Header=BB47_17 Depth=1
	s_mov_b32 s52, s50
	s_mov_b32 s51, exec_lo
                                        ; implicit-def: $vgpr16
	v_cmpx_eq_u16_e32 15, v7
	s_cbranch_execz .LBB47_2732
; %bb.2731:                             ;   in Loop: Header=BB47_17 Depth=1
	flat_load_u16 v0, v[0:1]
	s_or_b32 s52, s50, exec_lo
	s_waitcnt vmcnt(0) lgkmcnt(0)
	v_lshlrev_b32_e32 v16, 16, v0
.LBB47_2732:                            ;   in Loop: Header=BB47_17 Depth=1
	s_or_b32 exec_lo, exec_lo, s51
	s_delay_alu instid0(SALU_CYCLE_1)
	s_and_not1_b32 vcc_lo, s50, exec_lo
	s_and_b32 s52, s52, exec_lo
	s_mov_b32 s51, -1
	s_mov_b32 s53, 0
	s_or_b32 s52, vcc_lo, s52
                                        ; implicit-def: $vgpr0_vgpr1
.LBB47_2733:                            ;   in Loop: Header=BB47_17 Depth=1
	s_and_not1_saveexec_b32 s54, s54
	s_cbranch_execz .LBB47_2737
; %bb.2734:                             ;   in Loop: Header=BB47_17 Depth=1
	s_mov_b32 s55, s52
	s_mov_b32 s56, exec_lo
                                        ; implicit-def: $vgpr16
	v_cmpx_eq_u16_e32 11, v7
	s_cbranch_execz .LBB47_2736
; %bb.2735:                             ;   in Loop: Header=BB47_17 Depth=1
	flat_load_u8 v0, v[0:1]
	s_or_b32 s55, s52, exec_lo
	s_waitcnt vmcnt(0) lgkmcnt(0)
	v_cmp_ne_u16_e32 vcc_lo, 0, v0
	v_cndmask_b32_e64 v16, 0, 1.0, vcc_lo
.LBB47_2736:                            ;   in Loop: Header=BB47_17 Depth=1
	s_or_b32 exec_lo, exec_lo, s56
	s_delay_alu instid0(SALU_CYCLE_1)
	s_and_not1_b32 vcc_lo, s52, exec_lo
	s_and_b32 s52, s55, exec_lo
	s_and_not1_b32 s53, s53, exec_lo
	s_or_b32 s51, s51, exec_lo
	s_or_b32 s52, vcc_lo, s52
.LBB47_2737:                            ;   in Loop: Header=BB47_17 Depth=1
	s_or_b32 exec_lo, exec_lo, s54
	s_delay_alu instid0(SALU_CYCLE_1)
	s_and_not1_b32 s50, s50, exec_lo
	s_and_b32 s52, s52, exec_lo
	s_and_b32 vcc_lo, s53, exec_lo
	s_and_b32 s51, s51, exec_lo
	s_or_b32 s50, s50, s52
.LBB47_2738:                            ;   in Loop: Header=BB47_17 Depth=1
	s_or_b32 exec_lo, exec_lo, s49
	s_delay_alu instid0(SALU_CYCLE_1)
	s_and_not1_b32 s43, s43, exec_lo
	s_and_b32 vcc_lo, vcc_lo, exec_lo
	s_and_not1_b32 s47, s47, exec_lo
	s_or_b32 s43, s43, vcc_lo
	s_and_not1_b32 vcc_lo, s48, exec_lo
	s_and_b32 s48, s51, exec_lo
	s_and_b32 s49, s50, exec_lo
	s_or_b32 s48, vcc_lo, s48
	s_or_b32 s47, s47, s49
.LBB47_2739:                            ;   in Loop: Header=BB47_17 Depth=1
	s_or_b32 exec_lo, exec_lo, s42
	s_delay_alu instid0(SALU_CYCLE_1)
	s_and_b32 s43, s43, exec_lo
	s_and_b32 s42, s48, exec_lo
	;; [unrolled: 1-line block ×3, first 2 shown]
                                        ; implicit-def: $vgpr0_vgpr1
	s_and_not1_saveexec_b32 s46, s46
	s_cbranch_execz .LBB47_2564
.LBB47_2740:                            ;   in Loop: Header=BB47_17 Depth=1
	s_mov_b32 s48, exec_lo
                                        ; implicit-def: $vgpr16
	v_cmpx_lt_i16_e32 4, v7
	s_xor_b32 s48, exec_lo, s48
	s_cbranch_execz .LBB47_2762
; %bb.2741:                             ;   in Loop: Header=BB47_17 Depth=1
	s_mov_b32 s49, exec_lo
                                        ; implicit-def: $vgpr16
	v_cmpx_lt_i16_e32 7, v7
	s_xor_b32 s49, exec_lo, s49
	s_cbranch_execz .LBB47_2751
; %bb.2742:                             ;   in Loop: Header=BB47_17 Depth=1
	;; [unrolled: 6-line block ×3, first 2 shown]
	v_cmp_lt_i16_e32 vcc_lo, 9, v7
                                        ; implicit-def: $vgpr16
	s_and_saveexec_b32 s51, vcc_lo
	s_delay_alu instid0(SALU_CYCLE_1)
	s_xor_b32 vcc_lo, exec_lo, s51
	s_cbranch_execz .LBB47_2745
; %bb.2744:                             ;   in Loop: Header=BB47_17 Depth=1
	flat_load_b64 v[0:1], v[0:1]
	s_waitcnt vmcnt(0) lgkmcnt(0)
	v_cvt_f32_f64_e32 v16, v[0:1]
                                        ; implicit-def: $vgpr0_vgpr1
.LBB47_2745:                            ;   in Loop: Header=BB47_17 Depth=1
	s_and_not1_saveexec_b32 vcc_lo, vcc_lo
	s_cbranch_execz .LBB47_2747
; %bb.2746:                             ;   in Loop: Header=BB47_17 Depth=1
	flat_load_b32 v16, v[0:1]
.LBB47_2747:                            ;   in Loop: Header=BB47_17 Depth=1
	s_or_b32 exec_lo, exec_lo, vcc_lo
                                        ; implicit-def: $vgpr0_vgpr1
.LBB47_2748:                            ;   in Loop: Header=BB47_17 Depth=1
	s_and_not1_saveexec_b32 vcc_lo, s50
	s_cbranch_execz .LBB47_2750
; %bb.2749:                             ;   in Loop: Header=BB47_17 Depth=1
	flat_load_b32 v0, v[0:1]
	s_waitcnt vmcnt(0) lgkmcnt(0)
	v_cvt_f32_f16_e32 v16, v0
.LBB47_2750:                            ;   in Loop: Header=BB47_17 Depth=1
	s_or_b32 exec_lo, exec_lo, vcc_lo
                                        ; implicit-def: $vgpr0_vgpr1
.LBB47_2751:                            ;   in Loop: Header=BB47_17 Depth=1
	s_and_not1_saveexec_b32 s49, s49
	s_cbranch_execz .LBB47_2761
; %bb.2752:                             ;   in Loop: Header=BB47_17 Depth=1
	s_mov_b32 s50, exec_lo
                                        ; implicit-def: $vgpr16
	v_cmpx_lt_i16_e32 5, v7
	s_xor_b32 s50, exec_lo, s50
	s_cbranch_execz .LBB47_2758
; %bb.2753:                             ;   in Loop: Header=BB47_17 Depth=1
	v_cmp_lt_i16_e32 vcc_lo, 6, v7
                                        ; implicit-def: $vgpr16
	s_and_saveexec_b32 s51, vcc_lo
	s_delay_alu instid0(SALU_CYCLE_1)
	s_xor_b32 vcc_lo, exec_lo, s51
	s_cbranch_execz .LBB47_2755
; %bb.2754:                             ;   in Loop: Header=BB47_17 Depth=1
	flat_load_b64 v[0:1], v[0:1]
	s_waitcnt vmcnt(0) lgkmcnt(0)
	v_cvt_f32_f64_e32 v16, v[0:1]
                                        ; implicit-def: $vgpr0_vgpr1
.LBB47_2755:                            ;   in Loop: Header=BB47_17 Depth=1
	s_and_not1_saveexec_b32 vcc_lo, vcc_lo
	s_cbranch_execz .LBB47_2757
; %bb.2756:                             ;   in Loop: Header=BB47_17 Depth=1
	s_waitcnt vmcnt(0) lgkmcnt(0)
	flat_load_b32 v16, v[0:1]
.LBB47_2757:                            ;   in Loop: Header=BB47_17 Depth=1
	s_or_b32 exec_lo, exec_lo, vcc_lo
                                        ; implicit-def: $vgpr0_vgpr1
.LBB47_2758:                            ;   in Loop: Header=BB47_17 Depth=1
	s_and_not1_saveexec_b32 vcc_lo, s50
	s_cbranch_execz .LBB47_2760
; %bb.2759:                             ;   in Loop: Header=BB47_17 Depth=1
	flat_load_u16 v0, v[0:1]
	s_waitcnt vmcnt(0) lgkmcnt(0)
	v_cvt_f32_f16_e32 v16, v0
.LBB47_2760:                            ;   in Loop: Header=BB47_17 Depth=1
	s_or_b32 exec_lo, exec_lo, vcc_lo
.LBB47_2761:                            ;   in Loop: Header=BB47_17 Depth=1
	s_delay_alu instid0(SALU_CYCLE_1)
	s_or_b32 exec_lo, exec_lo, s49
                                        ; implicit-def: $vgpr0_vgpr1
.LBB47_2762:                            ;   in Loop: Header=BB47_17 Depth=1
	s_and_not1_saveexec_b32 s48, s48
	s_cbranch_execz .LBB47_2780
; %bb.2763:                             ;   in Loop: Header=BB47_17 Depth=1
	s_mov_b32 s49, exec_lo
                                        ; implicit-def: $vgpr16
	v_cmpx_lt_i16_e32 1, v7
	s_xor_b32 s49, exec_lo, s49
	s_cbranch_execz .LBB47_2773
; %bb.2764:                             ;   in Loop: Header=BB47_17 Depth=1
	s_mov_b32 s50, exec_lo
                                        ; implicit-def: $vgpr16
	v_cmpx_lt_i16_e32 2, v7
	s_xor_b32 s50, exec_lo, s50
	s_cbranch_execz .LBB47_2770
; %bb.2765:                             ;   in Loop: Header=BB47_17 Depth=1
	v_cmp_lt_i16_e32 vcc_lo, 3, v7
                                        ; implicit-def: $vgpr16
	s_and_saveexec_b32 s51, vcc_lo
	s_delay_alu instid0(SALU_CYCLE_1)
	s_xor_b32 vcc_lo, exec_lo, s51
	s_cbranch_execz .LBB47_2767
; %bb.2766:                             ;   in Loop: Header=BB47_17 Depth=1
	flat_load_b64 v[0:1], v[0:1]
	s_waitcnt vmcnt(0) lgkmcnt(0)
	v_xor_b32_e32 v14, v0, v1
	v_cls_i32_e32 v16, v1
	s_delay_alu instid0(VALU_DEP_2) | instskip(NEXT) | instid1(VALU_DEP_2)
	v_ashrrev_i32_e32 v14, 31, v14
	v_add_nc_u32_e32 v16, -1, v16
	s_delay_alu instid0(VALU_DEP_2) | instskip(NEXT) | instid1(VALU_DEP_1)
	v_add_nc_u32_e32 v14, 32, v14
	v_min_u32_e32 v14, v16, v14
	s_delay_alu instid0(VALU_DEP_1) | instskip(NEXT) | instid1(VALU_DEP_1)
	v_lshlrev_b64 v[0:1], v14, v[0:1]
	v_min_u32_e32 v0, 1, v0
	s_delay_alu instid0(VALU_DEP_1) | instskip(SKIP_1) | instid1(VALU_DEP_2)
	v_or_b32_e32 v0, v1, v0
	v_sub_nc_u32_e32 v1, 32, v14
	v_cvt_f32_i32_e32 v0, v0
	s_delay_alu instid0(VALU_DEP_1)
	v_ldexp_f32 v16, v0, v1
                                        ; implicit-def: $vgpr0_vgpr1
.LBB47_2767:                            ;   in Loop: Header=BB47_17 Depth=1
	s_and_not1_saveexec_b32 vcc_lo, vcc_lo
	s_cbranch_execz .LBB47_2769
; %bb.2768:                             ;   in Loop: Header=BB47_17 Depth=1
	flat_load_b32 v0, v[0:1]
	s_waitcnt vmcnt(0) lgkmcnt(0)
	v_cvt_f32_i32_e32 v16, v0
.LBB47_2769:                            ;   in Loop: Header=BB47_17 Depth=1
	s_or_b32 exec_lo, exec_lo, vcc_lo
                                        ; implicit-def: $vgpr0_vgpr1
.LBB47_2770:                            ;   in Loop: Header=BB47_17 Depth=1
	s_and_not1_saveexec_b32 vcc_lo, s50
	s_cbranch_execz .LBB47_2772
; %bb.2771:                             ;   in Loop: Header=BB47_17 Depth=1
	flat_load_i16 v0, v[0:1]
	s_waitcnt vmcnt(0) lgkmcnt(0)
	v_cvt_f32_i32_e32 v16, v0
.LBB47_2772:                            ;   in Loop: Header=BB47_17 Depth=1
	s_or_b32 exec_lo, exec_lo, vcc_lo
                                        ; implicit-def: $vgpr0_vgpr1
.LBB47_2773:                            ;   in Loop: Header=BB47_17 Depth=1
	s_and_not1_saveexec_b32 s49, s49
	s_cbranch_execz .LBB47_2779
; %bb.2774:                             ;   in Loop: Header=BB47_17 Depth=1
	v_cmp_lt_i16_e32 vcc_lo, 0, v7
                                        ; implicit-def: $vgpr16
	s_and_saveexec_b32 s50, vcc_lo
	s_delay_alu instid0(SALU_CYCLE_1)
	s_xor_b32 vcc_lo, exec_lo, s50
	s_cbranch_execz .LBB47_2776
; %bb.2775:                             ;   in Loop: Header=BB47_17 Depth=1
	flat_load_i8 v0, v[0:1]
	s_waitcnt vmcnt(0) lgkmcnt(0)
	v_cvt_f32_i32_e32 v16, v0
                                        ; implicit-def: $vgpr0_vgpr1
.LBB47_2776:                            ;   in Loop: Header=BB47_17 Depth=1
	s_and_not1_saveexec_b32 vcc_lo, vcc_lo
	s_cbranch_execz .LBB47_2778
; %bb.2777:                             ;   in Loop: Header=BB47_17 Depth=1
	flat_load_u8 v0, v[0:1]
	s_waitcnt vmcnt(0) lgkmcnt(0)
	v_cvt_f32_ubyte0_e32 v16, v0
.LBB47_2778:                            ;   in Loop: Header=BB47_17 Depth=1
	s_or_b32 exec_lo, exec_lo, vcc_lo
.LBB47_2779:                            ;   in Loop: Header=BB47_17 Depth=1
	s_delay_alu instid0(SALU_CYCLE_1)
	s_or_b32 exec_lo, exec_lo, s49
.LBB47_2780:                            ;   in Loop: Header=BB47_17 Depth=1
	s_delay_alu instid0(SALU_CYCLE_1) | instskip(NEXT) | instid1(SALU_CYCLE_1)
	s_or_b32 exec_lo, exec_lo, s48
	s_and_not1_b32 s43, s43, exec_lo
	s_and_not1_b32 s42, s42, exec_lo
	s_or_b32 s47, s47, exec_lo
	s_or_b32 exec_lo, exec_lo, s46
	s_mov_b32 vcc_lo, 0
	s_and_saveexec_b32 s46, s47
	s_cbranch_execz .LBB47_2786
.LBB47_2781:                            ;   in Loop: Header=BB47_17 Depth=1
	v_add_nc_u32_e64 v14, s1, s33
	s_mov_b32 s50, 0
	s_mov_b32 s47, exec_lo
                                        ; implicit-def: $sgpr48
                                        ; implicit-def: $sgpr49
	s_delay_alu instid0(VALU_DEP_1) | instskip(SKIP_4) | instid1(VALU_DEP_2)
	v_add_nc_u32_e32 v0, 0x64, v14
	s_waitcnt vmcnt(0) lgkmcnt(0)
	scratch_store_b32 v0, v16, off
	v_mul_lo_u32 v0, v15, v10
	v_and_b32_e32 v16, 0xff, v8
                                        ; implicit-def: $vgpr15
	v_add_co_u32 v0, vcc_lo, v4, v0
	v_add_co_ci_u32_e32 v1, vcc_lo, 0, v5, vcc_lo
	s_delay_alu instid0(VALU_DEP_3)
	v_cmpx_lt_i16_e32 10, v16
	s_xor_b32 s47, exec_lo, s47
	s_cbranch_execnz .LBB47_2808
; %bb.2782:                             ;   in Loop: Header=BB47_17 Depth=1
	s_and_not1_saveexec_b32 s47, s47
	s_cbranch_execnz .LBB47_2867
.LBB47_2783:                            ;   in Loop: Header=BB47_17 Depth=1
	s_or_b32 exec_lo, exec_lo, s47
	s_mov_b32 vcc_lo, 0
	s_and_saveexec_b32 s47, s50
	s_cbranch_execz .LBB47_2785
.LBB47_2784:                            ;   in Loop: Header=BB47_17 Depth=1
	v_add_nc_u32_e32 v0, 0x60, v14
	v_add_nc_u32_e32 v13, 0x200, v13
	s_mov_b32 vcc_lo, exec_lo
	s_and_not1_b32 s49, s49, exec_lo
	s_and_not1_b32 s48, s48, exec_lo
	s_waitcnt vmcnt(0) lgkmcnt(0)
	scratch_store_b32 v0, v15, off
.LBB47_2785:                            ;   in Loop: Header=BB47_17 Depth=1
	s_or_b32 exec_lo, exec_lo, s47
	s_delay_alu instid0(SALU_CYCLE_1)
	s_and_not1_b32 s43, s43, exec_lo
	s_and_b32 s47, s49, exec_lo
	s_and_not1_b32 s42, s42, exec_lo
	s_and_b32 s48, s48, exec_lo
	s_or_b32 s43, s43, s47
	s_or_b32 s42, s42, s48
	s_and_b32 vcc_lo, vcc_lo, exec_lo
.LBB47_2786:                            ;   in Loop: Header=BB47_17 Depth=1
	s_or_b32 exec_lo, exec_lo, s46
	s_delay_alu instid0(SALU_CYCLE_1)
	s_and_b32 s43, s43, exec_lo
	s_and_b32 s42, s42, exec_lo
	s_or_not1_b32 s46, vcc_lo, exec_lo
.LBB47_2787:                            ;   in Loop: Header=BB47_17 Depth=1
	s_or_b32 exec_lo, exec_lo, s44
	s_and_saveexec_b32 s44, s46
	s_cbranch_execz .LBB47_4
; %bb.2788:                             ;   in Loop: Header=BB47_17 Depth=1
	s_mov_b32 s48, -1
	s_mov_b32 s49, -1
	s_mov_b32 s47, exec_lo
                                        ; implicit-def: $sgpr45
                                        ; implicit-def: $sgpr46
	v_cmpx_lt_i32_e64 v13, v6
	s_cbranch_execz .LBB47_3014
; %bb.2789:                             ;   in Loop: Header=BB47_17 Depth=1
	s_waitcnt vmcnt(0) lgkmcnt(0)
	v_add_nc_u32_e32 v15, s11, v13
	s_mov_b32 s50, 0
	s_mov_b32 s49, exec_lo
                                        ; implicit-def: $sgpr45
                                        ; implicit-def: $sgpr46
                                        ; implicit-def: $vgpr16
	s_delay_alu instid0(VALU_DEP_1) | instskip(NEXT) | instid1(VALU_DEP_1)
	v_mul_lo_u32 v0, v15, v9
	v_add_co_u32 v0, vcc_lo, v2, v0
	v_add_co_ci_u32_e32 v1, vcc_lo, 0, v3, vcc_lo
	v_cmpx_lt_i16_e32 10, v7
	s_xor_b32 s49, exec_lo, s49
	s_cbranch_execnz .LBB47_2908
; %bb.2790:                             ;   in Loop: Header=BB47_17 Depth=1
	s_and_not1_saveexec_b32 s49, s49
	s_cbranch_execnz .LBB47_2967
.LBB47_2791:                            ;   in Loop: Header=BB47_17 Depth=1
	s_or_b32 exec_lo, exec_lo, s49
	s_mov_b32 vcc_lo, 0
	s_and_saveexec_b32 s49, s50
	s_cbranch_execnz .LBB47_3008
	s_branch .LBB47_3013
.LBB47_2792:                            ;   in Loop: Header=BB47_17 Depth=1
	s_mov_b32 s40, -1
	s_mov_b32 s43, exec_lo
                                        ; implicit-def: $sgpr41
	v_cmpx_eq_u16_e32 0x80, v0
; %bb.2793:                             ;   in Loop: Header=BB47_17 Depth=1
	s_mov_b32 s41, 0x7f800001
	s_xor_b32 s40, exec_lo, -1
; %bb.2794:                             ;   in Loop: Header=BB47_17 Depth=1
	s_or_b32 exec_lo, exec_lo, s43
	s_delay_alu instid0(SALU_CYCLE_1)
	s_and_b32 s40, s40, exec_lo
	s_or_saveexec_b32 s42, s42
	v_mov_b32_e32 v15, s41
	s_xor_b32 exec_lo, exec_lo, s42
	s_cbranch_execz .LBB47_1711
.LBB47_2795:                            ;   in Loop: Header=BB47_17 Depth=1
	v_cmp_ne_u16_e32 vcc_lo, 0, v0
	v_mov_b32_e32 v15, 0
	s_and_not1_b32 s40, s40, exec_lo
	s_and_b32 vcc_lo, vcc_lo, exec_lo
	s_delay_alu instid0(SALU_CYCLE_1)
	s_or_b32 s40, s40, vcc_lo
	s_or_b32 exec_lo, exec_lo, s42
	s_and_saveexec_b32 s41, s40
	s_cbranch_execnz .LBB47_1712
	s_branch .LBB47_1713
.LBB47_2796:                            ;   in Loop: Header=BB47_17 Depth=1
	s_mov_b32 s40, -1
	s_mov_b32 s43, exec_lo
                                        ; implicit-def: $sgpr41
	v_cmpx_eq_u16_e32 0x80, v0
; %bb.2797:                             ;   in Loop: Header=BB47_17 Depth=1
	s_mov_b32 s41, 0x7f800001
	s_xor_b32 s40, exec_lo, -1
; %bb.2798:                             ;   in Loop: Header=BB47_17 Depth=1
	s_or_b32 exec_lo, exec_lo, s43
	s_delay_alu instid0(SALU_CYCLE_1)
	s_and_b32 s40, s40, exec_lo
	s_or_saveexec_b32 s42, s42
	v_mov_b32_e32 v16, s41
	s_xor_b32 exec_lo, exec_lo, s42
	s_cbranch_execz .LBB47_1811
.LBB47_2799:                            ;   in Loop: Header=BB47_17 Depth=1
	v_cmp_ne_u16_e32 vcc_lo, 0, v0
	v_mov_b32_e32 v16, 0
	s_and_not1_b32 s40, s40, exec_lo
	s_and_b32 vcc_lo, vcc_lo, exec_lo
	s_delay_alu instid0(SALU_CYCLE_1)
	s_or_b32 s40, s40, vcc_lo
	s_or_b32 exec_lo, exec_lo, s42
	s_and_saveexec_b32 s41, s40
	s_cbranch_execnz .LBB47_1812
	s_branch .LBB47_1813
.LBB47_2800:                            ;   in Loop: Header=BB47_17 Depth=1
	s_mov_b32 s42, -1
	s_mov_b32 s45, exec_lo
                                        ; implicit-def: $sgpr43
	v_cmpx_eq_u16_e32 0x80, v0
; %bb.2801:                             ;   in Loop: Header=BB47_17 Depth=1
	s_mov_b32 s43, 0x7f800001
	s_xor_b32 s42, exec_lo, -1
; %bb.2802:                             ;   in Loop: Header=BB47_17 Depth=1
	s_or_b32 exec_lo, exec_lo, s45
	s_delay_alu instid0(SALU_CYCLE_1)
	s_and_b32 s42, s42, exec_lo
	s_or_saveexec_b32 s44, s44
	v_mov_b32_e32 v15, s43
	s_xor_b32 exec_lo, exec_lo, s44
	s_cbranch_execz .LBB47_1927
.LBB47_2803:                            ;   in Loop: Header=BB47_17 Depth=1
	v_cmp_ne_u16_e32 vcc_lo, 0, v0
	v_mov_b32_e32 v15, 0
	s_and_not1_b32 s42, s42, exec_lo
	s_and_b32 vcc_lo, vcc_lo, exec_lo
	s_delay_alu instid0(SALU_CYCLE_1)
	s_or_b32 s42, s42, vcc_lo
	s_or_b32 exec_lo, exec_lo, s44
	s_and_saveexec_b32 s43, s42
	s_cbranch_execnz .LBB47_1928
	s_branch .LBB47_1929
.LBB47_2804:                            ;   in Loop: Header=BB47_17 Depth=1
	s_mov_b32 s42, -1
	s_mov_b32 s45, exec_lo
                                        ; implicit-def: $sgpr43
	v_cmpx_eq_u16_e32 0x80, v0
; %bb.2805:                             ;   in Loop: Header=BB47_17 Depth=1
	s_mov_b32 s43, 0x7f800001
	s_xor_b32 s42, exec_lo, -1
; %bb.2806:                             ;   in Loop: Header=BB47_17 Depth=1
	s_or_b32 exec_lo, exec_lo, s45
	s_delay_alu instid0(SALU_CYCLE_1)
	s_and_b32 s42, s42, exec_lo
	s_or_saveexec_b32 s44, s44
	v_mov_b32_e32 v16, s43
	s_xor_b32 exec_lo, exec_lo, s44
	s_cbranch_execz .LBB47_2027
.LBB47_2807:                            ;   in Loop: Header=BB47_17 Depth=1
	v_cmp_ne_u16_e32 vcc_lo, 0, v0
	v_mov_b32_e32 v16, 0
	s_and_not1_b32 s42, s42, exec_lo
	s_and_b32 vcc_lo, vcc_lo, exec_lo
	s_delay_alu instid0(SALU_CYCLE_1)
	s_or_b32 s42, s42, vcc_lo
	s_or_b32 exec_lo, exec_lo, s44
	s_and_saveexec_b32 s43, s42
	s_cbranch_execnz .LBB47_2028
	s_branch .LBB47_2029
.LBB47_2808:                            ;   in Loop: Header=BB47_17 Depth=1
	s_mov_b32 s48, exec_lo
                                        ; implicit-def: $sgpr51
                                        ; implicit-def: $sgpr49
                                        ; implicit-def: $vgpr15
	v_cmpx_lt_i16_e32 25, v16
	s_xor_b32 s48, exec_lo, s48
	s_cbranch_execz .LBB47_2840
; %bb.2809:                             ;   in Loop: Header=BB47_17 Depth=1
	s_mov_b32 s49, exec_lo
                                        ; implicit-def: $sgpr51
                                        ; implicit-def: $sgpr52
                                        ; implicit-def: $vgpr15
	v_cmpx_lt_i16_e32 28, v16
	s_xor_b32 s49, exec_lo, s49
	s_cbranch_execz .LBB47_2825
; %bb.2810:                             ;   in Loop: Header=BB47_17 Depth=1
	s_mov_b32 s53, 0
	s_mov_b32 s50, exec_lo
                                        ; implicit-def: $sgpr51
                                        ; implicit-def: $sgpr52
                                        ; implicit-def: $vgpr15
	v_cmpx_lt_i16_e32 43, v16
	s_xor_b32 s50, exec_lo, s50
	s_cbranch_execz .LBB47_2820
; %bb.2811:                             ;   in Loop: Header=BB47_17 Depth=1
	s_mov_b32 s54, exec_lo
                                        ; implicit-def: $sgpr52
                                        ; implicit-def: $sgpr51
                                        ; implicit-def: $vgpr15
	v_cmpx_lt_i16_e32 45, v16
	s_xor_b32 s54, exec_lo, s54
	s_cbranch_execz .LBB47_2815
; %bb.2812:                             ;   in Loop: Header=BB47_17 Depth=1
	s_mov_b32 s51, 0
	s_mov_b32 s52, exec_lo
                                        ; implicit-def: $vgpr15
	v_cmpx_eq_u16_e32 46, v16
	s_cbranch_execz .LBB47_2814
; %bb.2813:                             ;   in Loop: Header=BB47_17 Depth=1
	flat_load_b32 v0, v[0:1]
	s_mov_b32 s53, exec_lo
	s_waitcnt vmcnt(0) lgkmcnt(0)
	v_lshlrev_b32_e32 v15, 16, v0
.LBB47_2814:                            ;   in Loop: Header=BB47_17 Depth=1
	s_or_b32 exec_lo, exec_lo, s52
	s_mov_b32 s52, -1
	s_and_b32 s53, s53, exec_lo
                                        ; implicit-def: $vgpr16
                                        ; implicit-def: $vgpr0_vgpr1
.LBB47_2815:                            ;   in Loop: Header=BB47_17 Depth=1
	s_and_not1_saveexec_b32 s54, s54
	s_cbranch_execz .LBB47_2819
; %bb.2816:                             ;   in Loop: Header=BB47_17 Depth=1
	s_mov_b32 s56, s53
	s_mov_b32 s55, exec_lo
                                        ; implicit-def: $vgpr15
	v_cmpx_eq_u16_e32 44, v16
	s_cbranch_execz .LBB47_2818
; %bb.2817:                             ;   in Loop: Header=BB47_17 Depth=1
	flat_load_u8 v0, v[0:1]
	s_or_b32 s56, s53, exec_lo
	s_waitcnt vmcnt(0) lgkmcnt(0)
	v_lshlrev_b32_e32 v1, 23, v0
	v_cmp_ne_u32_e32 vcc_lo, 0xff, v0
	s_delay_alu instid0(VALU_DEP_2) | instskip(SKIP_1) | instid1(VALU_DEP_2)
	v_cndmask_b32_e32 v1, 0x7f800001, v1, vcc_lo
	v_cmp_ne_u32_e32 vcc_lo, 0, v0
	v_cndmask_b32_e32 v15, 0x400000, v1, vcc_lo
.LBB47_2818:                            ;   in Loop: Header=BB47_17 Depth=1
	s_or_b32 exec_lo, exec_lo, s55
	s_delay_alu instid0(SALU_CYCLE_1)
	s_and_not1_b32 vcc_lo, s53, exec_lo
	s_and_b32 s53, s56, exec_lo
	s_or_b32 s52, s52, exec_lo
	s_and_not1_b32 s51, s51, exec_lo
	s_or_b32 s53, vcc_lo, s53
.LBB47_2819:                            ;   in Loop: Header=BB47_17 Depth=1
	s_or_b32 exec_lo, exec_lo, s54
	s_delay_alu instid0(SALU_CYCLE_1)
	s_and_b32 s52, s52, exec_lo
	s_and_b32 s51, s51, exec_lo
	;; [unrolled: 1-line block ×3, first 2 shown]
                                        ; implicit-def: $vgpr16
                                        ; implicit-def: $vgpr0_vgpr1
.LBB47_2820:                            ;   in Loop: Header=BB47_17 Depth=1
	s_and_not1_saveexec_b32 s50, s50
	s_cbranch_execz .LBB47_2824
; %bb.2821:                             ;   in Loop: Header=BB47_17 Depth=1
	s_mov_b32 s55, s53
	s_mov_b32 s54, exec_lo
                                        ; implicit-def: $vgpr15
	v_cmpx_eq_u16_e32 29, v16
	s_cbranch_execz .LBB47_2823
; %bb.2822:                             ;   in Loop: Header=BB47_17 Depth=1
	flat_load_b64 v[0:1], v[0:1]
	s_or_b32 s55, s53, exec_lo
	s_waitcnt vmcnt(0) lgkmcnt(0)
	v_clz_i32_u32_e32 v15, v1
	s_delay_alu instid0(VALU_DEP_1) | instskip(NEXT) | instid1(VALU_DEP_1)
	v_min_u32_e32 v15, 32, v15
	v_lshlrev_b64 v[0:1], v15, v[0:1]
	s_delay_alu instid0(VALU_DEP_1) | instskip(NEXT) | instid1(VALU_DEP_1)
	v_min_u32_e32 v0, 1, v0
	v_or_b32_e32 v0, v1, v0
	v_sub_nc_u32_e32 v1, 32, v15
	s_delay_alu instid0(VALU_DEP_2) | instskip(NEXT) | instid1(VALU_DEP_1)
	v_cvt_f32_u32_e32 v0, v0
	v_ldexp_f32 v15, v0, v1
.LBB47_2823:                            ;   in Loop: Header=BB47_17 Depth=1
	s_or_b32 exec_lo, exec_lo, s54
	s_delay_alu instid0(SALU_CYCLE_1)
	s_and_not1_b32 vcc_lo, s53, exec_lo
	s_and_b32 s53, s55, exec_lo
	s_or_b32 s52, s52, exec_lo
	s_and_not1_b32 s51, s51, exec_lo
	s_or_b32 s53, vcc_lo, s53
.LBB47_2824:                            ;   in Loop: Header=BB47_17 Depth=1
	s_or_b32 exec_lo, exec_lo, s50
	s_delay_alu instid0(SALU_CYCLE_1)
	s_and_b32 s52, s52, exec_lo
	s_and_b32 s51, s51, exec_lo
	;; [unrolled: 1-line block ×3, first 2 shown]
                                        ; implicit-def: $vgpr16
                                        ; implicit-def: $vgpr0_vgpr1
.LBB47_2825:                            ;   in Loop: Header=BB47_17 Depth=1
	s_and_not1_saveexec_b32 s49, s49
	s_cbranch_execz .LBB47_2839
; %bb.2826:                             ;   in Loop: Header=BB47_17 Depth=1
	s_mov_b32 s53, exec_lo
                                        ; implicit-def: $vgpr15
	v_cmpx_lt_i16_e32 26, v16
	s_xor_b32 s53, exec_lo, s53
	s_cbranch_execz .LBB47_2832
; %bb.2827:                             ;   in Loop: Header=BB47_17 Depth=1
	v_cmp_lt_i16_e32 vcc_lo, 27, v16
                                        ; implicit-def: $vgpr15
	s_and_saveexec_b32 s54, vcc_lo
	s_delay_alu instid0(SALU_CYCLE_1)
	s_xor_b32 vcc_lo, exec_lo, s54
	s_cbranch_execz .LBB47_2829
; %bb.2828:                             ;   in Loop: Header=BB47_17 Depth=1
	flat_load_b32 v0, v[0:1]
	s_waitcnt vmcnt(0) lgkmcnt(0)
	v_cvt_f32_u32_e32 v15, v0
                                        ; implicit-def: $vgpr0_vgpr1
.LBB47_2829:                            ;   in Loop: Header=BB47_17 Depth=1
	s_and_not1_saveexec_b32 vcc_lo, vcc_lo
	s_cbranch_execz .LBB47_2831
; %bb.2830:                             ;   in Loop: Header=BB47_17 Depth=1
	flat_load_u16 v0, v[0:1]
	s_waitcnt vmcnt(0) lgkmcnt(0)
	v_cvt_f32_u32_e32 v15, v0
.LBB47_2831:                            ;   in Loop: Header=BB47_17 Depth=1
	s_or_b32 exec_lo, exec_lo, vcc_lo
                                        ; implicit-def: $vgpr0_vgpr1
.LBB47_2832:                            ;   in Loop: Header=BB47_17 Depth=1
	s_and_not1_saveexec_b32 s53, s53
	s_cbranch_execz .LBB47_2838
; %bb.2833:                             ;   in Loop: Header=BB47_17 Depth=1
	flat_load_u8 v0, v[0:1]
	s_mov_b32 s54, 0
	s_mov_b32 s56, exec_lo
                                        ; implicit-def: $sgpr55
	s_waitcnt vmcnt(0) lgkmcnt(0)
	v_cmpx_lt_i16_e32 0x7f, v0
	s_xor_b32 s56, exec_lo, s56
	s_cbranch_execnz .LBB47_3594
; %bb.2834:                             ;   in Loop: Header=BB47_17 Depth=1
	s_or_saveexec_b32 s56, s56
	v_mov_b32_e32 v15, s55
	s_xor_b32 exec_lo, exec_lo, s56
	s_cbranch_execnz .LBB47_3597
.LBB47_2835:                            ;   in Loop: Header=BB47_17 Depth=1
	s_or_b32 exec_lo, exec_lo, s56
	s_and_saveexec_b32 s55, s54
	s_cbranch_execz .LBB47_2837
.LBB47_2836:                            ;   in Loop: Header=BB47_17 Depth=1
	v_and_b32_e32 v1, 0xffff, v0
	s_delay_alu instid0(VALU_DEP_1) | instskip(NEXT) | instid1(VALU_DEP_1)
	v_and_b32_e32 v15, 7, v1
	v_clz_i32_u32_e32 v16, v15
	s_delay_alu instid0(VALU_DEP_1) | instskip(NEXT) | instid1(VALU_DEP_1)
	v_min_u32_e32 v16, 32, v16
	v_subrev_nc_u32_e32 v17, 28, v16
	v_sub_nc_u32_e32 v16, 29, v16
	s_delay_alu instid0(VALU_DEP_2) | instskip(SKIP_1) | instid1(VALU_DEP_2)
	v_lshlrev_b32_e32 v17, v17, v1
	v_bfe_u32 v1, v1, 3, 4
	v_and_b32_e32 v17, 7, v17
	s_delay_alu instid0(VALU_DEP_2) | instskip(NEXT) | instid1(VALU_DEP_2)
	v_cmp_eq_u32_e32 vcc_lo, 0, v1
	v_dual_cndmask_b32 v15, v15, v17 :: v_dual_lshlrev_b32 v0, 24, v0
	v_cndmask_b32_e32 v1, v1, v16, vcc_lo
	s_delay_alu instid0(VALU_DEP_2) | instskip(NEXT) | instid1(VALU_DEP_3)
	v_and_b32_e32 v0, 0x80000000, v0
	v_lshlrev_b32_e32 v15, 20, v15
	s_delay_alu instid0(VALU_DEP_3) | instskip(NEXT) | instid1(VALU_DEP_1)
	v_lshl_add_u32 v1, v1, 23, 0x3b800000
	v_or3_b32 v15, v0, v1, v15
.LBB47_2837:                            ;   in Loop: Header=BB47_17 Depth=1
	s_or_b32 exec_lo, exec_lo, s55
.LBB47_2838:                            ;   in Loop: Header=BB47_17 Depth=1
	s_delay_alu instid0(SALU_CYCLE_1) | instskip(NEXT) | instid1(SALU_CYCLE_1)
	s_or_b32 exec_lo, exec_lo, s53
	s_and_not1_b32 s52, s52, exec_lo
	s_and_not1_b32 s51, s51, exec_lo
	s_or_b32 s50, s50, exec_lo
.LBB47_2839:                            ;   in Loop: Header=BB47_17 Depth=1
	s_or_b32 exec_lo, exec_lo, s49
	s_delay_alu instid0(SALU_CYCLE_1)
	s_and_b32 s49, s52, exec_lo
	s_and_b32 s51, s51, exec_lo
	;; [unrolled: 1-line block ×3, first 2 shown]
                                        ; implicit-def: $vgpr16
                                        ; implicit-def: $vgpr0_vgpr1
.LBB47_2840:                            ;   in Loop: Header=BB47_17 Depth=1
	s_and_not1_saveexec_b32 s48, s48
	s_cbranch_execz .LBB47_2866
; %bb.2841:                             ;   in Loop: Header=BB47_17 Depth=1
	s_mov_b32 s53, s50
	s_mov_b32 s52, exec_lo
                                        ; implicit-def: $vgpr15
	v_cmpx_lt_i16_e32 22, v16
	s_xor_b32 s52, exec_lo, s52
	s_cbranch_execz .LBB47_2855
; %bb.2842:                             ;   in Loop: Header=BB47_17 Depth=1
	s_mov_b32 s53, exec_lo
                                        ; implicit-def: $vgpr15
	v_cmpx_lt_i16_e32 23, v16
	s_xor_b32 s53, exec_lo, s53
	s_cbranch_execz .LBB47_2852
; %bb.2843:                             ;   in Loop: Header=BB47_17 Depth=1
	;; [unrolled: 6-line block ×3, first 2 shown]
	flat_load_u8 v0, v[0:1]
	s_mov_b32 s55, 0
	s_mov_b32 s57, exec_lo
                                        ; implicit-def: $sgpr56
	s_waitcnt vmcnt(0) lgkmcnt(0)
	v_cmpx_lt_i16_e32 0x7f, v0
	s_xor_b32 s57, exec_lo, s57
	s_cbranch_execnz .LBB47_3602
; %bb.2845:                             ;   in Loop: Header=BB47_17 Depth=1
	s_or_saveexec_b32 s57, s57
	v_mov_b32_e32 v15, s56
	s_xor_b32 exec_lo, exec_lo, s57
	s_cbranch_execnz .LBB47_3605
.LBB47_2846:                            ;   in Loop: Header=BB47_17 Depth=1
	s_or_b32 exec_lo, exec_lo, s57
	s_and_saveexec_b32 s56, s55
	s_cbranch_execz .LBB47_2848
.LBB47_2847:                            ;   in Loop: Header=BB47_17 Depth=1
	v_and_b32_e32 v1, 0xffff, v0
	s_delay_alu instid0(VALU_DEP_1) | instskip(NEXT) | instid1(VALU_DEP_1)
	v_and_b32_e32 v15, 3, v1
	v_clz_i32_u32_e32 v16, v15
	s_delay_alu instid0(VALU_DEP_1) | instskip(NEXT) | instid1(VALU_DEP_1)
	v_min_u32_e32 v16, 32, v16
	v_subrev_nc_u32_e32 v17, 29, v16
	v_sub_nc_u32_e32 v16, 30, v16
	s_delay_alu instid0(VALU_DEP_2) | instskip(SKIP_1) | instid1(VALU_DEP_2)
	v_lshlrev_b32_e32 v17, v17, v1
	v_bfe_u32 v1, v1, 2, 5
	v_and_b32_e32 v17, 3, v17
	s_delay_alu instid0(VALU_DEP_2) | instskip(NEXT) | instid1(VALU_DEP_2)
	v_cmp_eq_u32_e32 vcc_lo, 0, v1
	v_dual_cndmask_b32 v15, v15, v17 :: v_dual_lshlrev_b32 v0, 24, v0
	v_cndmask_b32_e32 v1, v1, v16, vcc_lo
	s_delay_alu instid0(VALU_DEP_2) | instskip(NEXT) | instid1(VALU_DEP_3)
	v_and_b32_e32 v0, 0x80000000, v0
	v_lshlrev_b32_e32 v15, 21, v15
	s_delay_alu instid0(VALU_DEP_3) | instskip(NEXT) | instid1(VALU_DEP_1)
	v_lshl_add_u32 v1, v1, 23, 0x37800000
	v_or3_b32 v15, v0, v1, v15
.LBB47_2848:                            ;   in Loop: Header=BB47_17 Depth=1
	s_or_b32 exec_lo, exec_lo, s56
                                        ; implicit-def: $vgpr0_vgpr1
.LBB47_2849:                            ;   in Loop: Header=BB47_17 Depth=1
	s_and_not1_saveexec_b32 s54, s54
	s_cbranch_execz .LBB47_2851
; %bb.2850:                             ;   in Loop: Header=BB47_17 Depth=1
	flat_load_u8 v0, v[0:1]
	s_waitcnt vmcnt(0) lgkmcnt(0)
	v_lshlrev_b32_e32 v0, 24, v0
	s_delay_alu instid0(VALU_DEP_1) | instskip(NEXT) | instid1(VALU_DEP_1)
	v_and_b32_e32 v1, 0x7f000000, v0
	v_clz_i32_u32_e32 v15, v1
	v_add_nc_u32_e32 v17, 0x1000000, v1
	v_cmp_ne_u32_e32 vcc_lo, 0, v1
	s_delay_alu instid0(VALU_DEP_3) | instskip(NEXT) | instid1(VALU_DEP_1)
	v_min_u32_e32 v15, 32, v15
	v_sub_nc_u32_e64 v15, v15, 4 clamp
	s_delay_alu instid0(VALU_DEP_1) | instskip(SKIP_1) | instid1(VALU_DEP_2)
	v_lshlrev_b32_e32 v16, v15, v1
	v_lshlrev_b32_e32 v15, 23, v15
	v_lshrrev_b32_e32 v16, 4, v16
	s_delay_alu instid0(VALU_DEP_1) | instskip(SKIP_1) | instid1(VALU_DEP_2)
	v_sub_nc_u32_e32 v15, v16, v15
	v_ashrrev_i32_e32 v16, 8, v17
	v_add_nc_u32_e32 v15, 0x3c000000, v15
	s_delay_alu instid0(VALU_DEP_1) | instskip(NEXT) | instid1(VALU_DEP_1)
	v_and_or_b32 v15, 0x7f800000, v16, v15
	v_cndmask_b32_e32 v1, 0, v15, vcc_lo
	s_delay_alu instid0(VALU_DEP_1)
	v_and_or_b32 v15, 0x80000000, v0, v1
.LBB47_2851:                            ;   in Loop: Header=BB47_17 Depth=1
	s_or_b32 exec_lo, exec_lo, s54
                                        ; implicit-def: $vgpr0_vgpr1
.LBB47_2852:                            ;   in Loop: Header=BB47_17 Depth=1
	s_and_not1_saveexec_b32 s53, s53
	s_cbranch_execz .LBB47_2854
; %bb.2853:                             ;   in Loop: Header=BB47_17 Depth=1
	flat_load_u8 v0, v[0:1]
	s_waitcnt vmcnt(0) lgkmcnt(0)
	v_lshlrev_b32_e32 v1, 25, v0
	v_lshlrev_b16 v0, 8, v0
	s_delay_alu instid0(VALU_DEP_2) | instskip(NEXT) | instid1(VALU_DEP_2)
	v_lshrrev_b32_e32 v15, 4, v1
	v_and_or_b32 v16, 0x7f00, v0, 0.5
	v_cmp_gt_u32_e32 vcc_lo, 0x8000000, v1
	v_bfe_i32 v0, v0, 0, 16
	s_delay_alu instid0(VALU_DEP_4) | instskip(NEXT) | instid1(VALU_DEP_1)
	v_or_b32_e32 v15, 0x70000000, v15
	v_dual_add_f32 v16, -0.5, v16 :: v_dual_mul_f32 v15, 0x7800000, v15
	s_delay_alu instid0(VALU_DEP_1) | instskip(NEXT) | instid1(VALU_DEP_1)
	v_cndmask_b32_e32 v1, v15, v16, vcc_lo
	v_and_or_b32 v15, 0x80000000, v0, v1
.LBB47_2854:                            ;   in Loop: Header=BB47_17 Depth=1
	s_or_b32 exec_lo, exec_lo, s53
	s_delay_alu instid0(SALU_CYCLE_1)
	s_or_b32 s53, s50, exec_lo
                                        ; implicit-def: $vgpr16
                                        ; implicit-def: $vgpr0_vgpr1
.LBB47_2855:                            ;   in Loop: Header=BB47_17 Depth=1
	s_or_saveexec_b32 s52, s52
                                        ; implicit-def: $sgpr54
                                        ; implicit-def: $vcc_lo
	s_delay_alu instid0(SALU_CYCLE_1)
	s_xor_b32 exec_lo, exec_lo, s52
	s_cbranch_execz .LBB47_2865
; %bb.2856:                             ;   in Loop: Header=BB47_17 Depth=1
	s_mov_b32 s55, s53
	s_mov_b32 s57, exec_lo
                                        ; implicit-def: $sgpr56
                                        ; implicit-def: $sgpr54
                                        ; implicit-def: $vgpr15
	v_cmpx_lt_i16_e32 14, v16
	s_xor_b32 s57, exec_lo, s57
	s_cbranch_execz .LBB47_2860
; %bb.2857:                             ;   in Loop: Header=BB47_17 Depth=1
	s_mov_b32 s55, s53
	s_mov_b32 s54, exec_lo
                                        ; implicit-def: $vgpr15
	v_cmpx_eq_u16_e32 15, v16
	s_cbranch_execz .LBB47_2859
; %bb.2858:                             ;   in Loop: Header=BB47_17 Depth=1
	flat_load_u16 v0, v[0:1]
	s_or_b32 s55, s53, exec_lo
	s_waitcnt vmcnt(0) lgkmcnt(0)
	v_lshlrev_b32_e32 v15, 16, v0
.LBB47_2859:                            ;   in Loop: Header=BB47_17 Depth=1
	s_or_b32 exec_lo, exec_lo, s54
	s_delay_alu instid0(SALU_CYCLE_1)
	s_and_not1_b32 vcc_lo, s53, exec_lo
	s_and_b32 s55, s55, exec_lo
	s_mov_b32 s54, 0
	s_mov_b32 s56, -1
	s_or_b32 s55, vcc_lo, s55
                                        ; implicit-def: $vgpr16
                                        ; implicit-def: $vgpr0_vgpr1
.LBB47_2860:                            ;   in Loop: Header=BB47_17 Depth=1
	s_and_not1_saveexec_b32 s57, s57
	s_cbranch_execz .LBB47_2864
; %bb.2861:                             ;   in Loop: Header=BB47_17 Depth=1
	s_mov_b32 s58, s55
	s_mov_b32 s59, exec_lo
                                        ; implicit-def: $vgpr15
	v_cmpx_eq_u16_e32 11, v16
	s_cbranch_execz .LBB47_2863
; %bb.2862:                             ;   in Loop: Header=BB47_17 Depth=1
	flat_load_u8 v0, v[0:1]
	s_or_b32 s58, s55, exec_lo
	s_waitcnt vmcnt(0) lgkmcnt(0)
	v_cmp_ne_u16_e32 vcc_lo, 0, v0
	v_cndmask_b32_e64 v15, 0, 1.0, vcc_lo
.LBB47_2863:                            ;   in Loop: Header=BB47_17 Depth=1
	s_or_b32 exec_lo, exec_lo, s59
	s_delay_alu instid0(SALU_CYCLE_1)
	s_and_not1_b32 vcc_lo, s55, exec_lo
	s_and_b32 s55, s58, exec_lo
	s_or_b32 s56, s56, exec_lo
	s_and_not1_b32 s54, s54, exec_lo
	s_or_b32 s55, vcc_lo, s55
.LBB47_2864:                            ;   in Loop: Header=BB47_17 Depth=1
	s_or_b32 exec_lo, exec_lo, s57
	s_delay_alu instid0(SALU_CYCLE_1)
	s_and_not1_b32 s53, s53, exec_lo
	s_and_b32 s55, s55, exec_lo
	s_and_b32 vcc_lo, s56, exec_lo
	s_and_b32 s54, s54, exec_lo
	s_or_b32 s53, s53, s55
.LBB47_2865:                            ;   in Loop: Header=BB47_17 Depth=1
	s_or_b32 exec_lo, exec_lo, s52
	s_delay_alu instid0(SALU_CYCLE_1)
	s_and_not1_b32 s49, s49, exec_lo
	s_and_b32 vcc_lo, vcc_lo, exec_lo
	s_and_not1_b32 s50, s50, exec_lo
	s_or_b32 s49, s49, vcc_lo
	s_and_not1_b32 vcc_lo, s51, exec_lo
	s_and_b32 s51, s54, exec_lo
	s_and_b32 s52, s53, exec_lo
	s_or_b32 s51, vcc_lo, s51
	s_or_b32 s50, s50, s52
.LBB47_2866:                            ;   in Loop: Header=BB47_17 Depth=1
	s_or_b32 exec_lo, exec_lo, s48
	s_delay_alu instid0(SALU_CYCLE_1)
	s_and_b32 s49, s49, exec_lo
	s_and_b32 s48, s51, exec_lo
	s_and_b32 s50, s50, exec_lo
                                        ; implicit-def: $vgpr16
                                        ; implicit-def: $vgpr0_vgpr1
	s_and_not1_saveexec_b32 s47, s47
	s_cbranch_execz .LBB47_2783
.LBB47_2867:                            ;   in Loop: Header=BB47_17 Depth=1
	s_mov_b32 s51, exec_lo
                                        ; implicit-def: $vgpr15
	v_cmpx_lt_i16_e32 4, v16
	s_xor_b32 s51, exec_lo, s51
	s_cbranch_execz .LBB47_2889
; %bb.2868:                             ;   in Loop: Header=BB47_17 Depth=1
	s_mov_b32 s52, exec_lo
                                        ; implicit-def: $vgpr15
	v_cmpx_lt_i16_e32 7, v16
	s_xor_b32 s52, exec_lo, s52
	s_cbranch_execz .LBB47_2878
; %bb.2869:                             ;   in Loop: Header=BB47_17 Depth=1
	;; [unrolled: 6-line block ×3, first 2 shown]
	v_cmp_lt_i16_e32 vcc_lo, 9, v16
                                        ; implicit-def: $vgpr15
	s_and_saveexec_b32 s54, vcc_lo
	s_delay_alu instid0(SALU_CYCLE_1)
	s_xor_b32 vcc_lo, exec_lo, s54
	s_cbranch_execz .LBB47_2872
; %bb.2871:                             ;   in Loop: Header=BB47_17 Depth=1
	flat_load_b64 v[0:1], v[0:1]
	s_waitcnt vmcnt(0) lgkmcnt(0)
	v_cvt_f32_f64_e32 v15, v[0:1]
                                        ; implicit-def: $vgpr0_vgpr1
.LBB47_2872:                            ;   in Loop: Header=BB47_17 Depth=1
	s_and_not1_saveexec_b32 vcc_lo, vcc_lo
	s_cbranch_execz .LBB47_2874
; %bb.2873:                             ;   in Loop: Header=BB47_17 Depth=1
	flat_load_b32 v15, v[0:1]
.LBB47_2874:                            ;   in Loop: Header=BB47_17 Depth=1
	s_or_b32 exec_lo, exec_lo, vcc_lo
                                        ; implicit-def: $vgpr0_vgpr1
.LBB47_2875:                            ;   in Loop: Header=BB47_17 Depth=1
	s_and_not1_saveexec_b32 vcc_lo, s53
	s_cbranch_execz .LBB47_2877
; %bb.2876:                             ;   in Loop: Header=BB47_17 Depth=1
	flat_load_b32 v0, v[0:1]
	s_waitcnt vmcnt(0) lgkmcnt(0)
	v_cvt_f32_f16_e32 v15, v0
.LBB47_2877:                            ;   in Loop: Header=BB47_17 Depth=1
	s_or_b32 exec_lo, exec_lo, vcc_lo
                                        ; implicit-def: $vgpr0_vgpr1
                                        ; implicit-def: $vgpr16
.LBB47_2878:                            ;   in Loop: Header=BB47_17 Depth=1
	s_and_not1_saveexec_b32 s52, s52
	s_cbranch_execz .LBB47_2888
; %bb.2879:                             ;   in Loop: Header=BB47_17 Depth=1
	s_mov_b32 s53, exec_lo
                                        ; implicit-def: $vgpr15
	v_cmpx_lt_i16_e32 5, v16
	s_xor_b32 s53, exec_lo, s53
	s_cbranch_execz .LBB47_2885
; %bb.2880:                             ;   in Loop: Header=BB47_17 Depth=1
	v_cmp_lt_i16_e32 vcc_lo, 6, v16
                                        ; implicit-def: $vgpr15
	s_and_saveexec_b32 s54, vcc_lo
	s_delay_alu instid0(SALU_CYCLE_1)
	s_xor_b32 vcc_lo, exec_lo, s54
	s_cbranch_execz .LBB47_2882
; %bb.2881:                             ;   in Loop: Header=BB47_17 Depth=1
	flat_load_b64 v[0:1], v[0:1]
	s_waitcnt vmcnt(0) lgkmcnt(0)
	v_cvt_f32_f64_e32 v15, v[0:1]
                                        ; implicit-def: $vgpr0_vgpr1
.LBB47_2882:                            ;   in Loop: Header=BB47_17 Depth=1
	s_and_not1_saveexec_b32 vcc_lo, vcc_lo
	s_cbranch_execz .LBB47_2884
; %bb.2883:                             ;   in Loop: Header=BB47_17 Depth=1
	s_waitcnt vmcnt(0) lgkmcnt(0)
	flat_load_b32 v15, v[0:1]
.LBB47_2884:                            ;   in Loop: Header=BB47_17 Depth=1
	s_or_b32 exec_lo, exec_lo, vcc_lo
                                        ; implicit-def: $vgpr0_vgpr1
.LBB47_2885:                            ;   in Loop: Header=BB47_17 Depth=1
	s_and_not1_saveexec_b32 vcc_lo, s53
	s_cbranch_execz .LBB47_2887
; %bb.2886:                             ;   in Loop: Header=BB47_17 Depth=1
	flat_load_u16 v0, v[0:1]
	s_waitcnt vmcnt(0) lgkmcnt(0)
	v_cvt_f32_f16_e32 v15, v0
.LBB47_2887:                            ;   in Loop: Header=BB47_17 Depth=1
	s_or_b32 exec_lo, exec_lo, vcc_lo
.LBB47_2888:                            ;   in Loop: Header=BB47_17 Depth=1
	s_delay_alu instid0(SALU_CYCLE_1)
	s_or_b32 exec_lo, exec_lo, s52
                                        ; implicit-def: $vgpr16
                                        ; implicit-def: $vgpr0_vgpr1
.LBB47_2889:                            ;   in Loop: Header=BB47_17 Depth=1
	s_and_not1_saveexec_b32 s51, s51
	s_cbranch_execz .LBB47_2907
; %bb.2890:                             ;   in Loop: Header=BB47_17 Depth=1
	s_mov_b32 s52, exec_lo
                                        ; implicit-def: $vgpr15
	v_cmpx_lt_i16_e32 1, v16
	s_xor_b32 s52, exec_lo, s52
	s_cbranch_execz .LBB47_2900
; %bb.2891:                             ;   in Loop: Header=BB47_17 Depth=1
	s_mov_b32 s53, exec_lo
                                        ; implicit-def: $vgpr15
	v_cmpx_lt_i16_e32 2, v16
	s_xor_b32 s53, exec_lo, s53
	s_cbranch_execz .LBB47_2897
; %bb.2892:                             ;   in Loop: Header=BB47_17 Depth=1
	v_cmp_lt_i16_e32 vcc_lo, 3, v16
                                        ; implicit-def: $vgpr15
	s_and_saveexec_b32 s54, vcc_lo
	s_delay_alu instid0(SALU_CYCLE_1)
	s_xor_b32 vcc_lo, exec_lo, s54
	s_cbranch_execz .LBB47_2894
; %bb.2893:                             ;   in Loop: Header=BB47_17 Depth=1
	flat_load_b64 v[0:1], v[0:1]
	s_waitcnt vmcnt(0) lgkmcnt(0)
	v_xor_b32_e32 v15, v0, v1
	v_cls_i32_e32 v16, v1
	s_delay_alu instid0(VALU_DEP_2) | instskip(NEXT) | instid1(VALU_DEP_2)
	v_ashrrev_i32_e32 v15, 31, v15
	v_add_nc_u32_e32 v16, -1, v16
	s_delay_alu instid0(VALU_DEP_2) | instskip(NEXT) | instid1(VALU_DEP_1)
	v_add_nc_u32_e32 v15, 32, v15
	v_min_u32_e32 v15, v16, v15
	s_delay_alu instid0(VALU_DEP_1) | instskip(NEXT) | instid1(VALU_DEP_1)
	v_lshlrev_b64 v[0:1], v15, v[0:1]
	v_min_u32_e32 v0, 1, v0
	s_delay_alu instid0(VALU_DEP_1) | instskip(SKIP_1) | instid1(VALU_DEP_2)
	v_or_b32_e32 v0, v1, v0
	v_sub_nc_u32_e32 v1, 32, v15
	v_cvt_f32_i32_e32 v0, v0
	s_delay_alu instid0(VALU_DEP_1)
	v_ldexp_f32 v15, v0, v1
                                        ; implicit-def: $vgpr0_vgpr1
.LBB47_2894:                            ;   in Loop: Header=BB47_17 Depth=1
	s_and_not1_saveexec_b32 vcc_lo, vcc_lo
	s_cbranch_execz .LBB47_2896
; %bb.2895:                             ;   in Loop: Header=BB47_17 Depth=1
	flat_load_b32 v0, v[0:1]
	s_waitcnt vmcnt(0) lgkmcnt(0)
	v_cvt_f32_i32_e32 v15, v0
.LBB47_2896:                            ;   in Loop: Header=BB47_17 Depth=1
	s_or_b32 exec_lo, exec_lo, vcc_lo
                                        ; implicit-def: $vgpr0_vgpr1
.LBB47_2897:                            ;   in Loop: Header=BB47_17 Depth=1
	s_and_not1_saveexec_b32 vcc_lo, s53
	s_cbranch_execz .LBB47_2899
; %bb.2898:                             ;   in Loop: Header=BB47_17 Depth=1
	flat_load_i16 v0, v[0:1]
	s_waitcnt vmcnt(0) lgkmcnt(0)
	v_cvt_f32_i32_e32 v15, v0
.LBB47_2899:                            ;   in Loop: Header=BB47_17 Depth=1
	s_or_b32 exec_lo, exec_lo, vcc_lo
                                        ; implicit-def: $vgpr0_vgpr1
                                        ; implicit-def: $vgpr16
.LBB47_2900:                            ;   in Loop: Header=BB47_17 Depth=1
	s_and_not1_saveexec_b32 s52, s52
	s_cbranch_execz .LBB47_2906
; %bb.2901:                             ;   in Loop: Header=BB47_17 Depth=1
	v_cmp_lt_i16_e32 vcc_lo, 0, v16
                                        ; implicit-def: $vgpr15
	s_and_saveexec_b32 s53, vcc_lo
	s_delay_alu instid0(SALU_CYCLE_1)
	s_xor_b32 vcc_lo, exec_lo, s53
	s_cbranch_execz .LBB47_2903
; %bb.2902:                             ;   in Loop: Header=BB47_17 Depth=1
	flat_load_i8 v0, v[0:1]
	s_waitcnt vmcnt(0) lgkmcnt(0)
	v_cvt_f32_i32_e32 v15, v0
                                        ; implicit-def: $vgpr0_vgpr1
.LBB47_2903:                            ;   in Loop: Header=BB47_17 Depth=1
	s_and_not1_saveexec_b32 vcc_lo, vcc_lo
	s_cbranch_execz .LBB47_2905
; %bb.2904:                             ;   in Loop: Header=BB47_17 Depth=1
	flat_load_u8 v0, v[0:1]
	s_waitcnt vmcnt(0) lgkmcnt(0)
	v_cvt_f32_ubyte0_e32 v15, v0
.LBB47_2905:                            ;   in Loop: Header=BB47_17 Depth=1
	s_or_b32 exec_lo, exec_lo, vcc_lo
.LBB47_2906:                            ;   in Loop: Header=BB47_17 Depth=1
	s_delay_alu instid0(SALU_CYCLE_1)
	s_or_b32 exec_lo, exec_lo, s52
.LBB47_2907:                            ;   in Loop: Header=BB47_17 Depth=1
	s_delay_alu instid0(SALU_CYCLE_1) | instskip(NEXT) | instid1(SALU_CYCLE_1)
	s_or_b32 exec_lo, exec_lo, s51
	s_and_not1_b32 s49, s49, exec_lo
	s_and_not1_b32 s48, s48, exec_lo
	s_or_b32 s50, s50, exec_lo
	s_or_b32 exec_lo, exec_lo, s47
	s_mov_b32 vcc_lo, 0
	s_and_saveexec_b32 s47, s50
	s_cbranch_execnz .LBB47_2784
	s_branch .LBB47_2785
.LBB47_2908:                            ;   in Loop: Header=BB47_17 Depth=1
	s_mov_b32 s45, exec_lo
                                        ; implicit-def: $sgpr51
                                        ; implicit-def: $sgpr46
                                        ; implicit-def: $vgpr16
	v_cmpx_lt_i16_e32 25, v7
	s_xor_b32 s45, exec_lo, s45
	s_cbranch_execz .LBB47_2940
; %bb.2909:                             ;   in Loop: Header=BB47_17 Depth=1
	s_mov_b32 s46, exec_lo
                                        ; implicit-def: $sgpr51
                                        ; implicit-def: $sgpr52
                                        ; implicit-def: $vgpr16
	v_cmpx_lt_i16_e32 28, v7
	s_xor_b32 s46, exec_lo, s46
	s_cbranch_execz .LBB47_2925
; %bb.2910:                             ;   in Loop: Header=BB47_17 Depth=1
	s_mov_b32 s53, 0
	s_mov_b32 s50, exec_lo
                                        ; implicit-def: $sgpr51
                                        ; implicit-def: $sgpr52
                                        ; implicit-def: $vgpr16
	v_cmpx_lt_i16_e32 43, v7
	s_xor_b32 s50, exec_lo, s50
	s_cbranch_execz .LBB47_2920
; %bb.2911:                             ;   in Loop: Header=BB47_17 Depth=1
	s_mov_b32 s52, exec_lo
                                        ; implicit-def: $sgpr51
                                        ; implicit-def: $sgpr54
                                        ; implicit-def: $vgpr16
	v_cmpx_lt_i16_e32 45, v7
	s_xor_b32 s52, exec_lo, s52
	s_cbranch_execz .LBB47_2915
; %bb.2912:                             ;   in Loop: Header=BB47_17 Depth=1
	s_mov_b32 s51, 0
	s_mov_b32 s54, exec_lo
                                        ; implicit-def: $vgpr16
	v_cmpx_eq_u16_e32 46, v7
	s_cbranch_execz .LBB47_2914
; %bb.2913:                             ;   in Loop: Header=BB47_17 Depth=1
	flat_load_b32 v0, v[0:1]
	s_mov_b32 s53, exec_lo
	s_waitcnt vmcnt(0) lgkmcnt(0)
	v_lshlrev_b32_e32 v16, 16, v0
.LBB47_2914:                            ;   in Loop: Header=BB47_17 Depth=1
	s_or_b32 exec_lo, exec_lo, s54
	s_mov_b32 s54, -1
	s_and_b32 s53, s53, exec_lo
                                        ; implicit-def: $vgpr0_vgpr1
.LBB47_2915:                            ;   in Loop: Header=BB47_17 Depth=1
	s_and_not1_saveexec_b32 s52, s52
	s_cbranch_execz .LBB47_2919
; %bb.2916:                             ;   in Loop: Header=BB47_17 Depth=1
	s_mov_b32 s56, s53
	s_mov_b32 s55, exec_lo
                                        ; implicit-def: $vgpr16
	v_cmpx_eq_u16_e32 44, v7
	s_cbranch_execz .LBB47_2918
; %bb.2917:                             ;   in Loop: Header=BB47_17 Depth=1
	flat_load_u8 v0, v[0:1]
	s_or_b32 s56, s53, exec_lo
	s_waitcnt vmcnt(0) lgkmcnt(0)
	v_lshlrev_b32_e32 v1, 23, v0
	v_cmp_ne_u32_e32 vcc_lo, 0xff, v0
	s_delay_alu instid0(VALU_DEP_2) | instskip(SKIP_1) | instid1(VALU_DEP_2)
	v_cndmask_b32_e32 v1, 0x7f800001, v1, vcc_lo
	v_cmp_ne_u32_e32 vcc_lo, 0, v0
	v_cndmask_b32_e32 v16, 0x400000, v1, vcc_lo
.LBB47_2918:                            ;   in Loop: Header=BB47_17 Depth=1
	s_or_b32 exec_lo, exec_lo, s55
	s_delay_alu instid0(SALU_CYCLE_1)
	s_and_not1_b32 vcc_lo, s53, exec_lo
	s_and_b32 s53, s56, exec_lo
	s_and_not1_b32 s51, s51, exec_lo
	s_or_b32 s54, s54, exec_lo
	s_or_b32 s53, vcc_lo, s53
.LBB47_2919:                            ;   in Loop: Header=BB47_17 Depth=1
	s_or_b32 exec_lo, exec_lo, s52
	s_delay_alu instid0(SALU_CYCLE_1)
	s_and_b32 s52, s51, exec_lo
	s_and_b32 s51, s54, exec_lo
	;; [unrolled: 1-line block ×3, first 2 shown]
                                        ; implicit-def: $vgpr0_vgpr1
.LBB47_2920:                            ;   in Loop: Header=BB47_17 Depth=1
	s_and_not1_saveexec_b32 s50, s50
	s_cbranch_execz .LBB47_2924
; %bb.2921:                             ;   in Loop: Header=BB47_17 Depth=1
	s_mov_b32 s55, s53
	s_mov_b32 s54, exec_lo
                                        ; implicit-def: $vgpr16
	v_cmpx_eq_u16_e32 29, v7
	s_cbranch_execz .LBB47_2923
; %bb.2922:                             ;   in Loop: Header=BB47_17 Depth=1
	flat_load_b64 v[0:1], v[0:1]
	s_or_b32 s55, s53, exec_lo
	s_waitcnt vmcnt(0) lgkmcnt(0)
	v_clz_i32_u32_e32 v14, v1
	s_delay_alu instid0(VALU_DEP_1) | instskip(NEXT) | instid1(VALU_DEP_1)
	v_min_u32_e32 v14, 32, v14
	v_lshlrev_b64 v[0:1], v14, v[0:1]
	s_delay_alu instid0(VALU_DEP_1) | instskip(NEXT) | instid1(VALU_DEP_1)
	v_min_u32_e32 v0, 1, v0
	v_or_b32_e32 v0, v1, v0
	v_sub_nc_u32_e32 v1, 32, v14
	s_delay_alu instid0(VALU_DEP_2) | instskip(NEXT) | instid1(VALU_DEP_1)
	v_cvt_f32_u32_e32 v0, v0
	v_ldexp_f32 v16, v0, v1
.LBB47_2923:                            ;   in Loop: Header=BB47_17 Depth=1
	s_or_b32 exec_lo, exec_lo, s54
	s_delay_alu instid0(SALU_CYCLE_1)
	s_and_not1_b32 vcc_lo, s53, exec_lo
	s_and_b32 s53, s55, exec_lo
	s_and_not1_b32 s52, s52, exec_lo
	s_or_b32 s51, s51, exec_lo
	s_or_b32 s53, vcc_lo, s53
.LBB47_2924:                            ;   in Loop: Header=BB47_17 Depth=1
	s_or_b32 exec_lo, exec_lo, s50
	s_delay_alu instid0(SALU_CYCLE_1)
	s_and_b32 s52, s52, exec_lo
	s_and_b32 s51, s51, exec_lo
	;; [unrolled: 1-line block ×3, first 2 shown]
                                        ; implicit-def: $vgpr0_vgpr1
.LBB47_2925:                            ;   in Loop: Header=BB47_17 Depth=1
	s_and_not1_saveexec_b32 s46, s46
	s_cbranch_execz .LBB47_2939
; %bb.2926:                             ;   in Loop: Header=BB47_17 Depth=1
	s_mov_b32 s53, exec_lo
                                        ; implicit-def: $vgpr16
	v_cmpx_lt_i16_e32 26, v7
	s_xor_b32 s53, exec_lo, s53
	s_cbranch_execz .LBB47_2932
; %bb.2927:                             ;   in Loop: Header=BB47_17 Depth=1
	v_cmp_lt_i16_e32 vcc_lo, 27, v7
                                        ; implicit-def: $vgpr16
	s_and_saveexec_b32 s54, vcc_lo
	s_delay_alu instid0(SALU_CYCLE_1)
	s_xor_b32 vcc_lo, exec_lo, s54
	s_cbranch_execz .LBB47_2929
; %bb.2928:                             ;   in Loop: Header=BB47_17 Depth=1
	flat_load_b32 v0, v[0:1]
	s_waitcnt vmcnt(0) lgkmcnt(0)
	v_cvt_f32_u32_e32 v16, v0
                                        ; implicit-def: $vgpr0_vgpr1
.LBB47_2929:                            ;   in Loop: Header=BB47_17 Depth=1
	s_and_not1_saveexec_b32 vcc_lo, vcc_lo
	s_cbranch_execz .LBB47_2931
; %bb.2930:                             ;   in Loop: Header=BB47_17 Depth=1
	flat_load_u16 v0, v[0:1]
	s_waitcnt vmcnt(0) lgkmcnt(0)
	v_cvt_f32_u32_e32 v16, v0
.LBB47_2931:                            ;   in Loop: Header=BB47_17 Depth=1
	s_or_b32 exec_lo, exec_lo, vcc_lo
                                        ; implicit-def: $vgpr0_vgpr1
.LBB47_2932:                            ;   in Loop: Header=BB47_17 Depth=1
	s_and_not1_saveexec_b32 s53, s53
	s_cbranch_execz .LBB47_2938
; %bb.2933:                             ;   in Loop: Header=BB47_17 Depth=1
	flat_load_u8 v0, v[0:1]
	s_mov_b32 s54, 0
	s_mov_b32 s56, exec_lo
                                        ; implicit-def: $sgpr55
	s_waitcnt vmcnt(0) lgkmcnt(0)
	v_cmpx_lt_i16_e32 0x7f, v0
	s_xor_b32 s56, exec_lo, s56
	s_cbranch_execnz .LBB47_3598
; %bb.2934:                             ;   in Loop: Header=BB47_17 Depth=1
	s_or_saveexec_b32 s56, s56
	v_mov_b32_e32 v16, s55
	s_xor_b32 exec_lo, exec_lo, s56
	s_cbranch_execnz .LBB47_3601
.LBB47_2935:                            ;   in Loop: Header=BB47_17 Depth=1
	s_or_b32 exec_lo, exec_lo, s56
	s_and_saveexec_b32 s55, s54
	s_cbranch_execz .LBB47_2937
.LBB47_2936:                            ;   in Loop: Header=BB47_17 Depth=1
	v_and_b32_e32 v1, 0xffff, v0
	v_lshlrev_b32_e32 v0, 24, v0
	s_delay_alu instid0(VALU_DEP_2) | instskip(NEXT) | instid1(VALU_DEP_2)
	v_and_b32_e32 v14, 7, v1
	v_and_b32_e32 v0, 0x80000000, v0
	s_delay_alu instid0(VALU_DEP_2) | instskip(NEXT) | instid1(VALU_DEP_1)
	v_clz_i32_u32_e32 v16, v14
	v_min_u32_e32 v16, 32, v16
	s_delay_alu instid0(VALU_DEP_1) | instskip(SKIP_1) | instid1(VALU_DEP_2)
	v_subrev_nc_u32_e32 v17, 28, v16
	v_sub_nc_u32_e32 v16, 29, v16
	v_lshlrev_b32_e32 v17, v17, v1
	v_bfe_u32 v1, v1, 3, 4
	s_delay_alu instid0(VALU_DEP_2) | instskip(NEXT) | instid1(VALU_DEP_2)
	v_and_b32_e32 v17, 7, v17
	v_cmp_eq_u32_e32 vcc_lo, 0, v1
	s_delay_alu instid0(VALU_DEP_2) | instskip(NEXT) | instid1(VALU_DEP_1)
	v_dual_cndmask_b32 v1, v1, v16 :: v_dual_cndmask_b32 v14, v14, v17
	v_lshl_add_u32 v1, v1, 23, 0x3b800000
	s_delay_alu instid0(VALU_DEP_2) | instskip(NEXT) | instid1(VALU_DEP_1)
	v_lshlrev_b32_e32 v14, 20, v14
	v_or3_b32 v16, v0, v1, v14
.LBB47_2937:                            ;   in Loop: Header=BB47_17 Depth=1
	s_or_b32 exec_lo, exec_lo, s55
.LBB47_2938:                            ;   in Loop: Header=BB47_17 Depth=1
	s_delay_alu instid0(SALU_CYCLE_1) | instskip(NEXT) | instid1(SALU_CYCLE_1)
	s_or_b32 exec_lo, exec_lo, s53
	s_and_not1_b32 s52, s52, exec_lo
	s_and_not1_b32 s51, s51, exec_lo
	s_or_b32 s50, s50, exec_lo
.LBB47_2939:                            ;   in Loop: Header=BB47_17 Depth=1
	s_or_b32 exec_lo, exec_lo, s46
	s_delay_alu instid0(SALU_CYCLE_1)
	s_and_b32 s46, s52, exec_lo
	s_and_b32 s51, s51, exec_lo
	;; [unrolled: 1-line block ×3, first 2 shown]
                                        ; implicit-def: $vgpr0_vgpr1
.LBB47_2940:                            ;   in Loop: Header=BB47_17 Depth=1
	s_and_not1_saveexec_b32 s45, s45
	s_cbranch_execz .LBB47_2966
; %bb.2941:                             ;   in Loop: Header=BB47_17 Depth=1
	s_mov_b32 s53, s50
	s_mov_b32 s52, exec_lo
                                        ; implicit-def: $vgpr16
	v_cmpx_lt_i16_e32 22, v7
	s_xor_b32 s52, exec_lo, s52
	s_cbranch_execz .LBB47_2955
; %bb.2942:                             ;   in Loop: Header=BB47_17 Depth=1
	s_mov_b32 s53, exec_lo
                                        ; implicit-def: $vgpr16
	v_cmpx_lt_i16_e32 23, v7
	s_xor_b32 s53, exec_lo, s53
	s_cbranch_execz .LBB47_2952
; %bb.2943:                             ;   in Loop: Header=BB47_17 Depth=1
	;; [unrolled: 6-line block ×3, first 2 shown]
	flat_load_u8 v0, v[0:1]
	s_mov_b32 s55, 0
	s_mov_b32 s57, exec_lo
                                        ; implicit-def: $sgpr56
	s_waitcnt vmcnt(0) lgkmcnt(0)
	v_cmpx_lt_i16_e32 0x7f, v0
	s_xor_b32 s57, exec_lo, s57
	s_cbranch_execnz .LBB47_3606
; %bb.2945:                             ;   in Loop: Header=BB47_17 Depth=1
	s_or_saveexec_b32 s57, s57
	v_mov_b32_e32 v16, s56
	s_xor_b32 exec_lo, exec_lo, s57
	s_cbranch_execnz .LBB47_3609
.LBB47_2946:                            ;   in Loop: Header=BB47_17 Depth=1
	s_or_b32 exec_lo, exec_lo, s57
	s_and_saveexec_b32 s56, s55
	s_cbranch_execz .LBB47_2948
.LBB47_2947:                            ;   in Loop: Header=BB47_17 Depth=1
	v_and_b32_e32 v1, 0xffff, v0
	v_lshlrev_b32_e32 v0, 24, v0
	s_delay_alu instid0(VALU_DEP_2) | instskip(NEXT) | instid1(VALU_DEP_2)
	v_and_b32_e32 v14, 3, v1
	v_and_b32_e32 v0, 0x80000000, v0
	s_delay_alu instid0(VALU_DEP_2) | instskip(NEXT) | instid1(VALU_DEP_1)
	v_clz_i32_u32_e32 v16, v14
	v_min_u32_e32 v16, 32, v16
	s_delay_alu instid0(VALU_DEP_1) | instskip(SKIP_1) | instid1(VALU_DEP_2)
	v_subrev_nc_u32_e32 v17, 29, v16
	v_sub_nc_u32_e32 v16, 30, v16
	v_lshlrev_b32_e32 v17, v17, v1
	v_bfe_u32 v1, v1, 2, 5
	s_delay_alu instid0(VALU_DEP_2) | instskip(NEXT) | instid1(VALU_DEP_2)
	v_and_b32_e32 v17, 3, v17
	v_cmp_eq_u32_e32 vcc_lo, 0, v1
	s_delay_alu instid0(VALU_DEP_2) | instskip(NEXT) | instid1(VALU_DEP_1)
	v_dual_cndmask_b32 v1, v1, v16 :: v_dual_cndmask_b32 v14, v14, v17
	v_lshl_add_u32 v1, v1, 23, 0x37800000
	s_delay_alu instid0(VALU_DEP_2) | instskip(NEXT) | instid1(VALU_DEP_1)
	v_lshlrev_b32_e32 v14, 21, v14
	v_or3_b32 v16, v0, v1, v14
.LBB47_2948:                            ;   in Loop: Header=BB47_17 Depth=1
	s_or_b32 exec_lo, exec_lo, s56
                                        ; implicit-def: $vgpr0_vgpr1
.LBB47_2949:                            ;   in Loop: Header=BB47_17 Depth=1
	s_and_not1_saveexec_b32 s54, s54
	s_cbranch_execz .LBB47_2951
; %bb.2950:                             ;   in Loop: Header=BB47_17 Depth=1
	flat_load_u8 v0, v[0:1]
	s_waitcnt vmcnt(0) lgkmcnt(0)
	v_lshlrev_b32_e32 v0, 24, v0
	s_delay_alu instid0(VALU_DEP_1) | instskip(NEXT) | instid1(VALU_DEP_1)
	v_and_b32_e32 v1, 0x7f000000, v0
	v_clz_i32_u32_e32 v14, v1
	v_add_nc_u32_e32 v17, 0x1000000, v1
	v_cmp_ne_u32_e32 vcc_lo, 0, v1
	s_delay_alu instid0(VALU_DEP_3) | instskip(NEXT) | instid1(VALU_DEP_1)
	v_min_u32_e32 v14, 32, v14
	v_sub_nc_u32_e64 v14, v14, 4 clamp
	s_delay_alu instid0(VALU_DEP_1) | instskip(SKIP_1) | instid1(VALU_DEP_2)
	v_lshlrev_b32_e32 v16, v14, v1
	v_lshlrev_b32_e32 v14, 23, v14
	v_lshrrev_b32_e32 v16, 4, v16
	s_delay_alu instid0(VALU_DEP_1) | instskip(SKIP_1) | instid1(VALU_DEP_2)
	v_sub_nc_u32_e32 v14, v16, v14
	v_ashrrev_i32_e32 v16, 8, v17
	v_add_nc_u32_e32 v14, 0x3c000000, v14
	s_delay_alu instid0(VALU_DEP_1) | instskip(NEXT) | instid1(VALU_DEP_1)
	v_and_or_b32 v14, 0x7f800000, v16, v14
	v_cndmask_b32_e32 v1, 0, v14, vcc_lo
	s_delay_alu instid0(VALU_DEP_1)
	v_and_or_b32 v16, 0x80000000, v0, v1
.LBB47_2951:                            ;   in Loop: Header=BB47_17 Depth=1
	s_or_b32 exec_lo, exec_lo, s54
                                        ; implicit-def: $vgpr0_vgpr1
.LBB47_2952:                            ;   in Loop: Header=BB47_17 Depth=1
	s_and_not1_saveexec_b32 s53, s53
	s_cbranch_execz .LBB47_2954
; %bb.2953:                             ;   in Loop: Header=BB47_17 Depth=1
	flat_load_u8 v0, v[0:1]
	s_waitcnt vmcnt(0) lgkmcnt(0)
	v_lshlrev_b32_e32 v1, 25, v0
	v_lshlrev_b16 v0, 8, v0
	s_delay_alu instid0(VALU_DEP_2) | instskip(NEXT) | instid1(VALU_DEP_2)
	v_lshrrev_b32_e32 v14, 4, v1
	v_and_or_b32 v16, 0x7f00, v0, 0.5
	v_bfe_i32 v0, v0, 0, 16
	s_delay_alu instid0(VALU_DEP_3) | instskip(NEXT) | instid1(VALU_DEP_3)
	v_or_b32_e32 v14, 0x70000000, v14
	v_add_f32_e32 v16, -0.5, v16
	s_delay_alu instid0(VALU_DEP_2) | instskip(SKIP_1) | instid1(VALU_DEP_2)
	v_mul_f32_e32 v14, 0x7800000, v14
	v_cmp_gt_u32_e32 vcc_lo, 0x8000000, v1
	v_cndmask_b32_e32 v1, v14, v16, vcc_lo
	s_delay_alu instid0(VALU_DEP_1)
	v_and_or_b32 v16, 0x80000000, v0, v1
.LBB47_2954:                            ;   in Loop: Header=BB47_17 Depth=1
	s_or_b32 exec_lo, exec_lo, s53
	s_delay_alu instid0(SALU_CYCLE_1)
	s_or_b32 s53, s50, exec_lo
                                        ; implicit-def: $vgpr0_vgpr1
.LBB47_2955:                            ;   in Loop: Header=BB47_17 Depth=1
	s_or_saveexec_b32 s52, s52
                                        ; implicit-def: $sgpr54
                                        ; implicit-def: $vcc_lo
	s_delay_alu instid0(SALU_CYCLE_1)
	s_xor_b32 exec_lo, exec_lo, s52
	s_cbranch_execz .LBB47_2965
; %bb.2956:                             ;   in Loop: Header=BB47_17 Depth=1
	s_mov_b32 s55, s53
	s_mov_b32 s57, exec_lo
                                        ; implicit-def: $sgpr56
                                        ; implicit-def: $sgpr54
                                        ; implicit-def: $vgpr16
	v_cmpx_lt_i16_e32 14, v7
	s_xor_b32 s57, exec_lo, s57
	s_cbranch_execz .LBB47_2960
; %bb.2957:                             ;   in Loop: Header=BB47_17 Depth=1
	s_mov_b32 s55, s53
	s_mov_b32 s54, exec_lo
                                        ; implicit-def: $vgpr16
	v_cmpx_eq_u16_e32 15, v7
	s_cbranch_execz .LBB47_2959
; %bb.2958:                             ;   in Loop: Header=BB47_17 Depth=1
	flat_load_u16 v0, v[0:1]
	s_or_b32 s55, s53, exec_lo
	s_waitcnt vmcnt(0) lgkmcnt(0)
	v_lshlrev_b32_e32 v16, 16, v0
.LBB47_2959:                            ;   in Loop: Header=BB47_17 Depth=1
	s_or_b32 exec_lo, exec_lo, s54
	s_delay_alu instid0(SALU_CYCLE_1)
	s_and_not1_b32 vcc_lo, s53, exec_lo
	s_and_b32 s55, s55, exec_lo
	s_mov_b32 s54, -1
	s_mov_b32 s56, 0
	s_or_b32 s55, vcc_lo, s55
                                        ; implicit-def: $vgpr0_vgpr1
.LBB47_2960:                            ;   in Loop: Header=BB47_17 Depth=1
	s_and_not1_saveexec_b32 s57, s57
	s_cbranch_execz .LBB47_2964
; %bb.2961:                             ;   in Loop: Header=BB47_17 Depth=1
	s_mov_b32 s58, s55
	s_mov_b32 s59, exec_lo
                                        ; implicit-def: $vgpr16
	v_cmpx_eq_u16_e32 11, v7
	s_cbranch_execz .LBB47_2963
; %bb.2962:                             ;   in Loop: Header=BB47_17 Depth=1
	flat_load_u8 v0, v[0:1]
	s_or_b32 s58, s55, exec_lo
	s_waitcnt vmcnt(0) lgkmcnt(0)
	v_cmp_ne_u16_e32 vcc_lo, 0, v0
	v_cndmask_b32_e64 v16, 0, 1.0, vcc_lo
.LBB47_2963:                            ;   in Loop: Header=BB47_17 Depth=1
	s_or_b32 exec_lo, exec_lo, s59
	s_delay_alu instid0(SALU_CYCLE_1)
	s_and_not1_b32 vcc_lo, s55, exec_lo
	s_and_b32 s55, s58, exec_lo
	s_and_not1_b32 s56, s56, exec_lo
	s_or_b32 s54, s54, exec_lo
	s_or_b32 s55, vcc_lo, s55
.LBB47_2964:                            ;   in Loop: Header=BB47_17 Depth=1
	s_or_b32 exec_lo, exec_lo, s57
	s_delay_alu instid0(SALU_CYCLE_1)
	s_and_not1_b32 s53, s53, exec_lo
	s_and_b32 s55, s55, exec_lo
	s_and_b32 vcc_lo, s56, exec_lo
	s_and_b32 s54, s54, exec_lo
	s_or_b32 s53, s53, s55
.LBB47_2965:                            ;   in Loop: Header=BB47_17 Depth=1
	s_or_b32 exec_lo, exec_lo, s52
	s_delay_alu instid0(SALU_CYCLE_1)
	s_and_not1_b32 s46, s46, exec_lo
	s_and_b32 vcc_lo, vcc_lo, exec_lo
	s_and_not1_b32 s50, s50, exec_lo
	s_or_b32 s46, s46, vcc_lo
	s_and_not1_b32 vcc_lo, s51, exec_lo
	s_and_b32 s51, s54, exec_lo
	s_and_b32 s52, s53, exec_lo
	s_or_b32 s51, vcc_lo, s51
	s_or_b32 s50, s50, s52
.LBB47_2966:                            ;   in Loop: Header=BB47_17 Depth=1
	s_or_b32 exec_lo, exec_lo, s45
	s_delay_alu instid0(SALU_CYCLE_1)
	s_and_b32 s46, s46, exec_lo
	s_and_b32 s45, s51, exec_lo
	;; [unrolled: 1-line block ×3, first 2 shown]
                                        ; implicit-def: $vgpr0_vgpr1
	s_and_not1_saveexec_b32 s49, s49
	s_cbranch_execz .LBB47_2791
.LBB47_2967:                            ;   in Loop: Header=BB47_17 Depth=1
	s_mov_b32 s51, exec_lo
                                        ; implicit-def: $vgpr16
	v_cmpx_lt_i16_e32 4, v7
	s_xor_b32 s51, exec_lo, s51
	s_cbranch_execz .LBB47_2989
; %bb.2968:                             ;   in Loop: Header=BB47_17 Depth=1
	s_mov_b32 s52, exec_lo
                                        ; implicit-def: $vgpr16
	v_cmpx_lt_i16_e32 7, v7
	s_xor_b32 s52, exec_lo, s52
	s_cbranch_execz .LBB47_2978
; %bb.2969:                             ;   in Loop: Header=BB47_17 Depth=1
	;; [unrolled: 6-line block ×3, first 2 shown]
	v_cmp_lt_i16_e32 vcc_lo, 9, v7
                                        ; implicit-def: $vgpr16
	s_and_saveexec_b32 s54, vcc_lo
	s_delay_alu instid0(SALU_CYCLE_1)
	s_xor_b32 vcc_lo, exec_lo, s54
	s_cbranch_execz .LBB47_2972
; %bb.2971:                             ;   in Loop: Header=BB47_17 Depth=1
	flat_load_b64 v[0:1], v[0:1]
	s_waitcnt vmcnt(0) lgkmcnt(0)
	v_cvt_f32_f64_e32 v16, v[0:1]
                                        ; implicit-def: $vgpr0_vgpr1
.LBB47_2972:                            ;   in Loop: Header=BB47_17 Depth=1
	s_and_not1_saveexec_b32 vcc_lo, vcc_lo
	s_cbranch_execz .LBB47_2974
; %bb.2973:                             ;   in Loop: Header=BB47_17 Depth=1
	flat_load_b32 v16, v[0:1]
.LBB47_2974:                            ;   in Loop: Header=BB47_17 Depth=1
	s_or_b32 exec_lo, exec_lo, vcc_lo
                                        ; implicit-def: $vgpr0_vgpr1
.LBB47_2975:                            ;   in Loop: Header=BB47_17 Depth=1
	s_and_not1_saveexec_b32 vcc_lo, s53
	s_cbranch_execz .LBB47_2977
; %bb.2976:                             ;   in Loop: Header=BB47_17 Depth=1
	flat_load_b32 v0, v[0:1]
	s_waitcnt vmcnt(0) lgkmcnt(0)
	v_cvt_f32_f16_e32 v16, v0
.LBB47_2977:                            ;   in Loop: Header=BB47_17 Depth=1
	s_or_b32 exec_lo, exec_lo, vcc_lo
                                        ; implicit-def: $vgpr0_vgpr1
.LBB47_2978:                            ;   in Loop: Header=BB47_17 Depth=1
	s_and_not1_saveexec_b32 s52, s52
	s_cbranch_execz .LBB47_2988
; %bb.2979:                             ;   in Loop: Header=BB47_17 Depth=1
	s_mov_b32 s53, exec_lo
                                        ; implicit-def: $vgpr16
	v_cmpx_lt_i16_e32 5, v7
	s_xor_b32 s53, exec_lo, s53
	s_cbranch_execz .LBB47_2985
; %bb.2980:                             ;   in Loop: Header=BB47_17 Depth=1
	v_cmp_lt_i16_e32 vcc_lo, 6, v7
                                        ; implicit-def: $vgpr16
	s_and_saveexec_b32 s54, vcc_lo
	s_delay_alu instid0(SALU_CYCLE_1)
	s_xor_b32 vcc_lo, exec_lo, s54
	s_cbranch_execz .LBB47_2982
; %bb.2981:                             ;   in Loop: Header=BB47_17 Depth=1
	flat_load_b64 v[0:1], v[0:1]
	s_waitcnt vmcnt(0) lgkmcnt(0)
	v_cvt_f32_f64_e32 v16, v[0:1]
                                        ; implicit-def: $vgpr0_vgpr1
.LBB47_2982:                            ;   in Loop: Header=BB47_17 Depth=1
	s_and_not1_saveexec_b32 vcc_lo, vcc_lo
	s_cbranch_execz .LBB47_2984
; %bb.2983:                             ;   in Loop: Header=BB47_17 Depth=1
	s_waitcnt vmcnt(0) lgkmcnt(0)
	flat_load_b32 v16, v[0:1]
.LBB47_2984:                            ;   in Loop: Header=BB47_17 Depth=1
	s_or_b32 exec_lo, exec_lo, vcc_lo
                                        ; implicit-def: $vgpr0_vgpr1
.LBB47_2985:                            ;   in Loop: Header=BB47_17 Depth=1
	s_and_not1_saveexec_b32 vcc_lo, s53
	s_cbranch_execz .LBB47_2987
; %bb.2986:                             ;   in Loop: Header=BB47_17 Depth=1
	flat_load_u16 v0, v[0:1]
	s_waitcnt vmcnt(0) lgkmcnt(0)
	v_cvt_f32_f16_e32 v16, v0
.LBB47_2987:                            ;   in Loop: Header=BB47_17 Depth=1
	s_or_b32 exec_lo, exec_lo, vcc_lo
.LBB47_2988:                            ;   in Loop: Header=BB47_17 Depth=1
	s_delay_alu instid0(SALU_CYCLE_1)
	s_or_b32 exec_lo, exec_lo, s52
                                        ; implicit-def: $vgpr0_vgpr1
.LBB47_2989:                            ;   in Loop: Header=BB47_17 Depth=1
	s_and_not1_saveexec_b32 s51, s51
	s_cbranch_execz .LBB47_3007
; %bb.2990:                             ;   in Loop: Header=BB47_17 Depth=1
	s_mov_b32 s52, exec_lo
                                        ; implicit-def: $vgpr16
	v_cmpx_lt_i16_e32 1, v7
	s_xor_b32 s52, exec_lo, s52
	s_cbranch_execz .LBB47_3000
; %bb.2991:                             ;   in Loop: Header=BB47_17 Depth=1
	s_mov_b32 s53, exec_lo
                                        ; implicit-def: $vgpr16
	v_cmpx_lt_i16_e32 2, v7
	s_xor_b32 s53, exec_lo, s53
	s_cbranch_execz .LBB47_2997
; %bb.2992:                             ;   in Loop: Header=BB47_17 Depth=1
	v_cmp_lt_i16_e32 vcc_lo, 3, v7
                                        ; implicit-def: $vgpr16
	s_and_saveexec_b32 s54, vcc_lo
	s_delay_alu instid0(SALU_CYCLE_1)
	s_xor_b32 vcc_lo, exec_lo, s54
	s_cbranch_execz .LBB47_2994
; %bb.2993:                             ;   in Loop: Header=BB47_17 Depth=1
	flat_load_b64 v[0:1], v[0:1]
	s_waitcnt vmcnt(0) lgkmcnt(0)
	v_xor_b32_e32 v14, v0, v1
	v_cls_i32_e32 v16, v1
	s_delay_alu instid0(VALU_DEP_2) | instskip(NEXT) | instid1(VALU_DEP_2)
	v_ashrrev_i32_e32 v14, 31, v14
	v_add_nc_u32_e32 v16, -1, v16
	s_delay_alu instid0(VALU_DEP_2) | instskip(NEXT) | instid1(VALU_DEP_1)
	v_add_nc_u32_e32 v14, 32, v14
	v_min_u32_e32 v14, v16, v14
	s_delay_alu instid0(VALU_DEP_1) | instskip(NEXT) | instid1(VALU_DEP_1)
	v_lshlrev_b64 v[0:1], v14, v[0:1]
	v_min_u32_e32 v0, 1, v0
	s_delay_alu instid0(VALU_DEP_1) | instskip(SKIP_1) | instid1(VALU_DEP_2)
	v_or_b32_e32 v0, v1, v0
	v_sub_nc_u32_e32 v1, 32, v14
	v_cvt_f32_i32_e32 v0, v0
	s_delay_alu instid0(VALU_DEP_1)
	v_ldexp_f32 v16, v0, v1
                                        ; implicit-def: $vgpr0_vgpr1
.LBB47_2994:                            ;   in Loop: Header=BB47_17 Depth=1
	s_and_not1_saveexec_b32 vcc_lo, vcc_lo
	s_cbranch_execz .LBB47_2996
; %bb.2995:                             ;   in Loop: Header=BB47_17 Depth=1
	flat_load_b32 v0, v[0:1]
	s_waitcnt vmcnt(0) lgkmcnt(0)
	v_cvt_f32_i32_e32 v16, v0
.LBB47_2996:                            ;   in Loop: Header=BB47_17 Depth=1
	s_or_b32 exec_lo, exec_lo, vcc_lo
                                        ; implicit-def: $vgpr0_vgpr1
.LBB47_2997:                            ;   in Loop: Header=BB47_17 Depth=1
	s_and_not1_saveexec_b32 vcc_lo, s53
	s_cbranch_execz .LBB47_2999
; %bb.2998:                             ;   in Loop: Header=BB47_17 Depth=1
	flat_load_i16 v0, v[0:1]
	s_waitcnt vmcnt(0) lgkmcnt(0)
	v_cvt_f32_i32_e32 v16, v0
.LBB47_2999:                            ;   in Loop: Header=BB47_17 Depth=1
	s_or_b32 exec_lo, exec_lo, vcc_lo
                                        ; implicit-def: $vgpr0_vgpr1
.LBB47_3000:                            ;   in Loop: Header=BB47_17 Depth=1
	s_and_not1_saveexec_b32 s52, s52
	s_cbranch_execz .LBB47_3006
; %bb.3001:                             ;   in Loop: Header=BB47_17 Depth=1
	v_cmp_lt_i16_e32 vcc_lo, 0, v7
                                        ; implicit-def: $vgpr16
	s_and_saveexec_b32 s53, vcc_lo
	s_delay_alu instid0(SALU_CYCLE_1)
	s_xor_b32 vcc_lo, exec_lo, s53
	s_cbranch_execz .LBB47_3003
; %bb.3002:                             ;   in Loop: Header=BB47_17 Depth=1
	flat_load_i8 v0, v[0:1]
	s_waitcnt vmcnt(0) lgkmcnt(0)
	v_cvt_f32_i32_e32 v16, v0
                                        ; implicit-def: $vgpr0_vgpr1
.LBB47_3003:                            ;   in Loop: Header=BB47_17 Depth=1
	s_and_not1_saveexec_b32 vcc_lo, vcc_lo
	s_cbranch_execz .LBB47_3005
; %bb.3004:                             ;   in Loop: Header=BB47_17 Depth=1
	flat_load_u8 v0, v[0:1]
	s_waitcnt vmcnt(0) lgkmcnt(0)
	v_cvt_f32_ubyte0_e32 v16, v0
.LBB47_3005:                            ;   in Loop: Header=BB47_17 Depth=1
	s_or_b32 exec_lo, exec_lo, vcc_lo
.LBB47_3006:                            ;   in Loop: Header=BB47_17 Depth=1
	s_delay_alu instid0(SALU_CYCLE_1)
	s_or_b32 exec_lo, exec_lo, s52
.LBB47_3007:                            ;   in Loop: Header=BB47_17 Depth=1
	s_delay_alu instid0(SALU_CYCLE_1) | instskip(NEXT) | instid1(SALU_CYCLE_1)
	s_or_b32 exec_lo, exec_lo, s51
	s_and_not1_b32 s46, s46, exec_lo
	s_and_not1_b32 s45, s45, exec_lo
	s_or_b32 s50, s50, exec_lo
	s_or_b32 exec_lo, exec_lo, s49
	s_mov_b32 vcc_lo, 0
	s_and_saveexec_b32 s49, s50
	s_cbranch_execz .LBB47_3013
.LBB47_3008:                            ;   in Loop: Header=BB47_17 Depth=1
	v_add_nc_u32_e64 v14, s1, s33
	s_mov_b32 s53, 0
	s_mov_b32 s50, exec_lo
                                        ; implicit-def: $sgpr51
                                        ; implicit-def: $sgpr52
	s_delay_alu instid0(VALU_DEP_1) | instskip(SKIP_4) | instid1(VALU_DEP_2)
	v_add_nc_u32_e32 v0, 0x6c, v14
	s_waitcnt vmcnt(0) lgkmcnt(0)
	scratch_store_b32 v0, v16, off
	v_mul_lo_u32 v0, v15, v10
	v_and_b32_e32 v16, 0xff, v8
                                        ; implicit-def: $vgpr15
	v_add_co_u32 v0, vcc_lo, v4, v0
	v_add_co_ci_u32_e32 v1, vcc_lo, 0, v5, vcc_lo
	s_delay_alu instid0(VALU_DEP_3)
	v_cmpx_lt_i16_e32 10, v16
	s_xor_b32 s50, exec_lo, s50
	s_cbranch_execnz .LBB47_3035
; %bb.3009:                             ;   in Loop: Header=BB47_17 Depth=1
	s_and_not1_saveexec_b32 s50, s50
	s_cbranch_execnz .LBB47_3094
.LBB47_3010:                            ;   in Loop: Header=BB47_17 Depth=1
	s_or_b32 exec_lo, exec_lo, s50
	s_mov_b32 vcc_lo, 0
	s_and_saveexec_b32 s50, s53
	s_cbranch_execz .LBB47_3012
.LBB47_3011:                            ;   in Loop: Header=BB47_17 Depth=1
	v_add_nc_u32_e32 v0, 0x68, v14
	v_add_nc_u32_e32 v13, 0x200, v13
	s_mov_b32 vcc_lo, exec_lo
	s_and_not1_b32 s52, s52, exec_lo
	s_and_not1_b32 s51, s51, exec_lo
	s_waitcnt vmcnt(0) lgkmcnt(0)
	scratch_store_b32 v0, v15, off
.LBB47_3012:                            ;   in Loop: Header=BB47_17 Depth=1
	s_or_b32 exec_lo, exec_lo, s50
	s_delay_alu instid0(SALU_CYCLE_1)
	s_and_not1_b32 s46, s46, exec_lo
	s_and_b32 s50, s52, exec_lo
	s_and_not1_b32 s45, s45, exec_lo
	s_and_b32 s51, s51, exec_lo
	s_or_b32 s46, s46, s50
	s_or_b32 s45, s45, s51
	s_and_b32 vcc_lo, vcc_lo, exec_lo
.LBB47_3013:                            ;   in Loop: Header=BB47_17 Depth=1
	s_or_b32 exec_lo, exec_lo, s49
	s_delay_alu instid0(SALU_CYCLE_1)
	s_and_b32 s46, s46, exec_lo
	s_and_b32 s45, s45, exec_lo
	s_or_not1_b32 s49, vcc_lo, exec_lo
.LBB47_3014:                            ;   in Loop: Header=BB47_17 Depth=1
	s_or_b32 exec_lo, exec_lo, s47
	s_and_saveexec_b32 s47, s49
	s_cbranch_execz .LBB47_3
; %bb.3015:                             ;   in Loop: Header=BB47_17 Depth=1
	s_mov_b32 s51, -1
	s_mov_b32 s52, -1
	s_mov_b32 s50, exec_lo
                                        ; implicit-def: $sgpr48
                                        ; implicit-def: $sgpr49
	v_cmpx_lt_i32_e64 v13, v6
	s_cbranch_execz .LBB47_3241
; %bb.3016:                             ;   in Loop: Header=BB47_17 Depth=1
	s_waitcnt vmcnt(0) lgkmcnt(0)
	v_add_nc_u32_e32 v15, s11, v13
	s_mov_b32 s53, 0
	s_mov_b32 s52, exec_lo
                                        ; implicit-def: $sgpr48
                                        ; implicit-def: $sgpr49
                                        ; implicit-def: $vgpr16
	s_delay_alu instid0(VALU_DEP_1) | instskip(NEXT) | instid1(VALU_DEP_1)
	v_mul_lo_u32 v0, v15, v9
	v_add_co_u32 v0, vcc_lo, v2, v0
	v_add_co_ci_u32_e32 v1, vcc_lo, 0, v3, vcc_lo
	v_cmpx_lt_i16_e32 10, v7
	s_xor_b32 s52, exec_lo, s52
	s_cbranch_execnz .LBB47_3135
; %bb.3017:                             ;   in Loop: Header=BB47_17 Depth=1
	s_and_not1_saveexec_b32 s52, s52
	s_cbranch_execnz .LBB47_3194
.LBB47_3018:                            ;   in Loop: Header=BB47_17 Depth=1
	s_or_b32 exec_lo, exec_lo, s52
	s_mov_b32 vcc_lo, 0
	s_and_saveexec_b32 s52, s53
	s_cbranch_execnz .LBB47_3235
	s_branch .LBB47_3240
.LBB47_3019:                            ;   in Loop: Header=BB47_17 Depth=1
	s_mov_b32 s43, -1
	s_mov_b32 s46, exec_lo
                                        ; implicit-def: $sgpr44
	v_cmpx_eq_u16_e32 0x80, v0
; %bb.3020:                             ;   in Loop: Header=BB47_17 Depth=1
	s_mov_b32 s44, 0x7f800001
	s_xor_b32 s43, exec_lo, -1
; %bb.3021:                             ;   in Loop: Header=BB47_17 Depth=1
	s_or_b32 exec_lo, exec_lo, s46
	s_delay_alu instid0(SALU_CYCLE_1)
	s_and_b32 s43, s43, exec_lo
	s_or_saveexec_b32 s45, s45
	v_mov_b32_e32 v15, s44
	s_xor_b32 exec_lo, exec_lo, s45
	s_cbranch_execz .LBB47_1938
.LBB47_3022:                            ;   in Loop: Header=BB47_17 Depth=1
	v_cmp_ne_u16_e32 vcc_lo, 0, v0
	v_mov_b32_e32 v15, 0
	s_and_not1_b32 s43, s43, exec_lo
	s_and_b32 vcc_lo, vcc_lo, exec_lo
	s_delay_alu instid0(SALU_CYCLE_1)
	s_or_b32 s43, s43, vcc_lo
	s_or_b32 exec_lo, exec_lo, s45
	s_and_saveexec_b32 s44, s43
	s_cbranch_execnz .LBB47_1939
	s_branch .LBB47_1940
.LBB47_3023:                            ;   in Loop: Header=BB47_17 Depth=1
	s_mov_b32 s43, -1
	s_mov_b32 s46, exec_lo
                                        ; implicit-def: $sgpr44
	v_cmpx_eq_u16_e32 0x80, v0
; %bb.3024:                             ;   in Loop: Header=BB47_17 Depth=1
	s_mov_b32 s44, 0x7f800001
	s_xor_b32 s43, exec_lo, -1
; %bb.3025:                             ;   in Loop: Header=BB47_17 Depth=1
	s_or_b32 exec_lo, exec_lo, s46
	s_delay_alu instid0(SALU_CYCLE_1)
	s_and_b32 s43, s43, exec_lo
	s_or_saveexec_b32 s45, s45
	v_mov_b32_e32 v16, s44
	s_xor_b32 exec_lo, exec_lo, s45
	s_cbranch_execz .LBB47_2038
.LBB47_3026:                            ;   in Loop: Header=BB47_17 Depth=1
	v_cmp_ne_u16_e32 vcc_lo, 0, v0
	v_mov_b32_e32 v16, 0
	s_and_not1_b32 s43, s43, exec_lo
	s_and_b32 vcc_lo, vcc_lo, exec_lo
	s_delay_alu instid0(SALU_CYCLE_1)
	s_or_b32 s43, s43, vcc_lo
	s_or_b32 exec_lo, exec_lo, s45
	s_and_saveexec_b32 s44, s43
	s_cbranch_execnz .LBB47_2039
	s_branch .LBB47_2040
.LBB47_3027:                            ;   in Loop: Header=BB47_17 Depth=1
	s_mov_b32 s45, -1
	s_mov_b32 s48, exec_lo
                                        ; implicit-def: $sgpr46
	v_cmpx_eq_u16_e32 0x80, v0
; %bb.3028:                             ;   in Loop: Header=BB47_17 Depth=1
	s_mov_b32 s46, 0x7f800001
	s_xor_b32 s45, exec_lo, -1
; %bb.3029:                             ;   in Loop: Header=BB47_17 Depth=1
	s_or_b32 exec_lo, exec_lo, s48
	s_delay_alu instid0(SALU_CYCLE_1)
	s_and_b32 s45, s45, exec_lo
	s_or_saveexec_b32 s47, s47
	v_mov_b32_e32 v15, s46
	s_xor_b32 exec_lo, exec_lo, s47
	s_cbranch_execz .LBB47_2154
.LBB47_3030:                            ;   in Loop: Header=BB47_17 Depth=1
	v_cmp_ne_u16_e32 vcc_lo, 0, v0
	v_mov_b32_e32 v15, 0
	s_and_not1_b32 s45, s45, exec_lo
	s_and_b32 vcc_lo, vcc_lo, exec_lo
	s_delay_alu instid0(SALU_CYCLE_1)
	s_or_b32 s45, s45, vcc_lo
	s_or_b32 exec_lo, exec_lo, s47
	s_and_saveexec_b32 s46, s45
	s_cbranch_execnz .LBB47_2155
	s_branch .LBB47_2156
.LBB47_3031:                            ;   in Loop: Header=BB47_17 Depth=1
	s_mov_b32 s45, -1
	s_mov_b32 s48, exec_lo
                                        ; implicit-def: $sgpr46
	v_cmpx_eq_u16_e32 0x80, v0
; %bb.3032:                             ;   in Loop: Header=BB47_17 Depth=1
	s_mov_b32 s46, 0x7f800001
	s_xor_b32 s45, exec_lo, -1
; %bb.3033:                             ;   in Loop: Header=BB47_17 Depth=1
	s_or_b32 exec_lo, exec_lo, s48
	s_delay_alu instid0(SALU_CYCLE_1)
	s_and_b32 s45, s45, exec_lo
	s_or_saveexec_b32 s47, s47
	v_mov_b32_e32 v16, s46
	s_xor_b32 exec_lo, exec_lo, s47
	s_cbranch_execz .LBB47_2254
.LBB47_3034:                            ;   in Loop: Header=BB47_17 Depth=1
	v_cmp_ne_u16_e32 vcc_lo, 0, v0
	v_mov_b32_e32 v16, 0
	s_and_not1_b32 s45, s45, exec_lo
	s_and_b32 vcc_lo, vcc_lo, exec_lo
	s_delay_alu instid0(SALU_CYCLE_1)
	s_or_b32 s45, s45, vcc_lo
	s_or_b32 exec_lo, exec_lo, s47
	s_and_saveexec_b32 s46, s45
	s_cbranch_execnz .LBB47_2255
	s_branch .LBB47_2256
.LBB47_3035:                            ;   in Loop: Header=BB47_17 Depth=1
	s_mov_b32 s51, exec_lo
                                        ; implicit-def: $sgpr54
                                        ; implicit-def: $sgpr52
                                        ; implicit-def: $vgpr15
	v_cmpx_lt_i16_e32 25, v16
	s_xor_b32 s51, exec_lo, s51
	s_cbranch_execz .LBB47_3067
; %bb.3036:                             ;   in Loop: Header=BB47_17 Depth=1
	s_mov_b32 s52, exec_lo
                                        ; implicit-def: $sgpr54
                                        ; implicit-def: $sgpr55
                                        ; implicit-def: $vgpr15
	v_cmpx_lt_i16_e32 28, v16
	s_xor_b32 s52, exec_lo, s52
	s_cbranch_execz .LBB47_3052
; %bb.3037:                             ;   in Loop: Header=BB47_17 Depth=1
	s_mov_b32 s56, 0
	s_mov_b32 s53, exec_lo
                                        ; implicit-def: $sgpr54
                                        ; implicit-def: $sgpr55
                                        ; implicit-def: $vgpr15
	v_cmpx_lt_i16_e32 43, v16
	s_xor_b32 s53, exec_lo, s53
	s_cbranch_execz .LBB47_3047
; %bb.3038:                             ;   in Loop: Header=BB47_17 Depth=1
	s_mov_b32 s57, exec_lo
                                        ; implicit-def: $sgpr55
                                        ; implicit-def: $sgpr54
                                        ; implicit-def: $vgpr15
	v_cmpx_lt_i16_e32 45, v16
	s_xor_b32 s57, exec_lo, s57
	s_cbranch_execz .LBB47_3042
; %bb.3039:                             ;   in Loop: Header=BB47_17 Depth=1
	s_mov_b32 s54, 0
	s_mov_b32 s55, exec_lo
                                        ; implicit-def: $vgpr15
	v_cmpx_eq_u16_e32 46, v16
	s_cbranch_execz .LBB47_3041
; %bb.3040:                             ;   in Loop: Header=BB47_17 Depth=1
	flat_load_b32 v0, v[0:1]
	s_mov_b32 s56, exec_lo
	s_waitcnt vmcnt(0) lgkmcnt(0)
	v_lshlrev_b32_e32 v15, 16, v0
.LBB47_3041:                            ;   in Loop: Header=BB47_17 Depth=1
	s_or_b32 exec_lo, exec_lo, s55
	s_mov_b32 s55, -1
	s_and_b32 s56, s56, exec_lo
                                        ; implicit-def: $vgpr16
                                        ; implicit-def: $vgpr0_vgpr1
.LBB47_3042:                            ;   in Loop: Header=BB47_17 Depth=1
	s_and_not1_saveexec_b32 s57, s57
	s_cbranch_execz .LBB47_3046
; %bb.3043:                             ;   in Loop: Header=BB47_17 Depth=1
	s_mov_b32 s59, s56
	s_mov_b32 s58, exec_lo
                                        ; implicit-def: $vgpr15
	v_cmpx_eq_u16_e32 44, v16
	s_cbranch_execz .LBB47_3045
; %bb.3044:                             ;   in Loop: Header=BB47_17 Depth=1
	flat_load_u8 v0, v[0:1]
	s_or_b32 s59, s56, exec_lo
	s_waitcnt vmcnt(0) lgkmcnt(0)
	v_lshlrev_b32_e32 v1, 23, v0
	v_cmp_ne_u32_e32 vcc_lo, 0xff, v0
	s_delay_alu instid0(VALU_DEP_2) | instskip(SKIP_1) | instid1(VALU_DEP_2)
	v_cndmask_b32_e32 v1, 0x7f800001, v1, vcc_lo
	v_cmp_ne_u32_e32 vcc_lo, 0, v0
	v_cndmask_b32_e32 v15, 0x400000, v1, vcc_lo
.LBB47_3045:                            ;   in Loop: Header=BB47_17 Depth=1
	s_or_b32 exec_lo, exec_lo, s58
	s_delay_alu instid0(SALU_CYCLE_1)
	s_and_not1_b32 vcc_lo, s56, exec_lo
	s_and_b32 s56, s59, exec_lo
	s_or_b32 s55, s55, exec_lo
	s_and_not1_b32 s54, s54, exec_lo
	s_or_b32 s56, vcc_lo, s56
.LBB47_3046:                            ;   in Loop: Header=BB47_17 Depth=1
	s_or_b32 exec_lo, exec_lo, s57
	s_delay_alu instid0(SALU_CYCLE_1)
	s_and_b32 s55, s55, exec_lo
	s_and_b32 s54, s54, exec_lo
	;; [unrolled: 1-line block ×3, first 2 shown]
                                        ; implicit-def: $vgpr16
                                        ; implicit-def: $vgpr0_vgpr1
.LBB47_3047:                            ;   in Loop: Header=BB47_17 Depth=1
	s_and_not1_saveexec_b32 s53, s53
	s_cbranch_execz .LBB47_3051
; %bb.3048:                             ;   in Loop: Header=BB47_17 Depth=1
	s_mov_b32 s58, s56
	s_mov_b32 s57, exec_lo
                                        ; implicit-def: $vgpr15
	v_cmpx_eq_u16_e32 29, v16
	s_cbranch_execz .LBB47_3050
; %bb.3049:                             ;   in Loop: Header=BB47_17 Depth=1
	flat_load_b64 v[0:1], v[0:1]
	s_or_b32 s58, s56, exec_lo
	s_waitcnt vmcnt(0) lgkmcnt(0)
	v_clz_i32_u32_e32 v15, v1
	s_delay_alu instid0(VALU_DEP_1) | instskip(NEXT) | instid1(VALU_DEP_1)
	v_min_u32_e32 v15, 32, v15
	v_lshlrev_b64 v[0:1], v15, v[0:1]
	s_delay_alu instid0(VALU_DEP_1) | instskip(NEXT) | instid1(VALU_DEP_1)
	v_min_u32_e32 v0, 1, v0
	v_or_b32_e32 v0, v1, v0
	v_sub_nc_u32_e32 v1, 32, v15
	s_delay_alu instid0(VALU_DEP_2) | instskip(NEXT) | instid1(VALU_DEP_1)
	v_cvt_f32_u32_e32 v0, v0
	v_ldexp_f32 v15, v0, v1
.LBB47_3050:                            ;   in Loop: Header=BB47_17 Depth=1
	s_or_b32 exec_lo, exec_lo, s57
	s_delay_alu instid0(SALU_CYCLE_1)
	s_and_not1_b32 vcc_lo, s56, exec_lo
	s_and_b32 s56, s58, exec_lo
	s_or_b32 s55, s55, exec_lo
	s_and_not1_b32 s54, s54, exec_lo
	s_or_b32 s56, vcc_lo, s56
.LBB47_3051:                            ;   in Loop: Header=BB47_17 Depth=1
	s_or_b32 exec_lo, exec_lo, s53
	s_delay_alu instid0(SALU_CYCLE_1)
	s_and_b32 s55, s55, exec_lo
	s_and_b32 s54, s54, exec_lo
	;; [unrolled: 1-line block ×3, first 2 shown]
                                        ; implicit-def: $vgpr16
                                        ; implicit-def: $vgpr0_vgpr1
.LBB47_3052:                            ;   in Loop: Header=BB47_17 Depth=1
	s_and_not1_saveexec_b32 s52, s52
	s_cbranch_execz .LBB47_3066
; %bb.3053:                             ;   in Loop: Header=BB47_17 Depth=1
	s_mov_b32 s56, exec_lo
                                        ; implicit-def: $vgpr15
	v_cmpx_lt_i16_e32 26, v16
	s_xor_b32 s56, exec_lo, s56
	s_cbranch_execz .LBB47_3059
; %bb.3054:                             ;   in Loop: Header=BB47_17 Depth=1
	v_cmp_lt_i16_e32 vcc_lo, 27, v16
                                        ; implicit-def: $vgpr15
	s_and_saveexec_b32 s57, vcc_lo
	s_delay_alu instid0(SALU_CYCLE_1)
	s_xor_b32 vcc_lo, exec_lo, s57
	s_cbranch_execz .LBB47_3056
; %bb.3055:                             ;   in Loop: Header=BB47_17 Depth=1
	flat_load_b32 v0, v[0:1]
	s_waitcnt vmcnt(0) lgkmcnt(0)
	v_cvt_f32_u32_e32 v15, v0
                                        ; implicit-def: $vgpr0_vgpr1
.LBB47_3056:                            ;   in Loop: Header=BB47_17 Depth=1
	s_and_not1_saveexec_b32 vcc_lo, vcc_lo
	s_cbranch_execz .LBB47_3058
; %bb.3057:                             ;   in Loop: Header=BB47_17 Depth=1
	flat_load_u16 v0, v[0:1]
	s_waitcnt vmcnt(0) lgkmcnt(0)
	v_cvt_f32_u32_e32 v15, v0
.LBB47_3058:                            ;   in Loop: Header=BB47_17 Depth=1
	s_or_b32 exec_lo, exec_lo, vcc_lo
                                        ; implicit-def: $vgpr0_vgpr1
.LBB47_3059:                            ;   in Loop: Header=BB47_17 Depth=1
	s_and_not1_saveexec_b32 s56, s56
	s_cbranch_execz .LBB47_3065
; %bb.3060:                             ;   in Loop: Header=BB47_17 Depth=1
	flat_load_u8 v0, v[0:1]
	s_mov_b32 s57, 0
	s_mov_b32 s59, exec_lo
                                        ; implicit-def: $sgpr58
	s_waitcnt vmcnt(0) lgkmcnt(0)
	v_cmpx_lt_i16_e32 0x7f, v0
	s_xor_b32 s59, exec_lo, s59
	s_cbranch_execnz .LBB47_3610
; %bb.3061:                             ;   in Loop: Header=BB47_17 Depth=1
	s_or_saveexec_b32 s59, s59
	v_mov_b32_e32 v15, s58
	s_xor_b32 exec_lo, exec_lo, s59
	s_cbranch_execnz .LBB47_3613
.LBB47_3062:                            ;   in Loop: Header=BB47_17 Depth=1
	s_or_b32 exec_lo, exec_lo, s59
	s_and_saveexec_b32 s58, s57
	s_cbranch_execz .LBB47_3064
.LBB47_3063:                            ;   in Loop: Header=BB47_17 Depth=1
	v_and_b32_e32 v1, 0xffff, v0
	s_delay_alu instid0(VALU_DEP_1) | instskip(NEXT) | instid1(VALU_DEP_1)
	v_and_b32_e32 v15, 7, v1
	v_clz_i32_u32_e32 v16, v15
	s_delay_alu instid0(VALU_DEP_1) | instskip(NEXT) | instid1(VALU_DEP_1)
	v_min_u32_e32 v16, 32, v16
	v_subrev_nc_u32_e32 v17, 28, v16
	v_sub_nc_u32_e32 v16, 29, v16
	s_delay_alu instid0(VALU_DEP_2) | instskip(SKIP_1) | instid1(VALU_DEP_2)
	v_lshlrev_b32_e32 v17, v17, v1
	v_bfe_u32 v1, v1, 3, 4
	v_and_b32_e32 v17, 7, v17
	s_delay_alu instid0(VALU_DEP_2) | instskip(NEXT) | instid1(VALU_DEP_2)
	v_cmp_eq_u32_e32 vcc_lo, 0, v1
	v_dual_cndmask_b32 v15, v15, v17 :: v_dual_lshlrev_b32 v0, 24, v0
	v_cndmask_b32_e32 v1, v1, v16, vcc_lo
	s_delay_alu instid0(VALU_DEP_2) | instskip(NEXT) | instid1(VALU_DEP_3)
	v_and_b32_e32 v0, 0x80000000, v0
	v_lshlrev_b32_e32 v15, 20, v15
	s_delay_alu instid0(VALU_DEP_3) | instskip(NEXT) | instid1(VALU_DEP_1)
	v_lshl_add_u32 v1, v1, 23, 0x3b800000
	v_or3_b32 v15, v0, v1, v15
.LBB47_3064:                            ;   in Loop: Header=BB47_17 Depth=1
	s_or_b32 exec_lo, exec_lo, s58
.LBB47_3065:                            ;   in Loop: Header=BB47_17 Depth=1
	s_delay_alu instid0(SALU_CYCLE_1) | instskip(NEXT) | instid1(SALU_CYCLE_1)
	s_or_b32 exec_lo, exec_lo, s56
	s_and_not1_b32 s55, s55, exec_lo
	s_and_not1_b32 s54, s54, exec_lo
	s_or_b32 s53, s53, exec_lo
.LBB47_3066:                            ;   in Loop: Header=BB47_17 Depth=1
	s_or_b32 exec_lo, exec_lo, s52
	s_delay_alu instid0(SALU_CYCLE_1)
	s_and_b32 s52, s55, exec_lo
	s_and_b32 s54, s54, exec_lo
	;; [unrolled: 1-line block ×3, first 2 shown]
                                        ; implicit-def: $vgpr16
                                        ; implicit-def: $vgpr0_vgpr1
.LBB47_3067:                            ;   in Loop: Header=BB47_17 Depth=1
	s_and_not1_saveexec_b32 s51, s51
	s_cbranch_execz .LBB47_3093
; %bb.3068:                             ;   in Loop: Header=BB47_17 Depth=1
	s_mov_b32 s56, s53
	s_mov_b32 s55, exec_lo
                                        ; implicit-def: $vgpr15
	v_cmpx_lt_i16_e32 22, v16
	s_xor_b32 s55, exec_lo, s55
	s_cbranch_execz .LBB47_3082
; %bb.3069:                             ;   in Loop: Header=BB47_17 Depth=1
	s_mov_b32 s56, exec_lo
                                        ; implicit-def: $vgpr15
	v_cmpx_lt_i16_e32 23, v16
	s_xor_b32 s56, exec_lo, s56
	s_cbranch_execz .LBB47_3079
; %bb.3070:                             ;   in Loop: Header=BB47_17 Depth=1
	;; [unrolled: 6-line block ×3, first 2 shown]
	flat_load_u8 v0, v[0:1]
	s_mov_b32 s58, 0
	s_mov_b32 s60, exec_lo
                                        ; implicit-def: $sgpr59
	s_waitcnt vmcnt(0) lgkmcnt(0)
	v_cmpx_lt_i16_e32 0x7f, v0
	s_xor_b32 s60, exec_lo, s60
	s_cbranch_execnz .LBB47_3618
; %bb.3072:                             ;   in Loop: Header=BB47_17 Depth=1
	s_or_saveexec_b32 s60, s60
	v_mov_b32_e32 v15, s59
	s_xor_b32 exec_lo, exec_lo, s60
	s_cbranch_execnz .LBB47_3621
.LBB47_3073:                            ;   in Loop: Header=BB47_17 Depth=1
	s_or_b32 exec_lo, exec_lo, s60
	s_and_saveexec_b32 s59, s58
	s_cbranch_execz .LBB47_3075
.LBB47_3074:                            ;   in Loop: Header=BB47_17 Depth=1
	v_and_b32_e32 v1, 0xffff, v0
	s_delay_alu instid0(VALU_DEP_1) | instskip(NEXT) | instid1(VALU_DEP_1)
	v_and_b32_e32 v15, 3, v1
	v_clz_i32_u32_e32 v16, v15
	s_delay_alu instid0(VALU_DEP_1) | instskip(NEXT) | instid1(VALU_DEP_1)
	v_min_u32_e32 v16, 32, v16
	v_subrev_nc_u32_e32 v17, 29, v16
	v_sub_nc_u32_e32 v16, 30, v16
	s_delay_alu instid0(VALU_DEP_2) | instskip(SKIP_1) | instid1(VALU_DEP_2)
	v_lshlrev_b32_e32 v17, v17, v1
	v_bfe_u32 v1, v1, 2, 5
	v_and_b32_e32 v17, 3, v17
	s_delay_alu instid0(VALU_DEP_2) | instskip(NEXT) | instid1(VALU_DEP_2)
	v_cmp_eq_u32_e32 vcc_lo, 0, v1
	v_dual_cndmask_b32 v15, v15, v17 :: v_dual_lshlrev_b32 v0, 24, v0
	v_cndmask_b32_e32 v1, v1, v16, vcc_lo
	s_delay_alu instid0(VALU_DEP_2) | instskip(NEXT) | instid1(VALU_DEP_3)
	v_and_b32_e32 v0, 0x80000000, v0
	v_lshlrev_b32_e32 v15, 21, v15
	s_delay_alu instid0(VALU_DEP_3) | instskip(NEXT) | instid1(VALU_DEP_1)
	v_lshl_add_u32 v1, v1, 23, 0x37800000
	v_or3_b32 v15, v0, v1, v15
.LBB47_3075:                            ;   in Loop: Header=BB47_17 Depth=1
	s_or_b32 exec_lo, exec_lo, s59
                                        ; implicit-def: $vgpr0_vgpr1
.LBB47_3076:                            ;   in Loop: Header=BB47_17 Depth=1
	s_and_not1_saveexec_b32 s57, s57
	s_cbranch_execz .LBB47_3078
; %bb.3077:                             ;   in Loop: Header=BB47_17 Depth=1
	flat_load_u8 v0, v[0:1]
	s_waitcnt vmcnt(0) lgkmcnt(0)
	v_lshlrev_b32_e32 v0, 24, v0
	s_delay_alu instid0(VALU_DEP_1) | instskip(NEXT) | instid1(VALU_DEP_1)
	v_and_b32_e32 v1, 0x7f000000, v0
	v_clz_i32_u32_e32 v15, v1
	v_add_nc_u32_e32 v17, 0x1000000, v1
	v_cmp_ne_u32_e32 vcc_lo, 0, v1
	s_delay_alu instid0(VALU_DEP_3) | instskip(NEXT) | instid1(VALU_DEP_1)
	v_min_u32_e32 v15, 32, v15
	v_sub_nc_u32_e64 v15, v15, 4 clamp
	s_delay_alu instid0(VALU_DEP_1) | instskip(SKIP_1) | instid1(VALU_DEP_2)
	v_lshlrev_b32_e32 v16, v15, v1
	v_lshlrev_b32_e32 v15, 23, v15
	v_lshrrev_b32_e32 v16, 4, v16
	s_delay_alu instid0(VALU_DEP_1) | instskip(SKIP_1) | instid1(VALU_DEP_2)
	v_sub_nc_u32_e32 v15, v16, v15
	v_ashrrev_i32_e32 v16, 8, v17
	v_add_nc_u32_e32 v15, 0x3c000000, v15
	s_delay_alu instid0(VALU_DEP_1) | instskip(NEXT) | instid1(VALU_DEP_1)
	v_and_or_b32 v15, 0x7f800000, v16, v15
	v_cndmask_b32_e32 v1, 0, v15, vcc_lo
	s_delay_alu instid0(VALU_DEP_1)
	v_and_or_b32 v15, 0x80000000, v0, v1
.LBB47_3078:                            ;   in Loop: Header=BB47_17 Depth=1
	s_or_b32 exec_lo, exec_lo, s57
                                        ; implicit-def: $vgpr0_vgpr1
.LBB47_3079:                            ;   in Loop: Header=BB47_17 Depth=1
	s_and_not1_saveexec_b32 s56, s56
	s_cbranch_execz .LBB47_3081
; %bb.3080:                             ;   in Loop: Header=BB47_17 Depth=1
	flat_load_u8 v0, v[0:1]
	s_waitcnt vmcnt(0) lgkmcnt(0)
	v_lshlrev_b32_e32 v1, 25, v0
	v_lshlrev_b16 v0, 8, v0
	s_delay_alu instid0(VALU_DEP_2) | instskip(NEXT) | instid1(VALU_DEP_2)
	v_lshrrev_b32_e32 v15, 4, v1
	v_and_or_b32 v16, 0x7f00, v0, 0.5
	v_cmp_gt_u32_e32 vcc_lo, 0x8000000, v1
	v_bfe_i32 v0, v0, 0, 16
	s_delay_alu instid0(VALU_DEP_4) | instskip(NEXT) | instid1(VALU_DEP_1)
	v_or_b32_e32 v15, 0x70000000, v15
	v_dual_add_f32 v16, -0.5, v16 :: v_dual_mul_f32 v15, 0x7800000, v15
	s_delay_alu instid0(VALU_DEP_1) | instskip(NEXT) | instid1(VALU_DEP_1)
	v_cndmask_b32_e32 v1, v15, v16, vcc_lo
	v_and_or_b32 v15, 0x80000000, v0, v1
.LBB47_3081:                            ;   in Loop: Header=BB47_17 Depth=1
	s_or_b32 exec_lo, exec_lo, s56
	s_delay_alu instid0(SALU_CYCLE_1)
	s_or_b32 s56, s53, exec_lo
                                        ; implicit-def: $vgpr16
                                        ; implicit-def: $vgpr0_vgpr1
.LBB47_3082:                            ;   in Loop: Header=BB47_17 Depth=1
	s_or_saveexec_b32 s55, s55
                                        ; implicit-def: $sgpr57
                                        ; implicit-def: $vcc_lo
	s_delay_alu instid0(SALU_CYCLE_1)
	s_xor_b32 exec_lo, exec_lo, s55
	s_cbranch_execz .LBB47_3092
; %bb.3083:                             ;   in Loop: Header=BB47_17 Depth=1
	s_mov_b32 s58, s56
	s_mov_b32 s60, exec_lo
                                        ; implicit-def: $sgpr59
                                        ; implicit-def: $sgpr57
                                        ; implicit-def: $vgpr15
	v_cmpx_lt_i16_e32 14, v16
	s_xor_b32 s60, exec_lo, s60
	s_cbranch_execz .LBB47_3087
; %bb.3084:                             ;   in Loop: Header=BB47_17 Depth=1
	s_mov_b32 s58, s56
	s_mov_b32 s57, exec_lo
                                        ; implicit-def: $vgpr15
	v_cmpx_eq_u16_e32 15, v16
	s_cbranch_execz .LBB47_3086
; %bb.3085:                             ;   in Loop: Header=BB47_17 Depth=1
	flat_load_u16 v0, v[0:1]
	s_or_b32 s58, s56, exec_lo
	s_waitcnt vmcnt(0) lgkmcnt(0)
	v_lshlrev_b32_e32 v15, 16, v0
.LBB47_3086:                            ;   in Loop: Header=BB47_17 Depth=1
	s_or_b32 exec_lo, exec_lo, s57
	s_delay_alu instid0(SALU_CYCLE_1)
	s_and_not1_b32 vcc_lo, s56, exec_lo
	s_and_b32 s58, s58, exec_lo
	s_mov_b32 s57, 0
	s_mov_b32 s59, -1
	s_or_b32 s58, vcc_lo, s58
                                        ; implicit-def: $vgpr16
                                        ; implicit-def: $vgpr0_vgpr1
.LBB47_3087:                            ;   in Loop: Header=BB47_17 Depth=1
	s_and_not1_saveexec_b32 s60, s60
	s_cbranch_execz .LBB47_3091
; %bb.3088:                             ;   in Loop: Header=BB47_17 Depth=1
	s_mov_b32 s61, s58
	s_mov_b32 s62, exec_lo
                                        ; implicit-def: $vgpr15
	v_cmpx_eq_u16_e32 11, v16
	s_cbranch_execz .LBB47_3090
; %bb.3089:                             ;   in Loop: Header=BB47_17 Depth=1
	flat_load_u8 v0, v[0:1]
	s_or_b32 s61, s58, exec_lo
	s_waitcnt vmcnt(0) lgkmcnt(0)
	v_cmp_ne_u16_e32 vcc_lo, 0, v0
	v_cndmask_b32_e64 v15, 0, 1.0, vcc_lo
.LBB47_3090:                            ;   in Loop: Header=BB47_17 Depth=1
	s_or_b32 exec_lo, exec_lo, s62
	s_delay_alu instid0(SALU_CYCLE_1)
	s_and_not1_b32 vcc_lo, s58, exec_lo
	s_and_b32 s58, s61, exec_lo
	s_or_b32 s59, s59, exec_lo
	s_and_not1_b32 s57, s57, exec_lo
	s_or_b32 s58, vcc_lo, s58
.LBB47_3091:                            ;   in Loop: Header=BB47_17 Depth=1
	s_or_b32 exec_lo, exec_lo, s60
	s_delay_alu instid0(SALU_CYCLE_1)
	s_and_not1_b32 s56, s56, exec_lo
	s_and_b32 s58, s58, exec_lo
	s_and_b32 vcc_lo, s59, exec_lo
	s_and_b32 s57, s57, exec_lo
	s_or_b32 s56, s56, s58
.LBB47_3092:                            ;   in Loop: Header=BB47_17 Depth=1
	s_or_b32 exec_lo, exec_lo, s55
	s_delay_alu instid0(SALU_CYCLE_1)
	s_and_not1_b32 s52, s52, exec_lo
	s_and_b32 vcc_lo, vcc_lo, exec_lo
	s_and_not1_b32 s53, s53, exec_lo
	s_or_b32 s52, s52, vcc_lo
	s_and_not1_b32 vcc_lo, s54, exec_lo
	s_and_b32 s54, s57, exec_lo
	s_and_b32 s55, s56, exec_lo
	s_or_b32 s54, vcc_lo, s54
	s_or_b32 s53, s53, s55
.LBB47_3093:                            ;   in Loop: Header=BB47_17 Depth=1
	s_or_b32 exec_lo, exec_lo, s51
	s_delay_alu instid0(SALU_CYCLE_1)
	s_and_b32 s52, s52, exec_lo
	s_and_b32 s51, s54, exec_lo
	;; [unrolled: 1-line block ×3, first 2 shown]
                                        ; implicit-def: $vgpr16
                                        ; implicit-def: $vgpr0_vgpr1
	s_and_not1_saveexec_b32 s50, s50
	s_cbranch_execz .LBB47_3010
.LBB47_3094:                            ;   in Loop: Header=BB47_17 Depth=1
	s_mov_b32 s54, exec_lo
                                        ; implicit-def: $vgpr15
	v_cmpx_lt_i16_e32 4, v16
	s_xor_b32 s54, exec_lo, s54
	s_cbranch_execz .LBB47_3116
; %bb.3095:                             ;   in Loop: Header=BB47_17 Depth=1
	s_mov_b32 s55, exec_lo
                                        ; implicit-def: $vgpr15
	v_cmpx_lt_i16_e32 7, v16
	s_xor_b32 s55, exec_lo, s55
	s_cbranch_execz .LBB47_3105
; %bb.3096:                             ;   in Loop: Header=BB47_17 Depth=1
	;; [unrolled: 6-line block ×3, first 2 shown]
	v_cmp_lt_i16_e32 vcc_lo, 9, v16
                                        ; implicit-def: $vgpr15
	s_and_saveexec_b32 s57, vcc_lo
	s_delay_alu instid0(SALU_CYCLE_1)
	s_xor_b32 vcc_lo, exec_lo, s57
	s_cbranch_execz .LBB47_3099
; %bb.3098:                             ;   in Loop: Header=BB47_17 Depth=1
	flat_load_b64 v[0:1], v[0:1]
	s_waitcnt vmcnt(0) lgkmcnt(0)
	v_cvt_f32_f64_e32 v15, v[0:1]
                                        ; implicit-def: $vgpr0_vgpr1
.LBB47_3099:                            ;   in Loop: Header=BB47_17 Depth=1
	s_and_not1_saveexec_b32 vcc_lo, vcc_lo
	s_cbranch_execz .LBB47_3101
; %bb.3100:                             ;   in Loop: Header=BB47_17 Depth=1
	flat_load_b32 v15, v[0:1]
.LBB47_3101:                            ;   in Loop: Header=BB47_17 Depth=1
	s_or_b32 exec_lo, exec_lo, vcc_lo
                                        ; implicit-def: $vgpr0_vgpr1
.LBB47_3102:                            ;   in Loop: Header=BB47_17 Depth=1
	s_and_not1_saveexec_b32 vcc_lo, s56
	s_cbranch_execz .LBB47_3104
; %bb.3103:                             ;   in Loop: Header=BB47_17 Depth=1
	flat_load_b32 v0, v[0:1]
	s_waitcnt vmcnt(0) lgkmcnt(0)
	v_cvt_f32_f16_e32 v15, v0
.LBB47_3104:                            ;   in Loop: Header=BB47_17 Depth=1
	s_or_b32 exec_lo, exec_lo, vcc_lo
                                        ; implicit-def: $vgpr0_vgpr1
                                        ; implicit-def: $vgpr16
.LBB47_3105:                            ;   in Loop: Header=BB47_17 Depth=1
	s_and_not1_saveexec_b32 s55, s55
	s_cbranch_execz .LBB47_3115
; %bb.3106:                             ;   in Loop: Header=BB47_17 Depth=1
	s_mov_b32 s56, exec_lo
                                        ; implicit-def: $vgpr15
	v_cmpx_lt_i16_e32 5, v16
	s_xor_b32 s56, exec_lo, s56
	s_cbranch_execz .LBB47_3112
; %bb.3107:                             ;   in Loop: Header=BB47_17 Depth=1
	v_cmp_lt_i16_e32 vcc_lo, 6, v16
                                        ; implicit-def: $vgpr15
	s_and_saveexec_b32 s57, vcc_lo
	s_delay_alu instid0(SALU_CYCLE_1)
	s_xor_b32 vcc_lo, exec_lo, s57
	s_cbranch_execz .LBB47_3109
; %bb.3108:                             ;   in Loop: Header=BB47_17 Depth=1
	flat_load_b64 v[0:1], v[0:1]
	s_waitcnt vmcnt(0) lgkmcnt(0)
	v_cvt_f32_f64_e32 v15, v[0:1]
                                        ; implicit-def: $vgpr0_vgpr1
.LBB47_3109:                            ;   in Loop: Header=BB47_17 Depth=1
	s_and_not1_saveexec_b32 vcc_lo, vcc_lo
	s_cbranch_execz .LBB47_3111
; %bb.3110:                             ;   in Loop: Header=BB47_17 Depth=1
	s_waitcnt vmcnt(0) lgkmcnt(0)
	flat_load_b32 v15, v[0:1]
.LBB47_3111:                            ;   in Loop: Header=BB47_17 Depth=1
	s_or_b32 exec_lo, exec_lo, vcc_lo
                                        ; implicit-def: $vgpr0_vgpr1
.LBB47_3112:                            ;   in Loop: Header=BB47_17 Depth=1
	s_and_not1_saveexec_b32 vcc_lo, s56
	s_cbranch_execz .LBB47_3114
; %bb.3113:                             ;   in Loop: Header=BB47_17 Depth=1
	flat_load_u16 v0, v[0:1]
	s_waitcnt vmcnt(0) lgkmcnt(0)
	v_cvt_f32_f16_e32 v15, v0
.LBB47_3114:                            ;   in Loop: Header=BB47_17 Depth=1
	s_or_b32 exec_lo, exec_lo, vcc_lo
.LBB47_3115:                            ;   in Loop: Header=BB47_17 Depth=1
	s_delay_alu instid0(SALU_CYCLE_1)
	s_or_b32 exec_lo, exec_lo, s55
                                        ; implicit-def: $vgpr16
                                        ; implicit-def: $vgpr0_vgpr1
.LBB47_3116:                            ;   in Loop: Header=BB47_17 Depth=1
	s_and_not1_saveexec_b32 s54, s54
	s_cbranch_execz .LBB47_3134
; %bb.3117:                             ;   in Loop: Header=BB47_17 Depth=1
	s_mov_b32 s55, exec_lo
                                        ; implicit-def: $vgpr15
	v_cmpx_lt_i16_e32 1, v16
	s_xor_b32 s55, exec_lo, s55
	s_cbranch_execz .LBB47_3127
; %bb.3118:                             ;   in Loop: Header=BB47_17 Depth=1
	s_mov_b32 s56, exec_lo
                                        ; implicit-def: $vgpr15
	v_cmpx_lt_i16_e32 2, v16
	s_xor_b32 s56, exec_lo, s56
	s_cbranch_execz .LBB47_3124
; %bb.3119:                             ;   in Loop: Header=BB47_17 Depth=1
	v_cmp_lt_i16_e32 vcc_lo, 3, v16
                                        ; implicit-def: $vgpr15
	s_and_saveexec_b32 s57, vcc_lo
	s_delay_alu instid0(SALU_CYCLE_1)
	s_xor_b32 vcc_lo, exec_lo, s57
	s_cbranch_execz .LBB47_3121
; %bb.3120:                             ;   in Loop: Header=BB47_17 Depth=1
	flat_load_b64 v[0:1], v[0:1]
	s_waitcnt vmcnt(0) lgkmcnt(0)
	v_xor_b32_e32 v15, v0, v1
	v_cls_i32_e32 v16, v1
	s_delay_alu instid0(VALU_DEP_2) | instskip(NEXT) | instid1(VALU_DEP_2)
	v_ashrrev_i32_e32 v15, 31, v15
	v_add_nc_u32_e32 v16, -1, v16
	s_delay_alu instid0(VALU_DEP_2) | instskip(NEXT) | instid1(VALU_DEP_1)
	v_add_nc_u32_e32 v15, 32, v15
	v_min_u32_e32 v15, v16, v15
	s_delay_alu instid0(VALU_DEP_1) | instskip(NEXT) | instid1(VALU_DEP_1)
	v_lshlrev_b64 v[0:1], v15, v[0:1]
	v_min_u32_e32 v0, 1, v0
	s_delay_alu instid0(VALU_DEP_1) | instskip(SKIP_1) | instid1(VALU_DEP_2)
	v_or_b32_e32 v0, v1, v0
	v_sub_nc_u32_e32 v1, 32, v15
	v_cvt_f32_i32_e32 v0, v0
	s_delay_alu instid0(VALU_DEP_1)
	v_ldexp_f32 v15, v0, v1
                                        ; implicit-def: $vgpr0_vgpr1
.LBB47_3121:                            ;   in Loop: Header=BB47_17 Depth=1
	s_and_not1_saveexec_b32 vcc_lo, vcc_lo
	s_cbranch_execz .LBB47_3123
; %bb.3122:                             ;   in Loop: Header=BB47_17 Depth=1
	flat_load_b32 v0, v[0:1]
	s_waitcnt vmcnt(0) lgkmcnt(0)
	v_cvt_f32_i32_e32 v15, v0
.LBB47_3123:                            ;   in Loop: Header=BB47_17 Depth=1
	s_or_b32 exec_lo, exec_lo, vcc_lo
                                        ; implicit-def: $vgpr0_vgpr1
.LBB47_3124:                            ;   in Loop: Header=BB47_17 Depth=1
	s_and_not1_saveexec_b32 vcc_lo, s56
	s_cbranch_execz .LBB47_3126
; %bb.3125:                             ;   in Loop: Header=BB47_17 Depth=1
	flat_load_i16 v0, v[0:1]
	s_waitcnt vmcnt(0) lgkmcnt(0)
	v_cvt_f32_i32_e32 v15, v0
.LBB47_3126:                            ;   in Loop: Header=BB47_17 Depth=1
	s_or_b32 exec_lo, exec_lo, vcc_lo
                                        ; implicit-def: $vgpr0_vgpr1
                                        ; implicit-def: $vgpr16
.LBB47_3127:                            ;   in Loop: Header=BB47_17 Depth=1
	s_and_not1_saveexec_b32 s55, s55
	s_cbranch_execz .LBB47_3133
; %bb.3128:                             ;   in Loop: Header=BB47_17 Depth=1
	v_cmp_lt_i16_e32 vcc_lo, 0, v16
                                        ; implicit-def: $vgpr15
	s_and_saveexec_b32 s56, vcc_lo
	s_delay_alu instid0(SALU_CYCLE_1)
	s_xor_b32 vcc_lo, exec_lo, s56
	s_cbranch_execz .LBB47_3130
; %bb.3129:                             ;   in Loop: Header=BB47_17 Depth=1
	flat_load_i8 v0, v[0:1]
	s_waitcnt vmcnt(0) lgkmcnt(0)
	v_cvt_f32_i32_e32 v15, v0
                                        ; implicit-def: $vgpr0_vgpr1
.LBB47_3130:                            ;   in Loop: Header=BB47_17 Depth=1
	s_and_not1_saveexec_b32 vcc_lo, vcc_lo
	s_cbranch_execz .LBB47_3132
; %bb.3131:                             ;   in Loop: Header=BB47_17 Depth=1
	flat_load_u8 v0, v[0:1]
	s_waitcnt vmcnt(0) lgkmcnt(0)
	v_cvt_f32_ubyte0_e32 v15, v0
.LBB47_3132:                            ;   in Loop: Header=BB47_17 Depth=1
	s_or_b32 exec_lo, exec_lo, vcc_lo
.LBB47_3133:                            ;   in Loop: Header=BB47_17 Depth=1
	s_delay_alu instid0(SALU_CYCLE_1)
	s_or_b32 exec_lo, exec_lo, s55
.LBB47_3134:                            ;   in Loop: Header=BB47_17 Depth=1
	s_delay_alu instid0(SALU_CYCLE_1) | instskip(NEXT) | instid1(SALU_CYCLE_1)
	s_or_b32 exec_lo, exec_lo, s54
	s_and_not1_b32 s52, s52, exec_lo
	s_and_not1_b32 s51, s51, exec_lo
	s_or_b32 s53, s53, exec_lo
	s_or_b32 exec_lo, exec_lo, s50
	s_mov_b32 vcc_lo, 0
	s_and_saveexec_b32 s50, s53
	s_cbranch_execnz .LBB47_3011
	s_branch .LBB47_3012
.LBB47_3135:                            ;   in Loop: Header=BB47_17 Depth=1
	s_mov_b32 s48, exec_lo
                                        ; implicit-def: $sgpr54
                                        ; implicit-def: $sgpr49
                                        ; implicit-def: $vgpr16
	v_cmpx_lt_i16_e32 25, v7
	s_xor_b32 s48, exec_lo, s48
	s_cbranch_execz .LBB47_3167
; %bb.3136:                             ;   in Loop: Header=BB47_17 Depth=1
	s_mov_b32 s49, exec_lo
                                        ; implicit-def: $sgpr54
                                        ; implicit-def: $sgpr55
                                        ; implicit-def: $vgpr16
	v_cmpx_lt_i16_e32 28, v7
	s_xor_b32 s49, exec_lo, s49
	s_cbranch_execz .LBB47_3152
; %bb.3137:                             ;   in Loop: Header=BB47_17 Depth=1
	s_mov_b32 s56, 0
	s_mov_b32 s53, exec_lo
                                        ; implicit-def: $sgpr54
                                        ; implicit-def: $sgpr55
                                        ; implicit-def: $vgpr16
	v_cmpx_lt_i16_e32 43, v7
	s_xor_b32 s53, exec_lo, s53
	s_cbranch_execz .LBB47_3147
; %bb.3138:                             ;   in Loop: Header=BB47_17 Depth=1
	s_mov_b32 s55, exec_lo
                                        ; implicit-def: $sgpr54
                                        ; implicit-def: $sgpr57
                                        ; implicit-def: $vgpr16
	v_cmpx_lt_i16_e32 45, v7
	s_xor_b32 s55, exec_lo, s55
	s_cbranch_execz .LBB47_3142
; %bb.3139:                             ;   in Loop: Header=BB47_17 Depth=1
	s_mov_b32 s54, 0
	s_mov_b32 s57, exec_lo
                                        ; implicit-def: $vgpr16
	v_cmpx_eq_u16_e32 46, v7
	s_cbranch_execz .LBB47_3141
; %bb.3140:                             ;   in Loop: Header=BB47_17 Depth=1
	flat_load_b32 v0, v[0:1]
	s_mov_b32 s56, exec_lo
	s_waitcnt vmcnt(0) lgkmcnt(0)
	v_lshlrev_b32_e32 v16, 16, v0
.LBB47_3141:                            ;   in Loop: Header=BB47_17 Depth=1
	s_or_b32 exec_lo, exec_lo, s57
	s_mov_b32 s57, -1
	s_and_b32 s56, s56, exec_lo
                                        ; implicit-def: $vgpr0_vgpr1
.LBB47_3142:                            ;   in Loop: Header=BB47_17 Depth=1
	s_and_not1_saveexec_b32 s55, s55
	s_cbranch_execz .LBB47_3146
; %bb.3143:                             ;   in Loop: Header=BB47_17 Depth=1
	s_mov_b32 s59, s56
	s_mov_b32 s58, exec_lo
                                        ; implicit-def: $vgpr16
	v_cmpx_eq_u16_e32 44, v7
	s_cbranch_execz .LBB47_3145
; %bb.3144:                             ;   in Loop: Header=BB47_17 Depth=1
	flat_load_u8 v0, v[0:1]
	s_or_b32 s59, s56, exec_lo
	s_waitcnt vmcnt(0) lgkmcnt(0)
	v_lshlrev_b32_e32 v1, 23, v0
	v_cmp_ne_u32_e32 vcc_lo, 0xff, v0
	s_delay_alu instid0(VALU_DEP_2) | instskip(SKIP_1) | instid1(VALU_DEP_2)
	v_cndmask_b32_e32 v1, 0x7f800001, v1, vcc_lo
	v_cmp_ne_u32_e32 vcc_lo, 0, v0
	v_cndmask_b32_e32 v16, 0x400000, v1, vcc_lo
.LBB47_3145:                            ;   in Loop: Header=BB47_17 Depth=1
	s_or_b32 exec_lo, exec_lo, s58
	s_delay_alu instid0(SALU_CYCLE_1)
	s_and_not1_b32 vcc_lo, s56, exec_lo
	s_and_b32 s56, s59, exec_lo
	s_and_not1_b32 s54, s54, exec_lo
	s_or_b32 s57, s57, exec_lo
	s_or_b32 s56, vcc_lo, s56
.LBB47_3146:                            ;   in Loop: Header=BB47_17 Depth=1
	s_or_b32 exec_lo, exec_lo, s55
	s_delay_alu instid0(SALU_CYCLE_1)
	s_and_b32 s55, s54, exec_lo
	s_and_b32 s54, s57, exec_lo
	;; [unrolled: 1-line block ×3, first 2 shown]
                                        ; implicit-def: $vgpr0_vgpr1
.LBB47_3147:                            ;   in Loop: Header=BB47_17 Depth=1
	s_and_not1_saveexec_b32 s53, s53
	s_cbranch_execz .LBB47_3151
; %bb.3148:                             ;   in Loop: Header=BB47_17 Depth=1
	s_mov_b32 s58, s56
	s_mov_b32 s57, exec_lo
                                        ; implicit-def: $vgpr16
	v_cmpx_eq_u16_e32 29, v7
	s_cbranch_execz .LBB47_3150
; %bb.3149:                             ;   in Loop: Header=BB47_17 Depth=1
	flat_load_b64 v[0:1], v[0:1]
	s_or_b32 s58, s56, exec_lo
	s_waitcnt vmcnt(0) lgkmcnt(0)
	v_clz_i32_u32_e32 v14, v1
	s_delay_alu instid0(VALU_DEP_1) | instskip(NEXT) | instid1(VALU_DEP_1)
	v_min_u32_e32 v14, 32, v14
	v_lshlrev_b64 v[0:1], v14, v[0:1]
	s_delay_alu instid0(VALU_DEP_1) | instskip(NEXT) | instid1(VALU_DEP_1)
	v_min_u32_e32 v0, 1, v0
	v_or_b32_e32 v0, v1, v0
	v_sub_nc_u32_e32 v1, 32, v14
	s_delay_alu instid0(VALU_DEP_2) | instskip(NEXT) | instid1(VALU_DEP_1)
	v_cvt_f32_u32_e32 v0, v0
	v_ldexp_f32 v16, v0, v1
.LBB47_3150:                            ;   in Loop: Header=BB47_17 Depth=1
	s_or_b32 exec_lo, exec_lo, s57
	s_delay_alu instid0(SALU_CYCLE_1)
	s_and_not1_b32 vcc_lo, s56, exec_lo
	s_and_b32 s56, s58, exec_lo
	s_and_not1_b32 s55, s55, exec_lo
	s_or_b32 s54, s54, exec_lo
	s_or_b32 s56, vcc_lo, s56
.LBB47_3151:                            ;   in Loop: Header=BB47_17 Depth=1
	s_or_b32 exec_lo, exec_lo, s53
	s_delay_alu instid0(SALU_CYCLE_1)
	s_and_b32 s55, s55, exec_lo
	s_and_b32 s54, s54, exec_lo
	s_and_b32 s53, s56, exec_lo
                                        ; implicit-def: $vgpr0_vgpr1
.LBB47_3152:                            ;   in Loop: Header=BB47_17 Depth=1
	s_and_not1_saveexec_b32 s49, s49
	s_cbranch_execz .LBB47_3166
; %bb.3153:                             ;   in Loop: Header=BB47_17 Depth=1
	s_mov_b32 s56, exec_lo
                                        ; implicit-def: $vgpr16
	v_cmpx_lt_i16_e32 26, v7
	s_xor_b32 s56, exec_lo, s56
	s_cbranch_execz .LBB47_3159
; %bb.3154:                             ;   in Loop: Header=BB47_17 Depth=1
	v_cmp_lt_i16_e32 vcc_lo, 27, v7
                                        ; implicit-def: $vgpr16
	s_and_saveexec_b32 s57, vcc_lo
	s_delay_alu instid0(SALU_CYCLE_1)
	s_xor_b32 vcc_lo, exec_lo, s57
	s_cbranch_execz .LBB47_3156
; %bb.3155:                             ;   in Loop: Header=BB47_17 Depth=1
	flat_load_b32 v0, v[0:1]
	s_waitcnt vmcnt(0) lgkmcnt(0)
	v_cvt_f32_u32_e32 v16, v0
                                        ; implicit-def: $vgpr0_vgpr1
.LBB47_3156:                            ;   in Loop: Header=BB47_17 Depth=1
	s_and_not1_saveexec_b32 vcc_lo, vcc_lo
	s_cbranch_execz .LBB47_3158
; %bb.3157:                             ;   in Loop: Header=BB47_17 Depth=1
	flat_load_u16 v0, v[0:1]
	s_waitcnt vmcnt(0) lgkmcnt(0)
	v_cvt_f32_u32_e32 v16, v0
.LBB47_3158:                            ;   in Loop: Header=BB47_17 Depth=1
	s_or_b32 exec_lo, exec_lo, vcc_lo
                                        ; implicit-def: $vgpr0_vgpr1
.LBB47_3159:                            ;   in Loop: Header=BB47_17 Depth=1
	s_and_not1_saveexec_b32 s56, s56
	s_cbranch_execz .LBB47_3165
; %bb.3160:                             ;   in Loop: Header=BB47_17 Depth=1
	flat_load_u8 v0, v[0:1]
	s_mov_b32 s57, 0
	s_mov_b32 s59, exec_lo
                                        ; implicit-def: $sgpr58
	s_waitcnt vmcnt(0) lgkmcnt(0)
	v_cmpx_lt_i16_e32 0x7f, v0
	s_xor_b32 s59, exec_lo, s59
	s_cbranch_execnz .LBB47_3614
; %bb.3161:                             ;   in Loop: Header=BB47_17 Depth=1
	s_or_saveexec_b32 s59, s59
	v_mov_b32_e32 v16, s58
	s_xor_b32 exec_lo, exec_lo, s59
	s_cbranch_execnz .LBB47_3617
.LBB47_3162:                            ;   in Loop: Header=BB47_17 Depth=1
	s_or_b32 exec_lo, exec_lo, s59
	s_and_saveexec_b32 s58, s57
	s_cbranch_execz .LBB47_3164
.LBB47_3163:                            ;   in Loop: Header=BB47_17 Depth=1
	v_and_b32_e32 v1, 0xffff, v0
	v_lshlrev_b32_e32 v0, 24, v0
	s_delay_alu instid0(VALU_DEP_2) | instskip(NEXT) | instid1(VALU_DEP_2)
	v_and_b32_e32 v14, 7, v1
	v_and_b32_e32 v0, 0x80000000, v0
	s_delay_alu instid0(VALU_DEP_2) | instskip(NEXT) | instid1(VALU_DEP_1)
	v_clz_i32_u32_e32 v16, v14
	v_min_u32_e32 v16, 32, v16
	s_delay_alu instid0(VALU_DEP_1) | instskip(SKIP_1) | instid1(VALU_DEP_2)
	v_subrev_nc_u32_e32 v17, 28, v16
	v_sub_nc_u32_e32 v16, 29, v16
	v_lshlrev_b32_e32 v17, v17, v1
	v_bfe_u32 v1, v1, 3, 4
	s_delay_alu instid0(VALU_DEP_2) | instskip(NEXT) | instid1(VALU_DEP_2)
	v_and_b32_e32 v17, 7, v17
	v_cmp_eq_u32_e32 vcc_lo, 0, v1
	s_delay_alu instid0(VALU_DEP_2) | instskip(NEXT) | instid1(VALU_DEP_1)
	v_dual_cndmask_b32 v1, v1, v16 :: v_dual_cndmask_b32 v14, v14, v17
	v_lshl_add_u32 v1, v1, 23, 0x3b800000
	s_delay_alu instid0(VALU_DEP_2) | instskip(NEXT) | instid1(VALU_DEP_1)
	v_lshlrev_b32_e32 v14, 20, v14
	v_or3_b32 v16, v0, v1, v14
.LBB47_3164:                            ;   in Loop: Header=BB47_17 Depth=1
	s_or_b32 exec_lo, exec_lo, s58
.LBB47_3165:                            ;   in Loop: Header=BB47_17 Depth=1
	s_delay_alu instid0(SALU_CYCLE_1) | instskip(NEXT) | instid1(SALU_CYCLE_1)
	s_or_b32 exec_lo, exec_lo, s56
	s_and_not1_b32 s55, s55, exec_lo
	s_and_not1_b32 s54, s54, exec_lo
	s_or_b32 s53, s53, exec_lo
.LBB47_3166:                            ;   in Loop: Header=BB47_17 Depth=1
	s_or_b32 exec_lo, exec_lo, s49
	s_delay_alu instid0(SALU_CYCLE_1)
	s_and_b32 s49, s55, exec_lo
	s_and_b32 s54, s54, exec_lo
	;; [unrolled: 1-line block ×3, first 2 shown]
                                        ; implicit-def: $vgpr0_vgpr1
.LBB47_3167:                            ;   in Loop: Header=BB47_17 Depth=1
	s_and_not1_saveexec_b32 s48, s48
	s_cbranch_execz .LBB47_3193
; %bb.3168:                             ;   in Loop: Header=BB47_17 Depth=1
	s_mov_b32 s56, s53
	s_mov_b32 s55, exec_lo
                                        ; implicit-def: $vgpr16
	v_cmpx_lt_i16_e32 22, v7
	s_xor_b32 s55, exec_lo, s55
	s_cbranch_execz .LBB47_3182
; %bb.3169:                             ;   in Loop: Header=BB47_17 Depth=1
	s_mov_b32 s56, exec_lo
                                        ; implicit-def: $vgpr16
	v_cmpx_lt_i16_e32 23, v7
	s_xor_b32 s56, exec_lo, s56
	s_cbranch_execz .LBB47_3179
; %bb.3170:                             ;   in Loop: Header=BB47_17 Depth=1
	;; [unrolled: 6-line block ×3, first 2 shown]
	flat_load_u8 v0, v[0:1]
	s_mov_b32 s58, 0
	s_mov_b32 s60, exec_lo
                                        ; implicit-def: $sgpr59
	s_waitcnt vmcnt(0) lgkmcnt(0)
	v_cmpx_lt_i16_e32 0x7f, v0
	s_xor_b32 s60, exec_lo, s60
	s_cbranch_execnz .LBB47_3622
; %bb.3172:                             ;   in Loop: Header=BB47_17 Depth=1
	s_or_saveexec_b32 s60, s60
	v_mov_b32_e32 v16, s59
	s_xor_b32 exec_lo, exec_lo, s60
	s_cbranch_execnz .LBB47_3625
.LBB47_3173:                            ;   in Loop: Header=BB47_17 Depth=1
	s_or_b32 exec_lo, exec_lo, s60
	s_and_saveexec_b32 s59, s58
	s_cbranch_execz .LBB47_3175
.LBB47_3174:                            ;   in Loop: Header=BB47_17 Depth=1
	v_and_b32_e32 v1, 0xffff, v0
	v_lshlrev_b32_e32 v0, 24, v0
	s_delay_alu instid0(VALU_DEP_2) | instskip(NEXT) | instid1(VALU_DEP_2)
	v_and_b32_e32 v14, 3, v1
	v_and_b32_e32 v0, 0x80000000, v0
	s_delay_alu instid0(VALU_DEP_2) | instskip(NEXT) | instid1(VALU_DEP_1)
	v_clz_i32_u32_e32 v16, v14
	v_min_u32_e32 v16, 32, v16
	s_delay_alu instid0(VALU_DEP_1) | instskip(SKIP_1) | instid1(VALU_DEP_2)
	v_subrev_nc_u32_e32 v17, 29, v16
	v_sub_nc_u32_e32 v16, 30, v16
	v_lshlrev_b32_e32 v17, v17, v1
	v_bfe_u32 v1, v1, 2, 5
	s_delay_alu instid0(VALU_DEP_2) | instskip(NEXT) | instid1(VALU_DEP_2)
	v_and_b32_e32 v17, 3, v17
	v_cmp_eq_u32_e32 vcc_lo, 0, v1
	s_delay_alu instid0(VALU_DEP_2) | instskip(NEXT) | instid1(VALU_DEP_1)
	v_dual_cndmask_b32 v1, v1, v16 :: v_dual_cndmask_b32 v14, v14, v17
	v_lshl_add_u32 v1, v1, 23, 0x37800000
	s_delay_alu instid0(VALU_DEP_2) | instskip(NEXT) | instid1(VALU_DEP_1)
	v_lshlrev_b32_e32 v14, 21, v14
	v_or3_b32 v16, v0, v1, v14
.LBB47_3175:                            ;   in Loop: Header=BB47_17 Depth=1
	s_or_b32 exec_lo, exec_lo, s59
                                        ; implicit-def: $vgpr0_vgpr1
.LBB47_3176:                            ;   in Loop: Header=BB47_17 Depth=1
	s_and_not1_saveexec_b32 s57, s57
	s_cbranch_execz .LBB47_3178
; %bb.3177:                             ;   in Loop: Header=BB47_17 Depth=1
	flat_load_u8 v0, v[0:1]
	s_waitcnt vmcnt(0) lgkmcnt(0)
	v_lshlrev_b32_e32 v0, 24, v0
	s_delay_alu instid0(VALU_DEP_1) | instskip(NEXT) | instid1(VALU_DEP_1)
	v_and_b32_e32 v1, 0x7f000000, v0
	v_clz_i32_u32_e32 v14, v1
	v_add_nc_u32_e32 v17, 0x1000000, v1
	v_cmp_ne_u32_e32 vcc_lo, 0, v1
	s_delay_alu instid0(VALU_DEP_3) | instskip(NEXT) | instid1(VALU_DEP_1)
	v_min_u32_e32 v14, 32, v14
	v_sub_nc_u32_e64 v14, v14, 4 clamp
	s_delay_alu instid0(VALU_DEP_1) | instskip(SKIP_1) | instid1(VALU_DEP_2)
	v_lshlrev_b32_e32 v16, v14, v1
	v_lshlrev_b32_e32 v14, 23, v14
	v_lshrrev_b32_e32 v16, 4, v16
	s_delay_alu instid0(VALU_DEP_1) | instskip(SKIP_1) | instid1(VALU_DEP_2)
	v_sub_nc_u32_e32 v14, v16, v14
	v_ashrrev_i32_e32 v16, 8, v17
	v_add_nc_u32_e32 v14, 0x3c000000, v14
	s_delay_alu instid0(VALU_DEP_1) | instskip(NEXT) | instid1(VALU_DEP_1)
	v_and_or_b32 v14, 0x7f800000, v16, v14
	v_cndmask_b32_e32 v1, 0, v14, vcc_lo
	s_delay_alu instid0(VALU_DEP_1)
	v_and_or_b32 v16, 0x80000000, v0, v1
.LBB47_3178:                            ;   in Loop: Header=BB47_17 Depth=1
	s_or_b32 exec_lo, exec_lo, s57
                                        ; implicit-def: $vgpr0_vgpr1
.LBB47_3179:                            ;   in Loop: Header=BB47_17 Depth=1
	s_and_not1_saveexec_b32 s56, s56
	s_cbranch_execz .LBB47_3181
; %bb.3180:                             ;   in Loop: Header=BB47_17 Depth=1
	flat_load_u8 v0, v[0:1]
	s_waitcnt vmcnt(0) lgkmcnt(0)
	v_lshlrev_b32_e32 v1, 25, v0
	v_lshlrev_b16 v0, 8, v0
	s_delay_alu instid0(VALU_DEP_2) | instskip(NEXT) | instid1(VALU_DEP_2)
	v_lshrrev_b32_e32 v14, 4, v1
	v_and_or_b32 v16, 0x7f00, v0, 0.5
	v_bfe_i32 v0, v0, 0, 16
	s_delay_alu instid0(VALU_DEP_3) | instskip(NEXT) | instid1(VALU_DEP_3)
	v_or_b32_e32 v14, 0x70000000, v14
	v_add_f32_e32 v16, -0.5, v16
	s_delay_alu instid0(VALU_DEP_2) | instskip(SKIP_1) | instid1(VALU_DEP_2)
	v_mul_f32_e32 v14, 0x7800000, v14
	v_cmp_gt_u32_e32 vcc_lo, 0x8000000, v1
	v_cndmask_b32_e32 v1, v14, v16, vcc_lo
	s_delay_alu instid0(VALU_DEP_1)
	v_and_or_b32 v16, 0x80000000, v0, v1
.LBB47_3181:                            ;   in Loop: Header=BB47_17 Depth=1
	s_or_b32 exec_lo, exec_lo, s56
	s_delay_alu instid0(SALU_CYCLE_1)
	s_or_b32 s56, s53, exec_lo
                                        ; implicit-def: $vgpr0_vgpr1
.LBB47_3182:                            ;   in Loop: Header=BB47_17 Depth=1
	s_or_saveexec_b32 s55, s55
                                        ; implicit-def: $sgpr57
                                        ; implicit-def: $vcc_lo
	s_delay_alu instid0(SALU_CYCLE_1)
	s_xor_b32 exec_lo, exec_lo, s55
	s_cbranch_execz .LBB47_3192
; %bb.3183:                             ;   in Loop: Header=BB47_17 Depth=1
	s_mov_b32 s58, s56
	s_mov_b32 s60, exec_lo
                                        ; implicit-def: $sgpr59
                                        ; implicit-def: $sgpr57
                                        ; implicit-def: $vgpr16
	v_cmpx_lt_i16_e32 14, v7
	s_xor_b32 s60, exec_lo, s60
	s_cbranch_execz .LBB47_3187
; %bb.3184:                             ;   in Loop: Header=BB47_17 Depth=1
	s_mov_b32 s58, s56
	s_mov_b32 s57, exec_lo
                                        ; implicit-def: $vgpr16
	v_cmpx_eq_u16_e32 15, v7
	s_cbranch_execz .LBB47_3186
; %bb.3185:                             ;   in Loop: Header=BB47_17 Depth=1
	flat_load_u16 v0, v[0:1]
	s_or_b32 s58, s56, exec_lo
	s_waitcnt vmcnt(0) lgkmcnt(0)
	v_lshlrev_b32_e32 v16, 16, v0
.LBB47_3186:                            ;   in Loop: Header=BB47_17 Depth=1
	s_or_b32 exec_lo, exec_lo, s57
	s_delay_alu instid0(SALU_CYCLE_1)
	s_and_not1_b32 vcc_lo, s56, exec_lo
	s_and_b32 s58, s58, exec_lo
	s_mov_b32 s57, -1
	s_mov_b32 s59, 0
	s_or_b32 s58, vcc_lo, s58
                                        ; implicit-def: $vgpr0_vgpr1
.LBB47_3187:                            ;   in Loop: Header=BB47_17 Depth=1
	s_and_not1_saveexec_b32 s60, s60
	s_cbranch_execz .LBB47_3191
; %bb.3188:                             ;   in Loop: Header=BB47_17 Depth=1
	s_mov_b32 s61, s58
	s_mov_b32 s62, exec_lo
                                        ; implicit-def: $vgpr16
	v_cmpx_eq_u16_e32 11, v7
	s_cbranch_execz .LBB47_3190
; %bb.3189:                             ;   in Loop: Header=BB47_17 Depth=1
	flat_load_u8 v0, v[0:1]
	s_or_b32 s61, s58, exec_lo
	s_waitcnt vmcnt(0) lgkmcnt(0)
	v_cmp_ne_u16_e32 vcc_lo, 0, v0
	v_cndmask_b32_e64 v16, 0, 1.0, vcc_lo
.LBB47_3190:                            ;   in Loop: Header=BB47_17 Depth=1
	s_or_b32 exec_lo, exec_lo, s62
	s_delay_alu instid0(SALU_CYCLE_1)
	s_and_not1_b32 vcc_lo, s58, exec_lo
	s_and_b32 s58, s61, exec_lo
	s_and_not1_b32 s59, s59, exec_lo
	s_or_b32 s57, s57, exec_lo
	s_or_b32 s58, vcc_lo, s58
.LBB47_3191:                            ;   in Loop: Header=BB47_17 Depth=1
	s_or_b32 exec_lo, exec_lo, s60
	s_delay_alu instid0(SALU_CYCLE_1)
	s_and_not1_b32 s56, s56, exec_lo
	s_and_b32 s58, s58, exec_lo
	s_and_b32 vcc_lo, s59, exec_lo
	s_and_b32 s57, s57, exec_lo
	s_or_b32 s56, s56, s58
.LBB47_3192:                            ;   in Loop: Header=BB47_17 Depth=1
	s_or_b32 exec_lo, exec_lo, s55
	s_delay_alu instid0(SALU_CYCLE_1)
	s_and_not1_b32 s49, s49, exec_lo
	s_and_b32 vcc_lo, vcc_lo, exec_lo
	s_and_not1_b32 s53, s53, exec_lo
	s_or_b32 s49, s49, vcc_lo
	s_and_not1_b32 vcc_lo, s54, exec_lo
	s_and_b32 s54, s57, exec_lo
	s_and_b32 s55, s56, exec_lo
	s_or_b32 s54, vcc_lo, s54
	s_or_b32 s53, s53, s55
.LBB47_3193:                            ;   in Loop: Header=BB47_17 Depth=1
	s_or_b32 exec_lo, exec_lo, s48
	s_delay_alu instid0(SALU_CYCLE_1)
	s_and_b32 s49, s49, exec_lo
	s_and_b32 s48, s54, exec_lo
	;; [unrolled: 1-line block ×3, first 2 shown]
                                        ; implicit-def: $vgpr0_vgpr1
	s_and_not1_saveexec_b32 s52, s52
	s_cbranch_execz .LBB47_3018
.LBB47_3194:                            ;   in Loop: Header=BB47_17 Depth=1
	s_mov_b32 s54, exec_lo
                                        ; implicit-def: $vgpr16
	v_cmpx_lt_i16_e32 4, v7
	s_xor_b32 s54, exec_lo, s54
	s_cbranch_execz .LBB47_3216
; %bb.3195:                             ;   in Loop: Header=BB47_17 Depth=1
	s_mov_b32 s55, exec_lo
                                        ; implicit-def: $vgpr16
	v_cmpx_lt_i16_e32 7, v7
	s_xor_b32 s55, exec_lo, s55
	s_cbranch_execz .LBB47_3205
; %bb.3196:                             ;   in Loop: Header=BB47_17 Depth=1
	;; [unrolled: 6-line block ×3, first 2 shown]
	v_cmp_lt_i16_e32 vcc_lo, 9, v7
                                        ; implicit-def: $vgpr16
	s_and_saveexec_b32 s57, vcc_lo
	s_delay_alu instid0(SALU_CYCLE_1)
	s_xor_b32 vcc_lo, exec_lo, s57
	s_cbranch_execz .LBB47_3199
; %bb.3198:                             ;   in Loop: Header=BB47_17 Depth=1
	flat_load_b64 v[0:1], v[0:1]
	s_waitcnt vmcnt(0) lgkmcnt(0)
	v_cvt_f32_f64_e32 v16, v[0:1]
                                        ; implicit-def: $vgpr0_vgpr1
.LBB47_3199:                            ;   in Loop: Header=BB47_17 Depth=1
	s_and_not1_saveexec_b32 vcc_lo, vcc_lo
	s_cbranch_execz .LBB47_3201
; %bb.3200:                             ;   in Loop: Header=BB47_17 Depth=1
	flat_load_b32 v16, v[0:1]
.LBB47_3201:                            ;   in Loop: Header=BB47_17 Depth=1
	s_or_b32 exec_lo, exec_lo, vcc_lo
                                        ; implicit-def: $vgpr0_vgpr1
.LBB47_3202:                            ;   in Loop: Header=BB47_17 Depth=1
	s_and_not1_saveexec_b32 vcc_lo, s56
	s_cbranch_execz .LBB47_3204
; %bb.3203:                             ;   in Loop: Header=BB47_17 Depth=1
	flat_load_b32 v0, v[0:1]
	s_waitcnt vmcnt(0) lgkmcnt(0)
	v_cvt_f32_f16_e32 v16, v0
.LBB47_3204:                            ;   in Loop: Header=BB47_17 Depth=1
	s_or_b32 exec_lo, exec_lo, vcc_lo
                                        ; implicit-def: $vgpr0_vgpr1
.LBB47_3205:                            ;   in Loop: Header=BB47_17 Depth=1
	s_and_not1_saveexec_b32 s55, s55
	s_cbranch_execz .LBB47_3215
; %bb.3206:                             ;   in Loop: Header=BB47_17 Depth=1
	s_mov_b32 s56, exec_lo
                                        ; implicit-def: $vgpr16
	v_cmpx_lt_i16_e32 5, v7
	s_xor_b32 s56, exec_lo, s56
	s_cbranch_execz .LBB47_3212
; %bb.3207:                             ;   in Loop: Header=BB47_17 Depth=1
	v_cmp_lt_i16_e32 vcc_lo, 6, v7
                                        ; implicit-def: $vgpr16
	s_and_saveexec_b32 s57, vcc_lo
	s_delay_alu instid0(SALU_CYCLE_1)
	s_xor_b32 vcc_lo, exec_lo, s57
	s_cbranch_execz .LBB47_3209
; %bb.3208:                             ;   in Loop: Header=BB47_17 Depth=1
	flat_load_b64 v[0:1], v[0:1]
	s_waitcnt vmcnt(0) lgkmcnt(0)
	v_cvt_f32_f64_e32 v16, v[0:1]
                                        ; implicit-def: $vgpr0_vgpr1
.LBB47_3209:                            ;   in Loop: Header=BB47_17 Depth=1
	s_and_not1_saveexec_b32 vcc_lo, vcc_lo
	s_cbranch_execz .LBB47_3211
; %bb.3210:                             ;   in Loop: Header=BB47_17 Depth=1
	s_waitcnt vmcnt(0) lgkmcnt(0)
	flat_load_b32 v16, v[0:1]
.LBB47_3211:                            ;   in Loop: Header=BB47_17 Depth=1
	s_or_b32 exec_lo, exec_lo, vcc_lo
                                        ; implicit-def: $vgpr0_vgpr1
.LBB47_3212:                            ;   in Loop: Header=BB47_17 Depth=1
	s_and_not1_saveexec_b32 vcc_lo, s56
	s_cbranch_execz .LBB47_3214
; %bb.3213:                             ;   in Loop: Header=BB47_17 Depth=1
	flat_load_u16 v0, v[0:1]
	s_waitcnt vmcnt(0) lgkmcnt(0)
	v_cvt_f32_f16_e32 v16, v0
.LBB47_3214:                            ;   in Loop: Header=BB47_17 Depth=1
	s_or_b32 exec_lo, exec_lo, vcc_lo
.LBB47_3215:                            ;   in Loop: Header=BB47_17 Depth=1
	s_delay_alu instid0(SALU_CYCLE_1)
	s_or_b32 exec_lo, exec_lo, s55
                                        ; implicit-def: $vgpr0_vgpr1
.LBB47_3216:                            ;   in Loop: Header=BB47_17 Depth=1
	s_and_not1_saveexec_b32 s54, s54
	s_cbranch_execz .LBB47_3234
; %bb.3217:                             ;   in Loop: Header=BB47_17 Depth=1
	s_mov_b32 s55, exec_lo
                                        ; implicit-def: $vgpr16
	v_cmpx_lt_i16_e32 1, v7
	s_xor_b32 s55, exec_lo, s55
	s_cbranch_execz .LBB47_3227
; %bb.3218:                             ;   in Loop: Header=BB47_17 Depth=1
	s_mov_b32 s56, exec_lo
                                        ; implicit-def: $vgpr16
	v_cmpx_lt_i16_e32 2, v7
	s_xor_b32 s56, exec_lo, s56
	s_cbranch_execz .LBB47_3224
; %bb.3219:                             ;   in Loop: Header=BB47_17 Depth=1
	v_cmp_lt_i16_e32 vcc_lo, 3, v7
                                        ; implicit-def: $vgpr16
	s_and_saveexec_b32 s57, vcc_lo
	s_delay_alu instid0(SALU_CYCLE_1)
	s_xor_b32 vcc_lo, exec_lo, s57
	s_cbranch_execz .LBB47_3221
; %bb.3220:                             ;   in Loop: Header=BB47_17 Depth=1
	flat_load_b64 v[0:1], v[0:1]
	s_waitcnt vmcnt(0) lgkmcnt(0)
	v_xor_b32_e32 v14, v0, v1
	v_cls_i32_e32 v16, v1
	s_delay_alu instid0(VALU_DEP_2) | instskip(NEXT) | instid1(VALU_DEP_2)
	v_ashrrev_i32_e32 v14, 31, v14
	v_add_nc_u32_e32 v16, -1, v16
	s_delay_alu instid0(VALU_DEP_2) | instskip(NEXT) | instid1(VALU_DEP_1)
	v_add_nc_u32_e32 v14, 32, v14
	v_min_u32_e32 v14, v16, v14
	s_delay_alu instid0(VALU_DEP_1) | instskip(NEXT) | instid1(VALU_DEP_1)
	v_lshlrev_b64 v[0:1], v14, v[0:1]
	v_min_u32_e32 v0, 1, v0
	s_delay_alu instid0(VALU_DEP_1) | instskip(SKIP_1) | instid1(VALU_DEP_2)
	v_or_b32_e32 v0, v1, v0
	v_sub_nc_u32_e32 v1, 32, v14
	v_cvt_f32_i32_e32 v0, v0
	s_delay_alu instid0(VALU_DEP_1)
	v_ldexp_f32 v16, v0, v1
                                        ; implicit-def: $vgpr0_vgpr1
.LBB47_3221:                            ;   in Loop: Header=BB47_17 Depth=1
	s_and_not1_saveexec_b32 vcc_lo, vcc_lo
	s_cbranch_execz .LBB47_3223
; %bb.3222:                             ;   in Loop: Header=BB47_17 Depth=1
	flat_load_b32 v0, v[0:1]
	s_waitcnt vmcnt(0) lgkmcnt(0)
	v_cvt_f32_i32_e32 v16, v0
.LBB47_3223:                            ;   in Loop: Header=BB47_17 Depth=1
	s_or_b32 exec_lo, exec_lo, vcc_lo
                                        ; implicit-def: $vgpr0_vgpr1
.LBB47_3224:                            ;   in Loop: Header=BB47_17 Depth=1
	s_and_not1_saveexec_b32 vcc_lo, s56
	s_cbranch_execz .LBB47_3226
; %bb.3225:                             ;   in Loop: Header=BB47_17 Depth=1
	flat_load_i16 v0, v[0:1]
	s_waitcnt vmcnt(0) lgkmcnt(0)
	v_cvt_f32_i32_e32 v16, v0
.LBB47_3226:                            ;   in Loop: Header=BB47_17 Depth=1
	s_or_b32 exec_lo, exec_lo, vcc_lo
                                        ; implicit-def: $vgpr0_vgpr1
.LBB47_3227:                            ;   in Loop: Header=BB47_17 Depth=1
	s_and_not1_saveexec_b32 s55, s55
	s_cbranch_execz .LBB47_3233
; %bb.3228:                             ;   in Loop: Header=BB47_17 Depth=1
	v_cmp_lt_i16_e32 vcc_lo, 0, v7
                                        ; implicit-def: $vgpr16
	s_and_saveexec_b32 s56, vcc_lo
	s_delay_alu instid0(SALU_CYCLE_1)
	s_xor_b32 vcc_lo, exec_lo, s56
	s_cbranch_execz .LBB47_3230
; %bb.3229:                             ;   in Loop: Header=BB47_17 Depth=1
	flat_load_i8 v0, v[0:1]
	s_waitcnt vmcnt(0) lgkmcnt(0)
	v_cvt_f32_i32_e32 v16, v0
                                        ; implicit-def: $vgpr0_vgpr1
.LBB47_3230:                            ;   in Loop: Header=BB47_17 Depth=1
	s_and_not1_saveexec_b32 vcc_lo, vcc_lo
	s_cbranch_execz .LBB47_3232
; %bb.3231:                             ;   in Loop: Header=BB47_17 Depth=1
	flat_load_u8 v0, v[0:1]
	s_waitcnt vmcnt(0) lgkmcnt(0)
	v_cvt_f32_ubyte0_e32 v16, v0
.LBB47_3232:                            ;   in Loop: Header=BB47_17 Depth=1
	s_or_b32 exec_lo, exec_lo, vcc_lo
.LBB47_3233:                            ;   in Loop: Header=BB47_17 Depth=1
	s_delay_alu instid0(SALU_CYCLE_1)
	s_or_b32 exec_lo, exec_lo, s55
.LBB47_3234:                            ;   in Loop: Header=BB47_17 Depth=1
	s_delay_alu instid0(SALU_CYCLE_1) | instskip(NEXT) | instid1(SALU_CYCLE_1)
	s_or_b32 exec_lo, exec_lo, s54
	s_and_not1_b32 s49, s49, exec_lo
	s_and_not1_b32 s48, s48, exec_lo
	s_or_b32 s53, s53, exec_lo
	s_or_b32 exec_lo, exec_lo, s52
	s_mov_b32 vcc_lo, 0
	s_and_saveexec_b32 s52, s53
	s_cbranch_execz .LBB47_3240
.LBB47_3235:                            ;   in Loop: Header=BB47_17 Depth=1
	v_add_nc_u32_e64 v14, s1, s33
	s_mov_b32 s56, 0
	s_mov_b32 s53, exec_lo
                                        ; implicit-def: $sgpr54
                                        ; implicit-def: $sgpr55
	s_delay_alu instid0(VALU_DEP_1) | instskip(SKIP_4) | instid1(VALU_DEP_2)
	v_add_nc_u32_e32 v0, 0x74, v14
	s_waitcnt vmcnt(0) lgkmcnt(0)
	scratch_store_b32 v0, v16, off
	v_mul_lo_u32 v0, v15, v10
	v_and_b32_e32 v16, 0xff, v8
                                        ; implicit-def: $vgpr15
	v_add_co_u32 v0, vcc_lo, v4, v0
	v_add_co_ci_u32_e32 v1, vcc_lo, 0, v5, vcc_lo
	s_delay_alu instid0(VALU_DEP_3)
	v_cmpx_lt_i16_e32 10, v16
	s_xor_b32 s53, exec_lo, s53
	s_cbranch_execnz .LBB47_3262
; %bb.3236:                             ;   in Loop: Header=BB47_17 Depth=1
	s_and_not1_saveexec_b32 s53, s53
	s_cbranch_execnz .LBB47_3321
.LBB47_3237:                            ;   in Loop: Header=BB47_17 Depth=1
	s_or_b32 exec_lo, exec_lo, s53
	s_mov_b32 vcc_lo, 0
	s_and_saveexec_b32 s53, s56
	s_cbranch_execz .LBB47_3239
.LBB47_3238:                            ;   in Loop: Header=BB47_17 Depth=1
	v_add_nc_u32_e32 v0, 0x70, v14
	v_add_nc_u32_e32 v13, 0x200, v13
	s_mov_b32 vcc_lo, exec_lo
	s_and_not1_b32 s55, s55, exec_lo
	s_and_not1_b32 s54, s54, exec_lo
	s_waitcnt vmcnt(0) lgkmcnt(0)
	scratch_store_b32 v0, v15, off
.LBB47_3239:                            ;   in Loop: Header=BB47_17 Depth=1
	s_or_b32 exec_lo, exec_lo, s53
	s_delay_alu instid0(SALU_CYCLE_1)
	s_and_not1_b32 s49, s49, exec_lo
	s_and_b32 s53, s55, exec_lo
	s_and_not1_b32 s48, s48, exec_lo
	s_and_b32 s54, s54, exec_lo
	s_or_b32 s49, s49, s53
	s_or_b32 s48, s48, s54
	s_and_b32 vcc_lo, vcc_lo, exec_lo
.LBB47_3240:                            ;   in Loop: Header=BB47_17 Depth=1
	s_or_b32 exec_lo, exec_lo, s52
	s_delay_alu instid0(SALU_CYCLE_1)
	s_and_b32 s49, s49, exec_lo
	s_and_b32 s48, s48, exec_lo
	s_or_not1_b32 s52, vcc_lo, exec_lo
.LBB47_3241:                            ;   in Loop: Header=BB47_17 Depth=1
	s_or_b32 exec_lo, exec_lo, s50
	s_and_saveexec_b32 s50, s52
	s_cbranch_execz .LBB47_2
; %bb.3242:                             ;   in Loop: Header=BB47_17 Depth=1
	s_mov_b32 s55, -1
	s_mov_b32 s52, exec_lo
                                        ; implicit-def: $sgpr53
                                        ; implicit-def: $sgpr54
	v_cmpx_lt_i32_e64 v13, v6
	s_cbranch_execz .LBB47_3468
; %bb.3243:                             ;   in Loop: Header=BB47_17 Depth=1
	s_waitcnt vmcnt(0) lgkmcnt(0)
	v_add_nc_u32_e32 v15, s11, v13
	s_mov_b32 s56, 0
	s_mov_b32 s55, exec_lo
                                        ; implicit-def: $sgpr53
                                        ; implicit-def: $sgpr54
                                        ; implicit-def: $vgpr16
	s_delay_alu instid0(VALU_DEP_1) | instskip(NEXT) | instid1(VALU_DEP_1)
	v_mul_lo_u32 v0, v15, v9
	v_add_co_u32 v0, vcc_lo, v2, v0
	v_add_co_ci_u32_e32 v1, vcc_lo, 0, v3, vcc_lo
	v_cmpx_lt_i16_e32 10, v7
	s_xor_b32 s55, exec_lo, s55
	s_cbranch_execnz .LBB47_3362
; %bb.3244:                             ;   in Loop: Header=BB47_17 Depth=1
	s_and_not1_saveexec_b32 s55, s55
	s_cbranch_execnz .LBB47_3421
.LBB47_3245:                            ;   in Loop: Header=BB47_17 Depth=1
	s_or_b32 exec_lo, exec_lo, s55
	s_mov_b32 vcc_lo, 0
	s_and_saveexec_b32 s55, s56
	s_cbranch_execnz .LBB47_3462
	s_branch .LBB47_3467
.LBB47_3246:                            ;   in Loop: Header=BB47_17 Depth=1
	s_mov_b32 s46, -1
	s_mov_b32 s49, exec_lo
                                        ; implicit-def: $sgpr47
	v_cmpx_eq_u16_e32 0x80, v0
; %bb.3247:                             ;   in Loop: Header=BB47_17 Depth=1
	s_mov_b32 s47, 0x7f800001
	s_xor_b32 s46, exec_lo, -1
; %bb.3248:                             ;   in Loop: Header=BB47_17 Depth=1
	s_or_b32 exec_lo, exec_lo, s49
	s_delay_alu instid0(SALU_CYCLE_1)
	s_and_b32 s46, s46, exec_lo
	s_or_saveexec_b32 s48, s48
	v_mov_b32_e32 v15, s47
	s_xor_b32 exec_lo, exec_lo, s48
	s_cbranch_execz .LBB47_2165
.LBB47_3249:                            ;   in Loop: Header=BB47_17 Depth=1
	v_cmp_ne_u16_e32 vcc_lo, 0, v0
	v_mov_b32_e32 v15, 0
	s_and_not1_b32 s46, s46, exec_lo
	s_and_b32 vcc_lo, vcc_lo, exec_lo
	s_delay_alu instid0(SALU_CYCLE_1)
	s_or_b32 s46, s46, vcc_lo
	s_or_b32 exec_lo, exec_lo, s48
	s_and_saveexec_b32 s47, s46
	s_cbranch_execnz .LBB47_2166
	s_branch .LBB47_2167
.LBB47_3250:                            ;   in Loop: Header=BB47_17 Depth=1
	s_mov_b32 s46, -1
	s_mov_b32 s49, exec_lo
                                        ; implicit-def: $sgpr47
	v_cmpx_eq_u16_e32 0x80, v0
; %bb.3251:                             ;   in Loop: Header=BB47_17 Depth=1
	s_mov_b32 s47, 0x7f800001
	s_xor_b32 s46, exec_lo, -1
; %bb.3252:                             ;   in Loop: Header=BB47_17 Depth=1
	s_or_b32 exec_lo, exec_lo, s49
	s_delay_alu instid0(SALU_CYCLE_1)
	s_and_b32 s46, s46, exec_lo
	s_or_saveexec_b32 s48, s48
	v_mov_b32_e32 v16, s47
	s_xor_b32 exec_lo, exec_lo, s48
	s_cbranch_execz .LBB47_2265
.LBB47_3253:                            ;   in Loop: Header=BB47_17 Depth=1
	v_cmp_ne_u16_e32 vcc_lo, 0, v0
	v_mov_b32_e32 v16, 0
	s_and_not1_b32 s46, s46, exec_lo
	s_and_b32 vcc_lo, vcc_lo, exec_lo
	s_delay_alu instid0(SALU_CYCLE_1)
	s_or_b32 s46, s46, vcc_lo
	s_or_b32 exec_lo, exec_lo, s48
	s_and_saveexec_b32 s47, s46
	s_cbranch_execnz .LBB47_2266
	s_branch .LBB47_2267
.LBB47_3254:                            ;   in Loop: Header=BB47_17 Depth=1
	s_mov_b32 s48, -1
	s_mov_b32 s51, exec_lo
                                        ; implicit-def: $sgpr49
	v_cmpx_eq_u16_e32 0x80, v0
; %bb.3255:                             ;   in Loop: Header=BB47_17 Depth=1
	s_mov_b32 s49, 0x7f800001
	s_xor_b32 s48, exec_lo, -1
; %bb.3256:                             ;   in Loop: Header=BB47_17 Depth=1
	s_or_b32 exec_lo, exec_lo, s51
	s_delay_alu instid0(SALU_CYCLE_1)
	s_and_b32 s48, s48, exec_lo
	s_or_saveexec_b32 s50, s50
	v_mov_b32_e32 v15, s49
	s_xor_b32 exec_lo, exec_lo, s50
	s_cbranch_execz .LBB47_2381
.LBB47_3257:                            ;   in Loop: Header=BB47_17 Depth=1
	v_cmp_ne_u16_e32 vcc_lo, 0, v0
	v_mov_b32_e32 v15, 0
	s_and_not1_b32 s48, s48, exec_lo
	s_and_b32 vcc_lo, vcc_lo, exec_lo
	s_delay_alu instid0(SALU_CYCLE_1)
	s_or_b32 s48, s48, vcc_lo
	s_or_b32 exec_lo, exec_lo, s50
	s_and_saveexec_b32 s49, s48
	s_cbranch_execnz .LBB47_2382
	s_branch .LBB47_2383
.LBB47_3258:                            ;   in Loop: Header=BB47_17 Depth=1
	s_mov_b32 s48, -1
	s_mov_b32 s51, exec_lo
                                        ; implicit-def: $sgpr49
	v_cmpx_eq_u16_e32 0x80, v0
; %bb.3259:                             ;   in Loop: Header=BB47_17 Depth=1
	s_mov_b32 s49, 0x7f800001
	s_xor_b32 s48, exec_lo, -1
; %bb.3260:                             ;   in Loop: Header=BB47_17 Depth=1
	s_or_b32 exec_lo, exec_lo, s51
	s_delay_alu instid0(SALU_CYCLE_1)
	s_and_b32 s48, s48, exec_lo
	s_or_saveexec_b32 s50, s50
	v_mov_b32_e32 v16, s49
	s_xor_b32 exec_lo, exec_lo, s50
	s_cbranch_execz .LBB47_2481
.LBB47_3261:                            ;   in Loop: Header=BB47_17 Depth=1
	v_cmp_ne_u16_e32 vcc_lo, 0, v0
	v_mov_b32_e32 v16, 0
	s_and_not1_b32 s48, s48, exec_lo
	s_and_b32 vcc_lo, vcc_lo, exec_lo
	s_delay_alu instid0(SALU_CYCLE_1)
	s_or_b32 s48, s48, vcc_lo
	s_or_b32 exec_lo, exec_lo, s50
	s_and_saveexec_b32 s49, s48
	s_cbranch_execnz .LBB47_2482
	s_branch .LBB47_2483
.LBB47_3262:                            ;   in Loop: Header=BB47_17 Depth=1
	s_mov_b32 s54, exec_lo
                                        ; implicit-def: $sgpr57
                                        ; implicit-def: $sgpr55
                                        ; implicit-def: $vgpr15
	v_cmpx_lt_i16_e32 25, v16
	s_xor_b32 s54, exec_lo, s54
	s_cbranch_execz .LBB47_3294
; %bb.3263:                             ;   in Loop: Header=BB47_17 Depth=1
	s_mov_b32 s55, exec_lo
                                        ; implicit-def: $sgpr57
                                        ; implicit-def: $sgpr58
                                        ; implicit-def: $vgpr15
	v_cmpx_lt_i16_e32 28, v16
	s_xor_b32 s55, exec_lo, s55
	s_cbranch_execz .LBB47_3279
; %bb.3264:                             ;   in Loop: Header=BB47_17 Depth=1
	s_mov_b32 s59, 0
	s_mov_b32 s56, exec_lo
                                        ; implicit-def: $sgpr57
                                        ; implicit-def: $sgpr58
                                        ; implicit-def: $vgpr15
	v_cmpx_lt_i16_e32 43, v16
	s_xor_b32 s56, exec_lo, s56
	s_cbranch_execz .LBB47_3274
; %bb.3265:                             ;   in Loop: Header=BB47_17 Depth=1
	s_mov_b32 s60, exec_lo
                                        ; implicit-def: $sgpr58
                                        ; implicit-def: $sgpr57
                                        ; implicit-def: $vgpr15
	v_cmpx_lt_i16_e32 45, v16
	s_xor_b32 s60, exec_lo, s60
	s_cbranch_execz .LBB47_3269
; %bb.3266:                             ;   in Loop: Header=BB47_17 Depth=1
	s_mov_b32 s57, 0
	s_mov_b32 s58, exec_lo
                                        ; implicit-def: $vgpr15
	v_cmpx_eq_u16_e32 46, v16
	s_cbranch_execz .LBB47_3268
; %bb.3267:                             ;   in Loop: Header=BB47_17 Depth=1
	flat_load_b32 v0, v[0:1]
	s_mov_b32 s59, exec_lo
	s_waitcnt vmcnt(0) lgkmcnt(0)
	v_lshlrev_b32_e32 v15, 16, v0
.LBB47_3268:                            ;   in Loop: Header=BB47_17 Depth=1
	s_or_b32 exec_lo, exec_lo, s58
	s_mov_b32 s58, -1
	s_and_b32 s59, s59, exec_lo
                                        ; implicit-def: $vgpr16
                                        ; implicit-def: $vgpr0_vgpr1
.LBB47_3269:                            ;   in Loop: Header=BB47_17 Depth=1
	s_and_not1_saveexec_b32 s60, s60
	s_cbranch_execz .LBB47_3273
; %bb.3270:                             ;   in Loop: Header=BB47_17 Depth=1
	s_mov_b32 s62, s59
	s_mov_b32 s61, exec_lo
                                        ; implicit-def: $vgpr15
	v_cmpx_eq_u16_e32 44, v16
	s_cbranch_execz .LBB47_3272
; %bb.3271:                             ;   in Loop: Header=BB47_17 Depth=1
	flat_load_u8 v0, v[0:1]
	s_or_b32 s62, s59, exec_lo
	s_waitcnt vmcnt(0) lgkmcnt(0)
	v_lshlrev_b32_e32 v1, 23, v0
	v_cmp_ne_u32_e32 vcc_lo, 0xff, v0
	s_delay_alu instid0(VALU_DEP_2) | instskip(SKIP_1) | instid1(VALU_DEP_2)
	v_cndmask_b32_e32 v1, 0x7f800001, v1, vcc_lo
	v_cmp_ne_u32_e32 vcc_lo, 0, v0
	v_cndmask_b32_e32 v15, 0x400000, v1, vcc_lo
.LBB47_3272:                            ;   in Loop: Header=BB47_17 Depth=1
	s_or_b32 exec_lo, exec_lo, s61
	s_delay_alu instid0(SALU_CYCLE_1)
	s_and_not1_b32 vcc_lo, s59, exec_lo
	s_and_b32 s59, s62, exec_lo
	s_or_b32 s58, s58, exec_lo
	s_and_not1_b32 s57, s57, exec_lo
	s_or_b32 s59, vcc_lo, s59
.LBB47_3273:                            ;   in Loop: Header=BB47_17 Depth=1
	s_or_b32 exec_lo, exec_lo, s60
	s_delay_alu instid0(SALU_CYCLE_1)
	s_and_b32 s58, s58, exec_lo
	s_and_b32 s57, s57, exec_lo
	;; [unrolled: 1-line block ×3, first 2 shown]
                                        ; implicit-def: $vgpr16
                                        ; implicit-def: $vgpr0_vgpr1
.LBB47_3274:                            ;   in Loop: Header=BB47_17 Depth=1
	s_and_not1_saveexec_b32 s56, s56
	s_cbranch_execz .LBB47_3278
; %bb.3275:                             ;   in Loop: Header=BB47_17 Depth=1
	s_mov_b32 s61, s59
	s_mov_b32 s60, exec_lo
                                        ; implicit-def: $vgpr15
	v_cmpx_eq_u16_e32 29, v16
	s_cbranch_execz .LBB47_3277
; %bb.3276:                             ;   in Loop: Header=BB47_17 Depth=1
	flat_load_b64 v[0:1], v[0:1]
	s_or_b32 s61, s59, exec_lo
	s_waitcnt vmcnt(0) lgkmcnt(0)
	v_clz_i32_u32_e32 v15, v1
	s_delay_alu instid0(VALU_DEP_1) | instskip(NEXT) | instid1(VALU_DEP_1)
	v_min_u32_e32 v15, 32, v15
	v_lshlrev_b64 v[0:1], v15, v[0:1]
	s_delay_alu instid0(VALU_DEP_1) | instskip(NEXT) | instid1(VALU_DEP_1)
	v_min_u32_e32 v0, 1, v0
	v_or_b32_e32 v0, v1, v0
	v_sub_nc_u32_e32 v1, 32, v15
	s_delay_alu instid0(VALU_DEP_2) | instskip(NEXT) | instid1(VALU_DEP_1)
	v_cvt_f32_u32_e32 v0, v0
	v_ldexp_f32 v15, v0, v1
.LBB47_3277:                            ;   in Loop: Header=BB47_17 Depth=1
	s_or_b32 exec_lo, exec_lo, s60
	s_delay_alu instid0(SALU_CYCLE_1)
	s_and_not1_b32 vcc_lo, s59, exec_lo
	s_and_b32 s59, s61, exec_lo
	s_or_b32 s58, s58, exec_lo
	s_and_not1_b32 s57, s57, exec_lo
	s_or_b32 s59, vcc_lo, s59
.LBB47_3278:                            ;   in Loop: Header=BB47_17 Depth=1
	s_or_b32 exec_lo, exec_lo, s56
	s_delay_alu instid0(SALU_CYCLE_1)
	s_and_b32 s58, s58, exec_lo
	s_and_b32 s57, s57, exec_lo
	;; [unrolled: 1-line block ×3, first 2 shown]
                                        ; implicit-def: $vgpr16
                                        ; implicit-def: $vgpr0_vgpr1
.LBB47_3279:                            ;   in Loop: Header=BB47_17 Depth=1
	s_and_not1_saveexec_b32 s55, s55
	s_cbranch_execz .LBB47_3293
; %bb.3280:                             ;   in Loop: Header=BB47_17 Depth=1
	s_mov_b32 s59, exec_lo
                                        ; implicit-def: $vgpr15
	v_cmpx_lt_i16_e32 26, v16
	s_xor_b32 s59, exec_lo, s59
	s_cbranch_execz .LBB47_3286
; %bb.3281:                             ;   in Loop: Header=BB47_17 Depth=1
	v_cmp_lt_i16_e32 vcc_lo, 27, v16
                                        ; implicit-def: $vgpr15
	s_and_saveexec_b32 s60, vcc_lo
	s_delay_alu instid0(SALU_CYCLE_1)
	s_xor_b32 vcc_lo, exec_lo, s60
	s_cbranch_execz .LBB47_3283
; %bb.3282:                             ;   in Loop: Header=BB47_17 Depth=1
	flat_load_b32 v0, v[0:1]
	s_waitcnt vmcnt(0) lgkmcnt(0)
	v_cvt_f32_u32_e32 v15, v0
                                        ; implicit-def: $vgpr0_vgpr1
.LBB47_3283:                            ;   in Loop: Header=BB47_17 Depth=1
	s_and_not1_saveexec_b32 vcc_lo, vcc_lo
	s_cbranch_execz .LBB47_3285
; %bb.3284:                             ;   in Loop: Header=BB47_17 Depth=1
	flat_load_u16 v0, v[0:1]
	s_waitcnt vmcnt(0) lgkmcnt(0)
	v_cvt_f32_u32_e32 v15, v0
.LBB47_3285:                            ;   in Loop: Header=BB47_17 Depth=1
	s_or_b32 exec_lo, exec_lo, vcc_lo
                                        ; implicit-def: $vgpr0_vgpr1
.LBB47_3286:                            ;   in Loop: Header=BB47_17 Depth=1
	s_and_not1_saveexec_b32 s59, s59
	s_cbranch_execz .LBB47_3292
; %bb.3287:                             ;   in Loop: Header=BB47_17 Depth=1
	flat_load_u8 v0, v[0:1]
	s_mov_b32 s60, 0
	s_mov_b32 s62, exec_lo
                                        ; implicit-def: $sgpr61
	s_waitcnt vmcnt(0) lgkmcnt(0)
	v_cmpx_lt_i16_e32 0x7f, v0
	s_xor_b32 s62, exec_lo, s62
	s_cbranch_execnz .LBB47_3626
; %bb.3288:                             ;   in Loop: Header=BB47_17 Depth=1
	s_or_saveexec_b32 s62, s62
	v_mov_b32_e32 v15, s61
	s_xor_b32 exec_lo, exec_lo, s62
	s_cbranch_execnz .LBB47_3629
.LBB47_3289:                            ;   in Loop: Header=BB47_17 Depth=1
	s_or_b32 exec_lo, exec_lo, s62
	s_and_saveexec_b32 s61, s60
	s_cbranch_execz .LBB47_3291
.LBB47_3290:                            ;   in Loop: Header=BB47_17 Depth=1
	v_and_b32_e32 v1, 0xffff, v0
	s_delay_alu instid0(VALU_DEP_1) | instskip(NEXT) | instid1(VALU_DEP_1)
	v_and_b32_e32 v15, 7, v1
	v_clz_i32_u32_e32 v16, v15
	s_delay_alu instid0(VALU_DEP_1) | instskip(NEXT) | instid1(VALU_DEP_1)
	v_min_u32_e32 v16, 32, v16
	v_subrev_nc_u32_e32 v17, 28, v16
	v_sub_nc_u32_e32 v16, 29, v16
	s_delay_alu instid0(VALU_DEP_2) | instskip(SKIP_1) | instid1(VALU_DEP_2)
	v_lshlrev_b32_e32 v17, v17, v1
	v_bfe_u32 v1, v1, 3, 4
	v_and_b32_e32 v17, 7, v17
	s_delay_alu instid0(VALU_DEP_2) | instskip(NEXT) | instid1(VALU_DEP_2)
	v_cmp_eq_u32_e32 vcc_lo, 0, v1
	v_dual_cndmask_b32 v15, v15, v17 :: v_dual_lshlrev_b32 v0, 24, v0
	v_cndmask_b32_e32 v1, v1, v16, vcc_lo
	s_delay_alu instid0(VALU_DEP_2) | instskip(NEXT) | instid1(VALU_DEP_3)
	v_and_b32_e32 v0, 0x80000000, v0
	v_lshlrev_b32_e32 v15, 20, v15
	s_delay_alu instid0(VALU_DEP_3) | instskip(NEXT) | instid1(VALU_DEP_1)
	v_lshl_add_u32 v1, v1, 23, 0x3b800000
	v_or3_b32 v15, v0, v1, v15
.LBB47_3291:                            ;   in Loop: Header=BB47_17 Depth=1
	s_or_b32 exec_lo, exec_lo, s61
.LBB47_3292:                            ;   in Loop: Header=BB47_17 Depth=1
	s_delay_alu instid0(SALU_CYCLE_1) | instskip(NEXT) | instid1(SALU_CYCLE_1)
	s_or_b32 exec_lo, exec_lo, s59
	s_and_not1_b32 s58, s58, exec_lo
	s_and_not1_b32 s57, s57, exec_lo
	s_or_b32 s56, s56, exec_lo
.LBB47_3293:                            ;   in Loop: Header=BB47_17 Depth=1
	s_or_b32 exec_lo, exec_lo, s55
	s_delay_alu instid0(SALU_CYCLE_1)
	s_and_b32 s55, s58, exec_lo
	s_and_b32 s57, s57, exec_lo
	;; [unrolled: 1-line block ×3, first 2 shown]
                                        ; implicit-def: $vgpr16
                                        ; implicit-def: $vgpr0_vgpr1
.LBB47_3294:                            ;   in Loop: Header=BB47_17 Depth=1
	s_and_not1_saveexec_b32 s54, s54
	s_cbranch_execz .LBB47_3320
; %bb.3295:                             ;   in Loop: Header=BB47_17 Depth=1
	s_mov_b32 s59, s56
	s_mov_b32 s58, exec_lo
                                        ; implicit-def: $vgpr15
	v_cmpx_lt_i16_e32 22, v16
	s_xor_b32 s58, exec_lo, s58
	s_cbranch_execz .LBB47_3309
; %bb.3296:                             ;   in Loop: Header=BB47_17 Depth=1
	s_mov_b32 s59, exec_lo
                                        ; implicit-def: $vgpr15
	v_cmpx_lt_i16_e32 23, v16
	s_xor_b32 s59, exec_lo, s59
	s_cbranch_execz .LBB47_3306
; %bb.3297:                             ;   in Loop: Header=BB47_17 Depth=1
	;; [unrolled: 6-line block ×3, first 2 shown]
	flat_load_u8 v0, v[0:1]
	s_mov_b32 s61, 0
	s_mov_b32 s63, exec_lo
                                        ; implicit-def: $sgpr62
	s_waitcnt vmcnt(0) lgkmcnt(0)
	v_cmpx_lt_i16_e32 0x7f, v0
	s_xor_b32 s63, exec_lo, s63
	s_cbranch_execnz .LBB47_3634
; %bb.3299:                             ;   in Loop: Header=BB47_17 Depth=1
	s_or_saveexec_b32 s63, s63
	v_mov_b32_e32 v15, s62
	s_xor_b32 exec_lo, exec_lo, s63
	s_cbranch_execnz .LBB47_3637
.LBB47_3300:                            ;   in Loop: Header=BB47_17 Depth=1
	s_or_b32 exec_lo, exec_lo, s63
	s_and_saveexec_b32 s62, s61
	s_cbranch_execz .LBB47_3302
.LBB47_3301:                            ;   in Loop: Header=BB47_17 Depth=1
	v_and_b32_e32 v1, 0xffff, v0
	s_delay_alu instid0(VALU_DEP_1) | instskip(NEXT) | instid1(VALU_DEP_1)
	v_and_b32_e32 v15, 3, v1
	v_clz_i32_u32_e32 v16, v15
	s_delay_alu instid0(VALU_DEP_1) | instskip(NEXT) | instid1(VALU_DEP_1)
	v_min_u32_e32 v16, 32, v16
	v_subrev_nc_u32_e32 v17, 29, v16
	v_sub_nc_u32_e32 v16, 30, v16
	s_delay_alu instid0(VALU_DEP_2) | instskip(SKIP_1) | instid1(VALU_DEP_2)
	v_lshlrev_b32_e32 v17, v17, v1
	v_bfe_u32 v1, v1, 2, 5
	v_and_b32_e32 v17, 3, v17
	s_delay_alu instid0(VALU_DEP_2) | instskip(NEXT) | instid1(VALU_DEP_2)
	v_cmp_eq_u32_e32 vcc_lo, 0, v1
	v_dual_cndmask_b32 v15, v15, v17 :: v_dual_lshlrev_b32 v0, 24, v0
	v_cndmask_b32_e32 v1, v1, v16, vcc_lo
	s_delay_alu instid0(VALU_DEP_2) | instskip(NEXT) | instid1(VALU_DEP_3)
	v_and_b32_e32 v0, 0x80000000, v0
	v_lshlrev_b32_e32 v15, 21, v15
	s_delay_alu instid0(VALU_DEP_3) | instskip(NEXT) | instid1(VALU_DEP_1)
	v_lshl_add_u32 v1, v1, 23, 0x37800000
	v_or3_b32 v15, v0, v1, v15
.LBB47_3302:                            ;   in Loop: Header=BB47_17 Depth=1
	s_or_b32 exec_lo, exec_lo, s62
                                        ; implicit-def: $vgpr0_vgpr1
.LBB47_3303:                            ;   in Loop: Header=BB47_17 Depth=1
	s_and_not1_saveexec_b32 s60, s60
	s_cbranch_execz .LBB47_3305
; %bb.3304:                             ;   in Loop: Header=BB47_17 Depth=1
	flat_load_u8 v0, v[0:1]
	s_waitcnt vmcnt(0) lgkmcnt(0)
	v_lshlrev_b32_e32 v0, 24, v0
	s_delay_alu instid0(VALU_DEP_1) | instskip(NEXT) | instid1(VALU_DEP_1)
	v_and_b32_e32 v1, 0x7f000000, v0
	v_clz_i32_u32_e32 v15, v1
	v_add_nc_u32_e32 v17, 0x1000000, v1
	v_cmp_ne_u32_e32 vcc_lo, 0, v1
	s_delay_alu instid0(VALU_DEP_3) | instskip(NEXT) | instid1(VALU_DEP_1)
	v_min_u32_e32 v15, 32, v15
	v_sub_nc_u32_e64 v15, v15, 4 clamp
	s_delay_alu instid0(VALU_DEP_1) | instskip(SKIP_1) | instid1(VALU_DEP_2)
	v_lshlrev_b32_e32 v16, v15, v1
	v_lshlrev_b32_e32 v15, 23, v15
	v_lshrrev_b32_e32 v16, 4, v16
	s_delay_alu instid0(VALU_DEP_1) | instskip(SKIP_1) | instid1(VALU_DEP_2)
	v_sub_nc_u32_e32 v15, v16, v15
	v_ashrrev_i32_e32 v16, 8, v17
	v_add_nc_u32_e32 v15, 0x3c000000, v15
	s_delay_alu instid0(VALU_DEP_1) | instskip(NEXT) | instid1(VALU_DEP_1)
	v_and_or_b32 v15, 0x7f800000, v16, v15
	v_cndmask_b32_e32 v1, 0, v15, vcc_lo
	s_delay_alu instid0(VALU_DEP_1)
	v_and_or_b32 v15, 0x80000000, v0, v1
.LBB47_3305:                            ;   in Loop: Header=BB47_17 Depth=1
	s_or_b32 exec_lo, exec_lo, s60
                                        ; implicit-def: $vgpr0_vgpr1
.LBB47_3306:                            ;   in Loop: Header=BB47_17 Depth=1
	s_and_not1_saveexec_b32 s59, s59
	s_cbranch_execz .LBB47_3308
; %bb.3307:                             ;   in Loop: Header=BB47_17 Depth=1
	flat_load_u8 v0, v[0:1]
	s_waitcnt vmcnt(0) lgkmcnt(0)
	v_lshlrev_b32_e32 v1, 25, v0
	v_lshlrev_b16 v0, 8, v0
	s_delay_alu instid0(VALU_DEP_2) | instskip(NEXT) | instid1(VALU_DEP_2)
	v_lshrrev_b32_e32 v15, 4, v1
	v_and_or_b32 v16, 0x7f00, v0, 0.5
	v_cmp_gt_u32_e32 vcc_lo, 0x8000000, v1
	v_bfe_i32 v0, v0, 0, 16
	s_delay_alu instid0(VALU_DEP_4) | instskip(NEXT) | instid1(VALU_DEP_1)
	v_or_b32_e32 v15, 0x70000000, v15
	v_dual_add_f32 v16, -0.5, v16 :: v_dual_mul_f32 v15, 0x7800000, v15
	s_delay_alu instid0(VALU_DEP_1) | instskip(NEXT) | instid1(VALU_DEP_1)
	v_cndmask_b32_e32 v1, v15, v16, vcc_lo
	v_and_or_b32 v15, 0x80000000, v0, v1
.LBB47_3308:                            ;   in Loop: Header=BB47_17 Depth=1
	s_or_b32 exec_lo, exec_lo, s59
	s_delay_alu instid0(SALU_CYCLE_1)
	s_or_b32 s59, s56, exec_lo
                                        ; implicit-def: $vgpr16
                                        ; implicit-def: $vgpr0_vgpr1
.LBB47_3309:                            ;   in Loop: Header=BB47_17 Depth=1
	s_or_saveexec_b32 s58, s58
                                        ; implicit-def: $sgpr60
                                        ; implicit-def: $vcc_lo
	s_delay_alu instid0(SALU_CYCLE_1)
	s_xor_b32 exec_lo, exec_lo, s58
	s_cbranch_execz .LBB47_3319
; %bb.3310:                             ;   in Loop: Header=BB47_17 Depth=1
	s_mov_b32 s61, s59
	s_mov_b32 s63, exec_lo
                                        ; implicit-def: $sgpr62
                                        ; implicit-def: $sgpr60
                                        ; implicit-def: $vgpr15
	v_cmpx_lt_i16_e32 14, v16
	s_xor_b32 s63, exec_lo, s63
	s_cbranch_execz .LBB47_3314
; %bb.3311:                             ;   in Loop: Header=BB47_17 Depth=1
	s_mov_b32 s61, s59
	s_mov_b32 s60, exec_lo
                                        ; implicit-def: $vgpr15
	v_cmpx_eq_u16_e32 15, v16
	s_cbranch_execz .LBB47_3313
; %bb.3312:                             ;   in Loop: Header=BB47_17 Depth=1
	flat_load_u16 v0, v[0:1]
	s_or_b32 s61, s59, exec_lo
	s_waitcnt vmcnt(0) lgkmcnt(0)
	v_lshlrev_b32_e32 v15, 16, v0
.LBB47_3313:                            ;   in Loop: Header=BB47_17 Depth=1
	s_or_b32 exec_lo, exec_lo, s60
	s_delay_alu instid0(SALU_CYCLE_1)
	s_and_not1_b32 vcc_lo, s59, exec_lo
	s_and_b32 s61, s61, exec_lo
	s_mov_b32 s60, 0
	s_mov_b32 s62, -1
	s_or_b32 s61, vcc_lo, s61
                                        ; implicit-def: $vgpr16
                                        ; implicit-def: $vgpr0_vgpr1
.LBB47_3314:                            ;   in Loop: Header=BB47_17 Depth=1
	s_and_not1_saveexec_b32 s63, s63
	s_cbranch_execz .LBB47_3318
; %bb.3315:                             ;   in Loop: Header=BB47_17 Depth=1
	s_mov_b32 s64, s61
	s_mov_b32 s65, exec_lo
                                        ; implicit-def: $vgpr15
	v_cmpx_eq_u16_e32 11, v16
	s_cbranch_execz .LBB47_3317
; %bb.3316:                             ;   in Loop: Header=BB47_17 Depth=1
	flat_load_u8 v0, v[0:1]
	s_or_b32 s64, s61, exec_lo
	s_waitcnt vmcnt(0) lgkmcnt(0)
	v_cmp_ne_u16_e32 vcc_lo, 0, v0
	v_cndmask_b32_e64 v15, 0, 1.0, vcc_lo
.LBB47_3317:                            ;   in Loop: Header=BB47_17 Depth=1
	s_or_b32 exec_lo, exec_lo, s65
	s_delay_alu instid0(SALU_CYCLE_1)
	s_and_not1_b32 vcc_lo, s61, exec_lo
	s_and_b32 s61, s64, exec_lo
	s_or_b32 s62, s62, exec_lo
	s_and_not1_b32 s60, s60, exec_lo
	s_or_b32 s61, vcc_lo, s61
.LBB47_3318:                            ;   in Loop: Header=BB47_17 Depth=1
	s_or_b32 exec_lo, exec_lo, s63
	s_delay_alu instid0(SALU_CYCLE_1)
	s_and_not1_b32 s59, s59, exec_lo
	s_and_b32 s61, s61, exec_lo
	s_and_b32 vcc_lo, s62, exec_lo
	s_and_b32 s60, s60, exec_lo
	s_or_b32 s59, s59, s61
.LBB47_3319:                            ;   in Loop: Header=BB47_17 Depth=1
	s_or_b32 exec_lo, exec_lo, s58
	s_delay_alu instid0(SALU_CYCLE_1)
	s_and_not1_b32 s55, s55, exec_lo
	s_and_b32 vcc_lo, vcc_lo, exec_lo
	s_and_not1_b32 s56, s56, exec_lo
	s_or_b32 s55, s55, vcc_lo
	s_and_not1_b32 vcc_lo, s57, exec_lo
	s_and_b32 s57, s60, exec_lo
	s_and_b32 s58, s59, exec_lo
	s_or_b32 s57, vcc_lo, s57
	s_or_b32 s56, s56, s58
.LBB47_3320:                            ;   in Loop: Header=BB47_17 Depth=1
	s_or_b32 exec_lo, exec_lo, s54
	s_delay_alu instid0(SALU_CYCLE_1)
	s_and_b32 s55, s55, exec_lo
	s_and_b32 s54, s57, exec_lo
	;; [unrolled: 1-line block ×3, first 2 shown]
                                        ; implicit-def: $vgpr16
                                        ; implicit-def: $vgpr0_vgpr1
	s_and_not1_saveexec_b32 s53, s53
	s_cbranch_execz .LBB47_3237
.LBB47_3321:                            ;   in Loop: Header=BB47_17 Depth=1
	s_mov_b32 s57, exec_lo
                                        ; implicit-def: $vgpr15
	v_cmpx_lt_i16_e32 4, v16
	s_xor_b32 s57, exec_lo, s57
	s_cbranch_execz .LBB47_3343
; %bb.3322:                             ;   in Loop: Header=BB47_17 Depth=1
	s_mov_b32 s58, exec_lo
                                        ; implicit-def: $vgpr15
	v_cmpx_lt_i16_e32 7, v16
	s_xor_b32 s58, exec_lo, s58
	s_cbranch_execz .LBB47_3332
; %bb.3323:                             ;   in Loop: Header=BB47_17 Depth=1
	;; [unrolled: 6-line block ×3, first 2 shown]
	v_cmp_lt_i16_e32 vcc_lo, 9, v16
                                        ; implicit-def: $vgpr15
	s_and_saveexec_b32 s60, vcc_lo
	s_delay_alu instid0(SALU_CYCLE_1)
	s_xor_b32 vcc_lo, exec_lo, s60
	s_cbranch_execz .LBB47_3326
; %bb.3325:                             ;   in Loop: Header=BB47_17 Depth=1
	flat_load_b64 v[0:1], v[0:1]
	s_waitcnt vmcnt(0) lgkmcnt(0)
	v_cvt_f32_f64_e32 v15, v[0:1]
                                        ; implicit-def: $vgpr0_vgpr1
.LBB47_3326:                            ;   in Loop: Header=BB47_17 Depth=1
	s_and_not1_saveexec_b32 vcc_lo, vcc_lo
	s_cbranch_execz .LBB47_3328
; %bb.3327:                             ;   in Loop: Header=BB47_17 Depth=1
	flat_load_b32 v15, v[0:1]
.LBB47_3328:                            ;   in Loop: Header=BB47_17 Depth=1
	s_or_b32 exec_lo, exec_lo, vcc_lo
                                        ; implicit-def: $vgpr0_vgpr1
.LBB47_3329:                            ;   in Loop: Header=BB47_17 Depth=1
	s_and_not1_saveexec_b32 vcc_lo, s59
	s_cbranch_execz .LBB47_3331
; %bb.3330:                             ;   in Loop: Header=BB47_17 Depth=1
	flat_load_b32 v0, v[0:1]
	s_waitcnt vmcnt(0) lgkmcnt(0)
	v_cvt_f32_f16_e32 v15, v0
.LBB47_3331:                            ;   in Loop: Header=BB47_17 Depth=1
	s_or_b32 exec_lo, exec_lo, vcc_lo
                                        ; implicit-def: $vgpr0_vgpr1
                                        ; implicit-def: $vgpr16
.LBB47_3332:                            ;   in Loop: Header=BB47_17 Depth=1
	s_and_not1_saveexec_b32 s58, s58
	s_cbranch_execz .LBB47_3342
; %bb.3333:                             ;   in Loop: Header=BB47_17 Depth=1
	s_mov_b32 s59, exec_lo
                                        ; implicit-def: $vgpr15
	v_cmpx_lt_i16_e32 5, v16
	s_xor_b32 s59, exec_lo, s59
	s_cbranch_execz .LBB47_3339
; %bb.3334:                             ;   in Loop: Header=BB47_17 Depth=1
	v_cmp_lt_i16_e32 vcc_lo, 6, v16
                                        ; implicit-def: $vgpr15
	s_and_saveexec_b32 s60, vcc_lo
	s_delay_alu instid0(SALU_CYCLE_1)
	s_xor_b32 vcc_lo, exec_lo, s60
	s_cbranch_execz .LBB47_3336
; %bb.3335:                             ;   in Loop: Header=BB47_17 Depth=1
	flat_load_b64 v[0:1], v[0:1]
	s_waitcnt vmcnt(0) lgkmcnt(0)
	v_cvt_f32_f64_e32 v15, v[0:1]
                                        ; implicit-def: $vgpr0_vgpr1
.LBB47_3336:                            ;   in Loop: Header=BB47_17 Depth=1
	s_and_not1_saveexec_b32 vcc_lo, vcc_lo
	s_cbranch_execz .LBB47_3338
; %bb.3337:                             ;   in Loop: Header=BB47_17 Depth=1
	s_waitcnt vmcnt(0) lgkmcnt(0)
	flat_load_b32 v15, v[0:1]
.LBB47_3338:                            ;   in Loop: Header=BB47_17 Depth=1
	s_or_b32 exec_lo, exec_lo, vcc_lo
                                        ; implicit-def: $vgpr0_vgpr1
.LBB47_3339:                            ;   in Loop: Header=BB47_17 Depth=1
	s_and_not1_saveexec_b32 vcc_lo, s59
	s_cbranch_execz .LBB47_3341
; %bb.3340:                             ;   in Loop: Header=BB47_17 Depth=1
	flat_load_u16 v0, v[0:1]
	s_waitcnt vmcnt(0) lgkmcnt(0)
	v_cvt_f32_f16_e32 v15, v0
.LBB47_3341:                            ;   in Loop: Header=BB47_17 Depth=1
	s_or_b32 exec_lo, exec_lo, vcc_lo
.LBB47_3342:                            ;   in Loop: Header=BB47_17 Depth=1
	s_delay_alu instid0(SALU_CYCLE_1)
	s_or_b32 exec_lo, exec_lo, s58
                                        ; implicit-def: $vgpr16
                                        ; implicit-def: $vgpr0_vgpr1
.LBB47_3343:                            ;   in Loop: Header=BB47_17 Depth=1
	s_and_not1_saveexec_b32 s57, s57
	s_cbranch_execz .LBB47_3361
; %bb.3344:                             ;   in Loop: Header=BB47_17 Depth=1
	s_mov_b32 s58, exec_lo
                                        ; implicit-def: $vgpr15
	v_cmpx_lt_i16_e32 1, v16
	s_xor_b32 s58, exec_lo, s58
	s_cbranch_execz .LBB47_3354
; %bb.3345:                             ;   in Loop: Header=BB47_17 Depth=1
	s_mov_b32 s59, exec_lo
                                        ; implicit-def: $vgpr15
	v_cmpx_lt_i16_e32 2, v16
	s_xor_b32 s59, exec_lo, s59
	s_cbranch_execz .LBB47_3351
; %bb.3346:                             ;   in Loop: Header=BB47_17 Depth=1
	v_cmp_lt_i16_e32 vcc_lo, 3, v16
                                        ; implicit-def: $vgpr15
	s_and_saveexec_b32 s60, vcc_lo
	s_delay_alu instid0(SALU_CYCLE_1)
	s_xor_b32 vcc_lo, exec_lo, s60
	s_cbranch_execz .LBB47_3348
; %bb.3347:                             ;   in Loop: Header=BB47_17 Depth=1
	flat_load_b64 v[0:1], v[0:1]
	s_waitcnt vmcnt(0) lgkmcnt(0)
	v_xor_b32_e32 v15, v0, v1
	v_cls_i32_e32 v16, v1
	s_delay_alu instid0(VALU_DEP_2) | instskip(NEXT) | instid1(VALU_DEP_2)
	v_ashrrev_i32_e32 v15, 31, v15
	v_add_nc_u32_e32 v16, -1, v16
	s_delay_alu instid0(VALU_DEP_2) | instskip(NEXT) | instid1(VALU_DEP_1)
	v_add_nc_u32_e32 v15, 32, v15
	v_min_u32_e32 v15, v16, v15
	s_delay_alu instid0(VALU_DEP_1) | instskip(NEXT) | instid1(VALU_DEP_1)
	v_lshlrev_b64 v[0:1], v15, v[0:1]
	v_min_u32_e32 v0, 1, v0
	s_delay_alu instid0(VALU_DEP_1) | instskip(SKIP_1) | instid1(VALU_DEP_2)
	v_or_b32_e32 v0, v1, v0
	v_sub_nc_u32_e32 v1, 32, v15
	v_cvt_f32_i32_e32 v0, v0
	s_delay_alu instid0(VALU_DEP_1)
	v_ldexp_f32 v15, v0, v1
                                        ; implicit-def: $vgpr0_vgpr1
.LBB47_3348:                            ;   in Loop: Header=BB47_17 Depth=1
	s_and_not1_saveexec_b32 vcc_lo, vcc_lo
	s_cbranch_execz .LBB47_3350
; %bb.3349:                             ;   in Loop: Header=BB47_17 Depth=1
	flat_load_b32 v0, v[0:1]
	s_waitcnt vmcnt(0) lgkmcnt(0)
	v_cvt_f32_i32_e32 v15, v0
.LBB47_3350:                            ;   in Loop: Header=BB47_17 Depth=1
	s_or_b32 exec_lo, exec_lo, vcc_lo
                                        ; implicit-def: $vgpr0_vgpr1
.LBB47_3351:                            ;   in Loop: Header=BB47_17 Depth=1
	s_and_not1_saveexec_b32 vcc_lo, s59
	s_cbranch_execz .LBB47_3353
; %bb.3352:                             ;   in Loop: Header=BB47_17 Depth=1
	flat_load_i16 v0, v[0:1]
	s_waitcnt vmcnt(0) lgkmcnt(0)
	v_cvt_f32_i32_e32 v15, v0
.LBB47_3353:                            ;   in Loop: Header=BB47_17 Depth=1
	s_or_b32 exec_lo, exec_lo, vcc_lo
                                        ; implicit-def: $vgpr0_vgpr1
                                        ; implicit-def: $vgpr16
.LBB47_3354:                            ;   in Loop: Header=BB47_17 Depth=1
	s_and_not1_saveexec_b32 s58, s58
	s_cbranch_execz .LBB47_3360
; %bb.3355:                             ;   in Loop: Header=BB47_17 Depth=1
	v_cmp_lt_i16_e32 vcc_lo, 0, v16
                                        ; implicit-def: $vgpr15
	s_and_saveexec_b32 s59, vcc_lo
	s_delay_alu instid0(SALU_CYCLE_1)
	s_xor_b32 vcc_lo, exec_lo, s59
	s_cbranch_execz .LBB47_3357
; %bb.3356:                             ;   in Loop: Header=BB47_17 Depth=1
	flat_load_i8 v0, v[0:1]
	s_waitcnt vmcnt(0) lgkmcnt(0)
	v_cvt_f32_i32_e32 v15, v0
                                        ; implicit-def: $vgpr0_vgpr1
.LBB47_3357:                            ;   in Loop: Header=BB47_17 Depth=1
	s_and_not1_saveexec_b32 vcc_lo, vcc_lo
	s_cbranch_execz .LBB47_3359
; %bb.3358:                             ;   in Loop: Header=BB47_17 Depth=1
	flat_load_u8 v0, v[0:1]
	s_waitcnt vmcnt(0) lgkmcnt(0)
	v_cvt_f32_ubyte0_e32 v15, v0
.LBB47_3359:                            ;   in Loop: Header=BB47_17 Depth=1
	s_or_b32 exec_lo, exec_lo, vcc_lo
.LBB47_3360:                            ;   in Loop: Header=BB47_17 Depth=1
	s_delay_alu instid0(SALU_CYCLE_1)
	s_or_b32 exec_lo, exec_lo, s58
.LBB47_3361:                            ;   in Loop: Header=BB47_17 Depth=1
	s_delay_alu instid0(SALU_CYCLE_1) | instskip(NEXT) | instid1(SALU_CYCLE_1)
	s_or_b32 exec_lo, exec_lo, s57
	s_and_not1_b32 s55, s55, exec_lo
	s_and_not1_b32 s54, s54, exec_lo
	s_or_b32 s56, s56, exec_lo
	s_or_b32 exec_lo, exec_lo, s53
	s_mov_b32 vcc_lo, 0
	s_and_saveexec_b32 s53, s56
	s_cbranch_execnz .LBB47_3238
	s_branch .LBB47_3239
.LBB47_3362:                            ;   in Loop: Header=BB47_17 Depth=1
	s_mov_b32 s53, exec_lo
                                        ; implicit-def: $sgpr57
                                        ; implicit-def: $sgpr54
                                        ; implicit-def: $vgpr16
	v_cmpx_lt_i16_e32 25, v7
	s_xor_b32 s53, exec_lo, s53
	s_cbranch_execz .LBB47_3394
; %bb.3363:                             ;   in Loop: Header=BB47_17 Depth=1
	s_mov_b32 s54, exec_lo
                                        ; implicit-def: $sgpr57
                                        ; implicit-def: $sgpr58
                                        ; implicit-def: $vgpr16
	v_cmpx_lt_i16_e32 28, v7
	s_xor_b32 s54, exec_lo, s54
	s_cbranch_execz .LBB47_3379
; %bb.3364:                             ;   in Loop: Header=BB47_17 Depth=1
	s_mov_b32 s59, 0
	s_mov_b32 s56, exec_lo
                                        ; implicit-def: $sgpr57
                                        ; implicit-def: $sgpr58
                                        ; implicit-def: $vgpr16
	v_cmpx_lt_i16_e32 43, v7
	s_xor_b32 s56, exec_lo, s56
	s_cbranch_execz .LBB47_3374
; %bb.3365:                             ;   in Loop: Header=BB47_17 Depth=1
	s_mov_b32 s58, exec_lo
                                        ; implicit-def: $sgpr57
                                        ; implicit-def: $sgpr60
                                        ; implicit-def: $vgpr16
	v_cmpx_lt_i16_e32 45, v7
	s_xor_b32 s58, exec_lo, s58
	s_cbranch_execz .LBB47_3369
; %bb.3366:                             ;   in Loop: Header=BB47_17 Depth=1
	s_mov_b32 s57, 0
	s_mov_b32 s60, exec_lo
                                        ; implicit-def: $vgpr16
	v_cmpx_eq_u16_e32 46, v7
	s_cbranch_execz .LBB47_3368
; %bb.3367:                             ;   in Loop: Header=BB47_17 Depth=1
	flat_load_b32 v0, v[0:1]
	s_mov_b32 s59, exec_lo
	s_waitcnt vmcnt(0) lgkmcnt(0)
	v_lshlrev_b32_e32 v16, 16, v0
.LBB47_3368:                            ;   in Loop: Header=BB47_17 Depth=1
	s_or_b32 exec_lo, exec_lo, s60
	s_mov_b32 s60, -1
	s_and_b32 s59, s59, exec_lo
                                        ; implicit-def: $vgpr0_vgpr1
.LBB47_3369:                            ;   in Loop: Header=BB47_17 Depth=1
	s_and_not1_saveexec_b32 s58, s58
	s_cbranch_execz .LBB47_3373
; %bb.3370:                             ;   in Loop: Header=BB47_17 Depth=1
	s_mov_b32 s62, s59
	s_mov_b32 s61, exec_lo
                                        ; implicit-def: $vgpr16
	v_cmpx_eq_u16_e32 44, v7
	s_cbranch_execz .LBB47_3372
; %bb.3371:                             ;   in Loop: Header=BB47_17 Depth=1
	flat_load_u8 v0, v[0:1]
	s_or_b32 s62, s59, exec_lo
	s_waitcnt vmcnt(0) lgkmcnt(0)
	v_lshlrev_b32_e32 v1, 23, v0
	v_cmp_ne_u32_e32 vcc_lo, 0xff, v0
	s_delay_alu instid0(VALU_DEP_2) | instskip(SKIP_1) | instid1(VALU_DEP_2)
	v_cndmask_b32_e32 v1, 0x7f800001, v1, vcc_lo
	v_cmp_ne_u32_e32 vcc_lo, 0, v0
	v_cndmask_b32_e32 v16, 0x400000, v1, vcc_lo
.LBB47_3372:                            ;   in Loop: Header=BB47_17 Depth=1
	s_or_b32 exec_lo, exec_lo, s61
	s_delay_alu instid0(SALU_CYCLE_1)
	s_and_not1_b32 vcc_lo, s59, exec_lo
	s_and_b32 s59, s62, exec_lo
	s_and_not1_b32 s57, s57, exec_lo
	s_or_b32 s60, s60, exec_lo
	s_or_b32 s59, vcc_lo, s59
.LBB47_3373:                            ;   in Loop: Header=BB47_17 Depth=1
	s_or_b32 exec_lo, exec_lo, s58
	s_delay_alu instid0(SALU_CYCLE_1)
	s_and_b32 s58, s57, exec_lo
	s_and_b32 s57, s60, exec_lo
	;; [unrolled: 1-line block ×3, first 2 shown]
                                        ; implicit-def: $vgpr0_vgpr1
.LBB47_3374:                            ;   in Loop: Header=BB47_17 Depth=1
	s_and_not1_saveexec_b32 s56, s56
	s_cbranch_execz .LBB47_3378
; %bb.3375:                             ;   in Loop: Header=BB47_17 Depth=1
	s_mov_b32 s61, s59
	s_mov_b32 s60, exec_lo
                                        ; implicit-def: $vgpr16
	v_cmpx_eq_u16_e32 29, v7
	s_cbranch_execz .LBB47_3377
; %bb.3376:                             ;   in Loop: Header=BB47_17 Depth=1
	flat_load_b64 v[0:1], v[0:1]
	s_or_b32 s61, s59, exec_lo
	s_waitcnt vmcnt(0) lgkmcnt(0)
	v_clz_i32_u32_e32 v14, v1
	s_delay_alu instid0(VALU_DEP_1) | instskip(NEXT) | instid1(VALU_DEP_1)
	v_min_u32_e32 v14, 32, v14
	v_lshlrev_b64 v[0:1], v14, v[0:1]
	s_delay_alu instid0(VALU_DEP_1) | instskip(NEXT) | instid1(VALU_DEP_1)
	v_min_u32_e32 v0, 1, v0
	v_or_b32_e32 v0, v1, v0
	v_sub_nc_u32_e32 v1, 32, v14
	s_delay_alu instid0(VALU_DEP_2) | instskip(NEXT) | instid1(VALU_DEP_1)
	v_cvt_f32_u32_e32 v0, v0
	v_ldexp_f32 v16, v0, v1
.LBB47_3377:                            ;   in Loop: Header=BB47_17 Depth=1
	s_or_b32 exec_lo, exec_lo, s60
	s_delay_alu instid0(SALU_CYCLE_1)
	s_and_not1_b32 vcc_lo, s59, exec_lo
	s_and_b32 s59, s61, exec_lo
	s_and_not1_b32 s58, s58, exec_lo
	s_or_b32 s57, s57, exec_lo
	s_or_b32 s59, vcc_lo, s59
.LBB47_3378:                            ;   in Loop: Header=BB47_17 Depth=1
	s_or_b32 exec_lo, exec_lo, s56
	s_delay_alu instid0(SALU_CYCLE_1)
	s_and_b32 s58, s58, exec_lo
	s_and_b32 s57, s57, exec_lo
	;; [unrolled: 1-line block ×3, first 2 shown]
                                        ; implicit-def: $vgpr0_vgpr1
.LBB47_3379:                            ;   in Loop: Header=BB47_17 Depth=1
	s_and_not1_saveexec_b32 s54, s54
	s_cbranch_execz .LBB47_3393
; %bb.3380:                             ;   in Loop: Header=BB47_17 Depth=1
	s_mov_b32 s59, exec_lo
                                        ; implicit-def: $vgpr16
	v_cmpx_lt_i16_e32 26, v7
	s_xor_b32 s59, exec_lo, s59
	s_cbranch_execz .LBB47_3386
; %bb.3381:                             ;   in Loop: Header=BB47_17 Depth=1
	v_cmp_lt_i16_e32 vcc_lo, 27, v7
                                        ; implicit-def: $vgpr16
	s_and_saveexec_b32 s60, vcc_lo
	s_delay_alu instid0(SALU_CYCLE_1)
	s_xor_b32 vcc_lo, exec_lo, s60
	s_cbranch_execz .LBB47_3383
; %bb.3382:                             ;   in Loop: Header=BB47_17 Depth=1
	flat_load_b32 v0, v[0:1]
	s_waitcnt vmcnt(0) lgkmcnt(0)
	v_cvt_f32_u32_e32 v16, v0
                                        ; implicit-def: $vgpr0_vgpr1
.LBB47_3383:                            ;   in Loop: Header=BB47_17 Depth=1
	s_and_not1_saveexec_b32 vcc_lo, vcc_lo
	s_cbranch_execz .LBB47_3385
; %bb.3384:                             ;   in Loop: Header=BB47_17 Depth=1
	flat_load_u16 v0, v[0:1]
	s_waitcnt vmcnt(0) lgkmcnt(0)
	v_cvt_f32_u32_e32 v16, v0
.LBB47_3385:                            ;   in Loop: Header=BB47_17 Depth=1
	s_or_b32 exec_lo, exec_lo, vcc_lo
                                        ; implicit-def: $vgpr0_vgpr1
.LBB47_3386:                            ;   in Loop: Header=BB47_17 Depth=1
	s_and_not1_saveexec_b32 s59, s59
	s_cbranch_execz .LBB47_3392
; %bb.3387:                             ;   in Loop: Header=BB47_17 Depth=1
	flat_load_u8 v0, v[0:1]
	s_mov_b32 s60, 0
	s_mov_b32 s62, exec_lo
                                        ; implicit-def: $sgpr61
	s_waitcnt vmcnt(0) lgkmcnt(0)
	v_cmpx_lt_i16_e32 0x7f, v0
	s_xor_b32 s62, exec_lo, s62
	s_cbranch_execnz .LBB47_3630
; %bb.3388:                             ;   in Loop: Header=BB47_17 Depth=1
	s_or_saveexec_b32 s62, s62
	v_mov_b32_e32 v16, s61
	s_xor_b32 exec_lo, exec_lo, s62
	s_cbranch_execnz .LBB47_3633
.LBB47_3389:                            ;   in Loop: Header=BB47_17 Depth=1
	s_or_b32 exec_lo, exec_lo, s62
	s_and_saveexec_b32 s61, s60
	s_cbranch_execz .LBB47_3391
.LBB47_3390:                            ;   in Loop: Header=BB47_17 Depth=1
	v_and_b32_e32 v1, 0xffff, v0
	v_lshlrev_b32_e32 v0, 24, v0
	s_delay_alu instid0(VALU_DEP_2) | instskip(NEXT) | instid1(VALU_DEP_2)
	v_and_b32_e32 v14, 7, v1
	v_and_b32_e32 v0, 0x80000000, v0
	s_delay_alu instid0(VALU_DEP_2) | instskip(NEXT) | instid1(VALU_DEP_1)
	v_clz_i32_u32_e32 v16, v14
	v_min_u32_e32 v16, 32, v16
	s_delay_alu instid0(VALU_DEP_1) | instskip(SKIP_1) | instid1(VALU_DEP_2)
	v_subrev_nc_u32_e32 v17, 28, v16
	v_sub_nc_u32_e32 v16, 29, v16
	v_lshlrev_b32_e32 v17, v17, v1
	v_bfe_u32 v1, v1, 3, 4
	s_delay_alu instid0(VALU_DEP_2) | instskip(NEXT) | instid1(VALU_DEP_2)
	v_and_b32_e32 v17, 7, v17
	v_cmp_eq_u32_e32 vcc_lo, 0, v1
	s_delay_alu instid0(VALU_DEP_2) | instskip(NEXT) | instid1(VALU_DEP_1)
	v_dual_cndmask_b32 v1, v1, v16 :: v_dual_cndmask_b32 v14, v14, v17
	v_lshl_add_u32 v1, v1, 23, 0x3b800000
	s_delay_alu instid0(VALU_DEP_2) | instskip(NEXT) | instid1(VALU_DEP_1)
	v_lshlrev_b32_e32 v14, 20, v14
	v_or3_b32 v16, v0, v1, v14
.LBB47_3391:                            ;   in Loop: Header=BB47_17 Depth=1
	s_or_b32 exec_lo, exec_lo, s61
.LBB47_3392:                            ;   in Loop: Header=BB47_17 Depth=1
	s_delay_alu instid0(SALU_CYCLE_1) | instskip(NEXT) | instid1(SALU_CYCLE_1)
	s_or_b32 exec_lo, exec_lo, s59
	s_and_not1_b32 s58, s58, exec_lo
	s_and_not1_b32 s57, s57, exec_lo
	s_or_b32 s56, s56, exec_lo
.LBB47_3393:                            ;   in Loop: Header=BB47_17 Depth=1
	s_or_b32 exec_lo, exec_lo, s54
	s_delay_alu instid0(SALU_CYCLE_1)
	s_and_b32 s54, s58, exec_lo
	s_and_b32 s57, s57, exec_lo
	;; [unrolled: 1-line block ×3, first 2 shown]
                                        ; implicit-def: $vgpr0_vgpr1
.LBB47_3394:                            ;   in Loop: Header=BB47_17 Depth=1
	s_and_not1_saveexec_b32 s53, s53
	s_cbranch_execz .LBB47_3420
; %bb.3395:                             ;   in Loop: Header=BB47_17 Depth=1
	s_mov_b32 s59, s56
	s_mov_b32 s58, exec_lo
                                        ; implicit-def: $vgpr16
	v_cmpx_lt_i16_e32 22, v7
	s_xor_b32 s58, exec_lo, s58
	s_cbranch_execz .LBB47_3409
; %bb.3396:                             ;   in Loop: Header=BB47_17 Depth=1
	s_mov_b32 s59, exec_lo
                                        ; implicit-def: $vgpr16
	v_cmpx_lt_i16_e32 23, v7
	s_xor_b32 s59, exec_lo, s59
	s_cbranch_execz .LBB47_3406
; %bb.3397:                             ;   in Loop: Header=BB47_17 Depth=1
	;; [unrolled: 6-line block ×3, first 2 shown]
	flat_load_u8 v0, v[0:1]
	s_mov_b32 s61, 0
	s_mov_b32 s63, exec_lo
                                        ; implicit-def: $sgpr62
	s_waitcnt vmcnt(0) lgkmcnt(0)
	v_cmpx_lt_i16_e32 0x7f, v0
	s_xor_b32 s63, exec_lo, s63
	s_cbranch_execnz .LBB47_3638
; %bb.3399:                             ;   in Loop: Header=BB47_17 Depth=1
	s_or_saveexec_b32 s63, s63
	v_mov_b32_e32 v16, s62
	s_xor_b32 exec_lo, exec_lo, s63
	s_cbranch_execnz .LBB47_3641
.LBB47_3400:                            ;   in Loop: Header=BB47_17 Depth=1
	s_or_b32 exec_lo, exec_lo, s63
	s_and_saveexec_b32 s62, s61
	s_cbranch_execz .LBB47_3402
.LBB47_3401:                            ;   in Loop: Header=BB47_17 Depth=1
	v_and_b32_e32 v1, 0xffff, v0
	v_lshlrev_b32_e32 v0, 24, v0
	s_delay_alu instid0(VALU_DEP_2) | instskip(NEXT) | instid1(VALU_DEP_2)
	v_and_b32_e32 v14, 3, v1
	v_and_b32_e32 v0, 0x80000000, v0
	s_delay_alu instid0(VALU_DEP_2) | instskip(NEXT) | instid1(VALU_DEP_1)
	v_clz_i32_u32_e32 v16, v14
	v_min_u32_e32 v16, 32, v16
	s_delay_alu instid0(VALU_DEP_1) | instskip(SKIP_1) | instid1(VALU_DEP_2)
	v_subrev_nc_u32_e32 v17, 29, v16
	v_sub_nc_u32_e32 v16, 30, v16
	v_lshlrev_b32_e32 v17, v17, v1
	v_bfe_u32 v1, v1, 2, 5
	s_delay_alu instid0(VALU_DEP_2) | instskip(NEXT) | instid1(VALU_DEP_2)
	v_and_b32_e32 v17, 3, v17
	v_cmp_eq_u32_e32 vcc_lo, 0, v1
	s_delay_alu instid0(VALU_DEP_2) | instskip(NEXT) | instid1(VALU_DEP_1)
	v_dual_cndmask_b32 v1, v1, v16 :: v_dual_cndmask_b32 v14, v14, v17
	v_lshl_add_u32 v1, v1, 23, 0x37800000
	s_delay_alu instid0(VALU_DEP_2) | instskip(NEXT) | instid1(VALU_DEP_1)
	v_lshlrev_b32_e32 v14, 21, v14
	v_or3_b32 v16, v0, v1, v14
.LBB47_3402:                            ;   in Loop: Header=BB47_17 Depth=1
	s_or_b32 exec_lo, exec_lo, s62
                                        ; implicit-def: $vgpr0_vgpr1
.LBB47_3403:                            ;   in Loop: Header=BB47_17 Depth=1
	s_and_not1_saveexec_b32 s60, s60
	s_cbranch_execz .LBB47_3405
; %bb.3404:                             ;   in Loop: Header=BB47_17 Depth=1
	flat_load_u8 v0, v[0:1]
	s_waitcnt vmcnt(0) lgkmcnt(0)
	v_lshlrev_b32_e32 v0, 24, v0
	s_delay_alu instid0(VALU_DEP_1) | instskip(NEXT) | instid1(VALU_DEP_1)
	v_and_b32_e32 v1, 0x7f000000, v0
	v_clz_i32_u32_e32 v14, v1
	v_add_nc_u32_e32 v17, 0x1000000, v1
	v_cmp_ne_u32_e32 vcc_lo, 0, v1
	s_delay_alu instid0(VALU_DEP_3) | instskip(NEXT) | instid1(VALU_DEP_1)
	v_min_u32_e32 v14, 32, v14
	v_sub_nc_u32_e64 v14, v14, 4 clamp
	s_delay_alu instid0(VALU_DEP_1) | instskip(SKIP_1) | instid1(VALU_DEP_2)
	v_lshlrev_b32_e32 v16, v14, v1
	v_lshlrev_b32_e32 v14, 23, v14
	v_lshrrev_b32_e32 v16, 4, v16
	s_delay_alu instid0(VALU_DEP_1) | instskip(SKIP_1) | instid1(VALU_DEP_2)
	v_sub_nc_u32_e32 v14, v16, v14
	v_ashrrev_i32_e32 v16, 8, v17
	v_add_nc_u32_e32 v14, 0x3c000000, v14
	s_delay_alu instid0(VALU_DEP_1) | instskip(NEXT) | instid1(VALU_DEP_1)
	v_and_or_b32 v14, 0x7f800000, v16, v14
	v_cndmask_b32_e32 v1, 0, v14, vcc_lo
	s_delay_alu instid0(VALU_DEP_1)
	v_and_or_b32 v16, 0x80000000, v0, v1
.LBB47_3405:                            ;   in Loop: Header=BB47_17 Depth=1
	s_or_b32 exec_lo, exec_lo, s60
                                        ; implicit-def: $vgpr0_vgpr1
.LBB47_3406:                            ;   in Loop: Header=BB47_17 Depth=1
	s_and_not1_saveexec_b32 s59, s59
	s_cbranch_execz .LBB47_3408
; %bb.3407:                             ;   in Loop: Header=BB47_17 Depth=1
	flat_load_u8 v0, v[0:1]
	s_waitcnt vmcnt(0) lgkmcnt(0)
	v_lshlrev_b32_e32 v1, 25, v0
	v_lshlrev_b16 v0, 8, v0
	s_delay_alu instid0(VALU_DEP_2) | instskip(NEXT) | instid1(VALU_DEP_2)
	v_lshrrev_b32_e32 v14, 4, v1
	v_and_or_b32 v16, 0x7f00, v0, 0.5
	v_bfe_i32 v0, v0, 0, 16
	s_delay_alu instid0(VALU_DEP_3) | instskip(NEXT) | instid1(VALU_DEP_3)
	v_or_b32_e32 v14, 0x70000000, v14
	v_add_f32_e32 v16, -0.5, v16
	s_delay_alu instid0(VALU_DEP_2) | instskip(SKIP_1) | instid1(VALU_DEP_2)
	v_mul_f32_e32 v14, 0x7800000, v14
	v_cmp_gt_u32_e32 vcc_lo, 0x8000000, v1
	v_cndmask_b32_e32 v1, v14, v16, vcc_lo
	s_delay_alu instid0(VALU_DEP_1)
	v_and_or_b32 v16, 0x80000000, v0, v1
.LBB47_3408:                            ;   in Loop: Header=BB47_17 Depth=1
	s_or_b32 exec_lo, exec_lo, s59
	s_delay_alu instid0(SALU_CYCLE_1)
	s_or_b32 s59, s56, exec_lo
                                        ; implicit-def: $vgpr0_vgpr1
.LBB47_3409:                            ;   in Loop: Header=BB47_17 Depth=1
	s_or_saveexec_b32 s58, s58
                                        ; implicit-def: $sgpr60
                                        ; implicit-def: $vcc_lo
	s_delay_alu instid0(SALU_CYCLE_1)
	s_xor_b32 exec_lo, exec_lo, s58
	s_cbranch_execz .LBB47_3419
; %bb.3410:                             ;   in Loop: Header=BB47_17 Depth=1
	s_mov_b32 s61, s59
	s_mov_b32 s63, exec_lo
                                        ; implicit-def: $sgpr62
                                        ; implicit-def: $sgpr60
                                        ; implicit-def: $vgpr16
	v_cmpx_lt_i16_e32 14, v7
	s_xor_b32 s63, exec_lo, s63
	s_cbranch_execz .LBB47_3414
; %bb.3411:                             ;   in Loop: Header=BB47_17 Depth=1
	s_mov_b32 s61, s59
	s_mov_b32 s60, exec_lo
                                        ; implicit-def: $vgpr16
	v_cmpx_eq_u16_e32 15, v7
	s_cbranch_execz .LBB47_3413
; %bb.3412:                             ;   in Loop: Header=BB47_17 Depth=1
	flat_load_u16 v0, v[0:1]
	s_or_b32 s61, s59, exec_lo
	s_waitcnt vmcnt(0) lgkmcnt(0)
	v_lshlrev_b32_e32 v16, 16, v0
.LBB47_3413:                            ;   in Loop: Header=BB47_17 Depth=1
	s_or_b32 exec_lo, exec_lo, s60
	s_delay_alu instid0(SALU_CYCLE_1)
	s_and_not1_b32 vcc_lo, s59, exec_lo
	s_and_b32 s61, s61, exec_lo
	s_mov_b32 s60, -1
	s_mov_b32 s62, 0
	s_or_b32 s61, vcc_lo, s61
                                        ; implicit-def: $vgpr0_vgpr1
.LBB47_3414:                            ;   in Loop: Header=BB47_17 Depth=1
	s_and_not1_saveexec_b32 s63, s63
	s_cbranch_execz .LBB47_3418
; %bb.3415:                             ;   in Loop: Header=BB47_17 Depth=1
	s_mov_b32 s64, s61
	s_mov_b32 s65, exec_lo
                                        ; implicit-def: $vgpr16
	v_cmpx_eq_u16_e32 11, v7
	s_cbranch_execz .LBB47_3417
; %bb.3416:                             ;   in Loop: Header=BB47_17 Depth=1
	flat_load_u8 v0, v[0:1]
	s_or_b32 s64, s61, exec_lo
	s_waitcnt vmcnt(0) lgkmcnt(0)
	v_cmp_ne_u16_e32 vcc_lo, 0, v0
	v_cndmask_b32_e64 v16, 0, 1.0, vcc_lo
.LBB47_3417:                            ;   in Loop: Header=BB47_17 Depth=1
	s_or_b32 exec_lo, exec_lo, s65
	s_delay_alu instid0(SALU_CYCLE_1)
	s_and_not1_b32 vcc_lo, s61, exec_lo
	s_and_b32 s61, s64, exec_lo
	s_and_not1_b32 s62, s62, exec_lo
	s_or_b32 s60, s60, exec_lo
	s_or_b32 s61, vcc_lo, s61
.LBB47_3418:                            ;   in Loop: Header=BB47_17 Depth=1
	s_or_b32 exec_lo, exec_lo, s63
	s_delay_alu instid0(SALU_CYCLE_1)
	s_and_not1_b32 s59, s59, exec_lo
	s_and_b32 s61, s61, exec_lo
	s_and_b32 vcc_lo, s62, exec_lo
	s_and_b32 s60, s60, exec_lo
	s_or_b32 s59, s59, s61
.LBB47_3419:                            ;   in Loop: Header=BB47_17 Depth=1
	s_or_b32 exec_lo, exec_lo, s58
	s_delay_alu instid0(SALU_CYCLE_1)
	s_and_not1_b32 s54, s54, exec_lo
	s_and_b32 vcc_lo, vcc_lo, exec_lo
	s_and_not1_b32 s56, s56, exec_lo
	s_or_b32 s54, s54, vcc_lo
	s_and_not1_b32 vcc_lo, s57, exec_lo
	s_and_b32 s57, s60, exec_lo
	s_and_b32 s58, s59, exec_lo
	s_or_b32 s57, vcc_lo, s57
	s_or_b32 s56, s56, s58
.LBB47_3420:                            ;   in Loop: Header=BB47_17 Depth=1
	s_or_b32 exec_lo, exec_lo, s53
	s_delay_alu instid0(SALU_CYCLE_1)
	s_and_b32 s54, s54, exec_lo
	s_and_b32 s53, s57, exec_lo
	;; [unrolled: 1-line block ×3, first 2 shown]
                                        ; implicit-def: $vgpr0_vgpr1
	s_and_not1_saveexec_b32 s55, s55
	s_cbranch_execz .LBB47_3245
.LBB47_3421:                            ;   in Loop: Header=BB47_17 Depth=1
	s_mov_b32 s57, exec_lo
                                        ; implicit-def: $vgpr16
	v_cmpx_lt_i16_e32 4, v7
	s_xor_b32 s57, exec_lo, s57
	s_cbranch_execz .LBB47_3443
; %bb.3422:                             ;   in Loop: Header=BB47_17 Depth=1
	s_mov_b32 s58, exec_lo
                                        ; implicit-def: $vgpr16
	v_cmpx_lt_i16_e32 7, v7
	s_xor_b32 s58, exec_lo, s58
	s_cbranch_execz .LBB47_3432
; %bb.3423:                             ;   in Loop: Header=BB47_17 Depth=1
	;; [unrolled: 6-line block ×3, first 2 shown]
	v_cmp_lt_i16_e32 vcc_lo, 9, v7
                                        ; implicit-def: $vgpr16
	s_and_saveexec_b32 s60, vcc_lo
	s_delay_alu instid0(SALU_CYCLE_1)
	s_xor_b32 vcc_lo, exec_lo, s60
	s_cbranch_execz .LBB47_3426
; %bb.3425:                             ;   in Loop: Header=BB47_17 Depth=1
	flat_load_b64 v[0:1], v[0:1]
	s_waitcnt vmcnt(0) lgkmcnt(0)
	v_cvt_f32_f64_e32 v16, v[0:1]
                                        ; implicit-def: $vgpr0_vgpr1
.LBB47_3426:                            ;   in Loop: Header=BB47_17 Depth=1
	s_and_not1_saveexec_b32 vcc_lo, vcc_lo
	s_cbranch_execz .LBB47_3428
; %bb.3427:                             ;   in Loop: Header=BB47_17 Depth=1
	flat_load_b32 v16, v[0:1]
.LBB47_3428:                            ;   in Loop: Header=BB47_17 Depth=1
	s_or_b32 exec_lo, exec_lo, vcc_lo
                                        ; implicit-def: $vgpr0_vgpr1
.LBB47_3429:                            ;   in Loop: Header=BB47_17 Depth=1
	s_and_not1_saveexec_b32 vcc_lo, s59
	s_cbranch_execz .LBB47_3431
; %bb.3430:                             ;   in Loop: Header=BB47_17 Depth=1
	flat_load_b32 v0, v[0:1]
	s_waitcnt vmcnt(0) lgkmcnt(0)
	v_cvt_f32_f16_e32 v16, v0
.LBB47_3431:                            ;   in Loop: Header=BB47_17 Depth=1
	s_or_b32 exec_lo, exec_lo, vcc_lo
                                        ; implicit-def: $vgpr0_vgpr1
.LBB47_3432:                            ;   in Loop: Header=BB47_17 Depth=1
	s_and_not1_saveexec_b32 s58, s58
	s_cbranch_execz .LBB47_3442
; %bb.3433:                             ;   in Loop: Header=BB47_17 Depth=1
	s_mov_b32 s59, exec_lo
                                        ; implicit-def: $vgpr16
	v_cmpx_lt_i16_e32 5, v7
	s_xor_b32 s59, exec_lo, s59
	s_cbranch_execz .LBB47_3439
; %bb.3434:                             ;   in Loop: Header=BB47_17 Depth=1
	v_cmp_lt_i16_e32 vcc_lo, 6, v7
                                        ; implicit-def: $vgpr16
	s_and_saveexec_b32 s60, vcc_lo
	s_delay_alu instid0(SALU_CYCLE_1)
	s_xor_b32 vcc_lo, exec_lo, s60
	s_cbranch_execz .LBB47_3436
; %bb.3435:                             ;   in Loop: Header=BB47_17 Depth=1
	flat_load_b64 v[0:1], v[0:1]
	s_waitcnt vmcnt(0) lgkmcnt(0)
	v_cvt_f32_f64_e32 v16, v[0:1]
                                        ; implicit-def: $vgpr0_vgpr1
.LBB47_3436:                            ;   in Loop: Header=BB47_17 Depth=1
	s_and_not1_saveexec_b32 vcc_lo, vcc_lo
	s_cbranch_execz .LBB47_3438
; %bb.3437:                             ;   in Loop: Header=BB47_17 Depth=1
	s_waitcnt vmcnt(0) lgkmcnt(0)
	flat_load_b32 v16, v[0:1]
.LBB47_3438:                            ;   in Loop: Header=BB47_17 Depth=1
	s_or_b32 exec_lo, exec_lo, vcc_lo
                                        ; implicit-def: $vgpr0_vgpr1
.LBB47_3439:                            ;   in Loop: Header=BB47_17 Depth=1
	s_and_not1_saveexec_b32 vcc_lo, s59
	s_cbranch_execz .LBB47_3441
; %bb.3440:                             ;   in Loop: Header=BB47_17 Depth=1
	flat_load_u16 v0, v[0:1]
	s_waitcnt vmcnt(0) lgkmcnt(0)
	v_cvt_f32_f16_e32 v16, v0
.LBB47_3441:                            ;   in Loop: Header=BB47_17 Depth=1
	s_or_b32 exec_lo, exec_lo, vcc_lo
.LBB47_3442:                            ;   in Loop: Header=BB47_17 Depth=1
	s_delay_alu instid0(SALU_CYCLE_1)
	s_or_b32 exec_lo, exec_lo, s58
                                        ; implicit-def: $vgpr0_vgpr1
.LBB47_3443:                            ;   in Loop: Header=BB47_17 Depth=1
	s_and_not1_saveexec_b32 s57, s57
	s_cbranch_execz .LBB47_3461
; %bb.3444:                             ;   in Loop: Header=BB47_17 Depth=1
	s_mov_b32 s58, exec_lo
                                        ; implicit-def: $vgpr16
	v_cmpx_lt_i16_e32 1, v7
	s_xor_b32 s58, exec_lo, s58
	s_cbranch_execz .LBB47_3454
; %bb.3445:                             ;   in Loop: Header=BB47_17 Depth=1
	s_mov_b32 s59, exec_lo
                                        ; implicit-def: $vgpr16
	v_cmpx_lt_i16_e32 2, v7
	s_xor_b32 s59, exec_lo, s59
	s_cbranch_execz .LBB47_3451
; %bb.3446:                             ;   in Loop: Header=BB47_17 Depth=1
	v_cmp_lt_i16_e32 vcc_lo, 3, v7
                                        ; implicit-def: $vgpr16
	s_and_saveexec_b32 s60, vcc_lo
	s_delay_alu instid0(SALU_CYCLE_1)
	s_xor_b32 vcc_lo, exec_lo, s60
	s_cbranch_execz .LBB47_3448
; %bb.3447:                             ;   in Loop: Header=BB47_17 Depth=1
	flat_load_b64 v[0:1], v[0:1]
	s_waitcnt vmcnt(0) lgkmcnt(0)
	v_xor_b32_e32 v14, v0, v1
	v_cls_i32_e32 v16, v1
	s_delay_alu instid0(VALU_DEP_2) | instskip(NEXT) | instid1(VALU_DEP_2)
	v_ashrrev_i32_e32 v14, 31, v14
	v_add_nc_u32_e32 v16, -1, v16
	s_delay_alu instid0(VALU_DEP_2) | instskip(NEXT) | instid1(VALU_DEP_1)
	v_add_nc_u32_e32 v14, 32, v14
	v_min_u32_e32 v14, v16, v14
	s_delay_alu instid0(VALU_DEP_1) | instskip(NEXT) | instid1(VALU_DEP_1)
	v_lshlrev_b64 v[0:1], v14, v[0:1]
	v_min_u32_e32 v0, 1, v0
	s_delay_alu instid0(VALU_DEP_1) | instskip(SKIP_1) | instid1(VALU_DEP_2)
	v_or_b32_e32 v0, v1, v0
	v_sub_nc_u32_e32 v1, 32, v14
	v_cvt_f32_i32_e32 v0, v0
	s_delay_alu instid0(VALU_DEP_1)
	v_ldexp_f32 v16, v0, v1
                                        ; implicit-def: $vgpr0_vgpr1
.LBB47_3448:                            ;   in Loop: Header=BB47_17 Depth=1
	s_and_not1_saveexec_b32 vcc_lo, vcc_lo
	s_cbranch_execz .LBB47_3450
; %bb.3449:                             ;   in Loop: Header=BB47_17 Depth=1
	flat_load_b32 v0, v[0:1]
	s_waitcnt vmcnt(0) lgkmcnt(0)
	v_cvt_f32_i32_e32 v16, v0
.LBB47_3450:                            ;   in Loop: Header=BB47_17 Depth=1
	s_or_b32 exec_lo, exec_lo, vcc_lo
                                        ; implicit-def: $vgpr0_vgpr1
.LBB47_3451:                            ;   in Loop: Header=BB47_17 Depth=1
	s_and_not1_saveexec_b32 vcc_lo, s59
	s_cbranch_execz .LBB47_3453
; %bb.3452:                             ;   in Loop: Header=BB47_17 Depth=1
	flat_load_i16 v0, v[0:1]
	s_waitcnt vmcnt(0) lgkmcnt(0)
	v_cvt_f32_i32_e32 v16, v0
.LBB47_3453:                            ;   in Loop: Header=BB47_17 Depth=1
	s_or_b32 exec_lo, exec_lo, vcc_lo
                                        ; implicit-def: $vgpr0_vgpr1
.LBB47_3454:                            ;   in Loop: Header=BB47_17 Depth=1
	s_and_not1_saveexec_b32 s58, s58
	s_cbranch_execz .LBB47_3460
; %bb.3455:                             ;   in Loop: Header=BB47_17 Depth=1
	v_cmp_lt_i16_e32 vcc_lo, 0, v7
                                        ; implicit-def: $vgpr16
	s_and_saveexec_b32 s59, vcc_lo
	s_delay_alu instid0(SALU_CYCLE_1)
	s_xor_b32 vcc_lo, exec_lo, s59
	s_cbranch_execz .LBB47_3457
; %bb.3456:                             ;   in Loop: Header=BB47_17 Depth=1
	flat_load_i8 v0, v[0:1]
	s_waitcnt vmcnt(0) lgkmcnt(0)
	v_cvt_f32_i32_e32 v16, v0
                                        ; implicit-def: $vgpr0_vgpr1
.LBB47_3457:                            ;   in Loop: Header=BB47_17 Depth=1
	s_and_not1_saveexec_b32 vcc_lo, vcc_lo
	s_cbranch_execz .LBB47_3459
; %bb.3458:                             ;   in Loop: Header=BB47_17 Depth=1
	flat_load_u8 v0, v[0:1]
	s_waitcnt vmcnt(0) lgkmcnt(0)
	v_cvt_f32_ubyte0_e32 v16, v0
.LBB47_3459:                            ;   in Loop: Header=BB47_17 Depth=1
	s_or_b32 exec_lo, exec_lo, vcc_lo
.LBB47_3460:                            ;   in Loop: Header=BB47_17 Depth=1
	s_delay_alu instid0(SALU_CYCLE_1)
	s_or_b32 exec_lo, exec_lo, s58
.LBB47_3461:                            ;   in Loop: Header=BB47_17 Depth=1
	s_delay_alu instid0(SALU_CYCLE_1) | instskip(NEXT) | instid1(SALU_CYCLE_1)
	s_or_b32 exec_lo, exec_lo, s57
	s_and_not1_b32 s54, s54, exec_lo
	s_and_not1_b32 s53, s53, exec_lo
	s_or_b32 s56, s56, exec_lo
	s_or_b32 exec_lo, exec_lo, s55
	s_mov_b32 vcc_lo, 0
	s_and_saveexec_b32 s55, s56
	s_cbranch_execz .LBB47_3467
.LBB47_3462:                            ;   in Loop: Header=BB47_17 Depth=1
	v_add_nc_u32_e64 v14, s1, s33
	s_mov_b32 s59, 0
	s_mov_b32 s56, exec_lo
                                        ; implicit-def: $sgpr57
                                        ; implicit-def: $sgpr58
	s_delay_alu instid0(VALU_DEP_1) | instskip(SKIP_4) | instid1(VALU_DEP_2)
	v_add_nc_u32_e32 v0, 0x7c, v14
	s_waitcnt vmcnt(0) lgkmcnt(0)
	scratch_store_b32 v0, v16, off
	v_mul_lo_u32 v0, v15, v10
	v_and_b32_e32 v16, 0xff, v8
                                        ; implicit-def: $vgpr15
	v_add_co_u32 v0, vcc_lo, v4, v0
	v_add_co_ci_u32_e32 v1, vcc_lo, 0, v5, vcc_lo
	s_delay_alu instid0(VALU_DEP_3)
	v_cmpx_lt_i16_e32 10, v16
	s_xor_b32 s56, exec_lo, s56
	s_cbranch_execnz .LBB47_3486
; %bb.3463:                             ;   in Loop: Header=BB47_17 Depth=1
	s_and_not1_saveexec_b32 s56, s56
	s_cbranch_execnz .LBB47_3545
.LBB47_3464:                            ;   in Loop: Header=BB47_17 Depth=1
	s_or_b32 exec_lo, exec_lo, s56
	s_mov_b32 vcc_lo, 0
	s_and_saveexec_b32 s56, s59
	s_cbranch_execz .LBB47_3466
.LBB47_3465:                            ;   in Loop: Header=BB47_17 Depth=1
	v_add_nc_u32_e32 v0, 0x78, v14
	v_add_nc_u32_e32 v13, 0x200, v13
	s_mov_b32 vcc_lo, exec_lo
	s_and_not1_b32 s58, s58, exec_lo
	s_and_not1_b32 s57, s57, exec_lo
	s_waitcnt vmcnt(0) lgkmcnt(0)
	scratch_store_b32 v0, v15, off
.LBB47_3466:                            ;   in Loop: Header=BB47_17 Depth=1
	s_or_b32 exec_lo, exec_lo, s56
	s_delay_alu instid0(SALU_CYCLE_1)
	s_and_not1_b32 s54, s54, exec_lo
	s_and_b32 s56, s58, exec_lo
	s_and_not1_b32 s53, s53, exec_lo
	s_and_b32 s57, s57, exec_lo
	s_or_b32 s54, s54, s56
	s_or_b32 s53, s53, s57
	s_and_b32 vcc_lo, vcc_lo, exec_lo
.LBB47_3467:                            ;   in Loop: Header=BB47_17 Depth=1
	s_or_b32 exec_lo, exec_lo, s55
	s_delay_alu instid0(SALU_CYCLE_1)
	s_and_b32 s54, s54, exec_lo
	s_and_b32 s53, s53, exec_lo
	s_or_not1_b32 s55, vcc_lo, exec_lo
.LBB47_3468:                            ;   in Loop: Header=BB47_17 Depth=1
	s_or_b32 exec_lo, exec_lo, s52
	s_and_saveexec_b32 vcc_lo, s55
	s_cbranch_execz .LBB47_1
; %bb.3469:                             ;   in Loop: Header=BB47_17 Depth=1
	s_addk_i32 s1, 0x80
	s_delay_alu instid0(SALU_CYCLE_1)
	s_cmpk_eq_i32 s1, 0x100
	s_cselect_b32 s51, -1, 0
	s_and_not1_b32 s54, s54, exec_lo
	s_and_not1_b32 s53, s53, exec_lo
	s_or_not1_b32 s51, s51, exec_lo
	s_branch .LBB47_1
.LBB47_3470:                            ;   in Loop: Header=BB47_17 Depth=1
	s_mov_b32 s49, -1
	s_mov_b32 s52, exec_lo
                                        ; implicit-def: $sgpr50
	v_cmpx_eq_u16_e32 0x80, v0
; %bb.3471:                             ;   in Loop: Header=BB47_17 Depth=1
	s_mov_b32 s50, 0x7f800001
	s_xor_b32 s49, exec_lo, -1
; %bb.3472:                             ;   in Loop: Header=BB47_17 Depth=1
	s_or_b32 exec_lo, exec_lo, s52
	s_delay_alu instid0(SALU_CYCLE_1)
	s_and_b32 s49, s49, exec_lo
	s_or_saveexec_b32 s51, s51
	v_mov_b32_e32 v15, s50
	s_xor_b32 exec_lo, exec_lo, s51
	s_cbranch_execz .LBB47_2392
.LBB47_3473:                            ;   in Loop: Header=BB47_17 Depth=1
	v_cmp_ne_u16_e32 vcc_lo, 0, v0
	v_mov_b32_e32 v15, 0
	s_and_not1_b32 s49, s49, exec_lo
	s_and_b32 vcc_lo, vcc_lo, exec_lo
	s_delay_alu instid0(SALU_CYCLE_1)
	s_or_b32 s49, s49, vcc_lo
	s_or_b32 exec_lo, exec_lo, s51
	s_and_saveexec_b32 s50, s49
	s_cbranch_execnz .LBB47_2393
	s_branch .LBB47_2394
.LBB47_3474:                            ;   in Loop: Header=BB47_17 Depth=1
	s_mov_b32 s49, -1
	s_mov_b32 s52, exec_lo
                                        ; implicit-def: $sgpr50
	v_cmpx_eq_u16_e32 0x80, v0
; %bb.3475:                             ;   in Loop: Header=BB47_17 Depth=1
	s_mov_b32 s50, 0x7f800001
	s_xor_b32 s49, exec_lo, -1
; %bb.3476:                             ;   in Loop: Header=BB47_17 Depth=1
	s_or_b32 exec_lo, exec_lo, s52
	s_delay_alu instid0(SALU_CYCLE_1)
	s_and_b32 s49, s49, exec_lo
	s_or_saveexec_b32 s51, s51
	v_mov_b32_e32 v16, s50
	s_xor_b32 exec_lo, exec_lo, s51
	s_cbranch_execz .LBB47_2492
.LBB47_3477:                            ;   in Loop: Header=BB47_17 Depth=1
	v_cmp_ne_u16_e32 vcc_lo, 0, v0
	v_mov_b32_e32 v16, 0
	s_and_not1_b32 s49, s49, exec_lo
	s_and_b32 vcc_lo, vcc_lo, exec_lo
	s_delay_alu instid0(SALU_CYCLE_1)
	s_or_b32 s49, s49, vcc_lo
	s_or_b32 exec_lo, exec_lo, s51
	s_and_saveexec_b32 s50, s49
	s_cbranch_execnz .LBB47_2493
	s_branch .LBB47_2494
.LBB47_3478:                            ;   in Loop: Header=BB47_17 Depth=1
	s_mov_b32 s51, -1
	s_mov_b32 s54, exec_lo
                                        ; implicit-def: $sgpr52
	v_cmpx_eq_u16_e32 0x80, v0
; %bb.3479:                             ;   in Loop: Header=BB47_17 Depth=1
	s_mov_b32 s52, 0x7f800001
	s_xor_b32 s51, exec_lo, -1
; %bb.3480:                             ;   in Loop: Header=BB47_17 Depth=1
	s_or_b32 exec_lo, exec_lo, s54
	s_delay_alu instid0(SALU_CYCLE_1)
	s_and_b32 s51, s51, exec_lo
	s_or_saveexec_b32 s53, s53
	v_mov_b32_e32 v15, s52
	s_xor_b32 exec_lo, exec_lo, s53
	s_cbranch_execz .LBB47_2608
.LBB47_3481:                            ;   in Loop: Header=BB47_17 Depth=1
	v_cmp_ne_u16_e32 vcc_lo, 0, v0
	v_mov_b32_e32 v15, 0
	s_and_not1_b32 s51, s51, exec_lo
	s_and_b32 vcc_lo, vcc_lo, exec_lo
	s_delay_alu instid0(SALU_CYCLE_1)
	s_or_b32 s51, s51, vcc_lo
	s_or_b32 exec_lo, exec_lo, s53
	s_and_saveexec_b32 s52, s51
	s_cbranch_execnz .LBB47_2609
	s_branch .LBB47_2610
.LBB47_3482:                            ;   in Loop: Header=BB47_17 Depth=1
	s_mov_b32 s51, -1
	s_mov_b32 s54, exec_lo
                                        ; implicit-def: $sgpr52
	v_cmpx_eq_u16_e32 0x80, v0
; %bb.3483:                             ;   in Loop: Header=BB47_17 Depth=1
	s_mov_b32 s52, 0x7f800001
	s_xor_b32 s51, exec_lo, -1
; %bb.3484:                             ;   in Loop: Header=BB47_17 Depth=1
	s_or_b32 exec_lo, exec_lo, s54
	s_delay_alu instid0(SALU_CYCLE_1)
	s_and_b32 s51, s51, exec_lo
	s_or_saveexec_b32 s53, s53
	v_mov_b32_e32 v16, s52
	s_xor_b32 exec_lo, exec_lo, s53
	s_cbranch_execz .LBB47_2708
.LBB47_3485:                            ;   in Loop: Header=BB47_17 Depth=1
	v_cmp_ne_u16_e32 vcc_lo, 0, v0
	v_mov_b32_e32 v16, 0
	s_and_not1_b32 s51, s51, exec_lo
	s_and_b32 vcc_lo, vcc_lo, exec_lo
	s_delay_alu instid0(SALU_CYCLE_1)
	s_or_b32 s51, s51, vcc_lo
	s_or_b32 exec_lo, exec_lo, s53
	s_and_saveexec_b32 s52, s51
	s_cbranch_execnz .LBB47_2709
	s_branch .LBB47_2710
.LBB47_3486:                            ;   in Loop: Header=BB47_17 Depth=1
	s_mov_b32 s57, exec_lo
                                        ; implicit-def: $sgpr60
                                        ; implicit-def: $sgpr58
                                        ; implicit-def: $vgpr15
	v_cmpx_lt_i16_e32 25, v16
	s_xor_b32 s57, exec_lo, s57
	s_cbranch_execz .LBB47_3518
; %bb.3487:                             ;   in Loop: Header=BB47_17 Depth=1
	s_mov_b32 s58, exec_lo
                                        ; implicit-def: $sgpr60
                                        ; implicit-def: $sgpr61
                                        ; implicit-def: $vgpr15
	v_cmpx_lt_i16_e32 28, v16
	s_xor_b32 s58, exec_lo, s58
	s_cbranch_execz .LBB47_3503
; %bb.3488:                             ;   in Loop: Header=BB47_17 Depth=1
	s_mov_b32 s62, 0
	s_mov_b32 s59, exec_lo
                                        ; implicit-def: $sgpr60
                                        ; implicit-def: $sgpr61
                                        ; implicit-def: $vgpr15
	v_cmpx_lt_i16_e32 43, v16
	s_xor_b32 s59, exec_lo, s59
	s_cbranch_execz .LBB47_3498
; %bb.3489:                             ;   in Loop: Header=BB47_17 Depth=1
	s_mov_b32 s63, exec_lo
                                        ; implicit-def: $sgpr61
                                        ; implicit-def: $sgpr60
                                        ; implicit-def: $vgpr15
	v_cmpx_lt_i16_e32 45, v16
	s_xor_b32 s63, exec_lo, s63
	s_cbranch_execz .LBB47_3493
; %bb.3490:                             ;   in Loop: Header=BB47_17 Depth=1
	s_mov_b32 s60, 0
	s_mov_b32 s61, exec_lo
                                        ; implicit-def: $vgpr15
	v_cmpx_eq_u16_e32 46, v16
	s_cbranch_execz .LBB47_3492
; %bb.3491:                             ;   in Loop: Header=BB47_17 Depth=1
	flat_load_b32 v0, v[0:1]
	s_mov_b32 s62, exec_lo
	s_waitcnt vmcnt(0) lgkmcnt(0)
	v_lshlrev_b32_e32 v15, 16, v0
.LBB47_3492:                            ;   in Loop: Header=BB47_17 Depth=1
	s_or_b32 exec_lo, exec_lo, s61
	s_mov_b32 s61, -1
	s_and_b32 s62, s62, exec_lo
                                        ; implicit-def: $vgpr16
                                        ; implicit-def: $vgpr0_vgpr1
.LBB47_3493:                            ;   in Loop: Header=BB47_17 Depth=1
	s_and_not1_saveexec_b32 s63, s63
	s_cbranch_execz .LBB47_3497
; %bb.3494:                             ;   in Loop: Header=BB47_17 Depth=1
	s_mov_b32 s65, s62
	s_mov_b32 s64, exec_lo
                                        ; implicit-def: $vgpr15
	v_cmpx_eq_u16_e32 44, v16
	s_cbranch_execz .LBB47_3496
; %bb.3495:                             ;   in Loop: Header=BB47_17 Depth=1
	flat_load_u8 v0, v[0:1]
	s_or_b32 s65, s62, exec_lo
	s_waitcnt vmcnt(0) lgkmcnt(0)
	v_lshlrev_b32_e32 v1, 23, v0
	v_cmp_ne_u32_e32 vcc_lo, 0xff, v0
	s_delay_alu instid0(VALU_DEP_2) | instskip(SKIP_1) | instid1(VALU_DEP_2)
	v_cndmask_b32_e32 v1, 0x7f800001, v1, vcc_lo
	v_cmp_ne_u32_e32 vcc_lo, 0, v0
	v_cndmask_b32_e32 v15, 0x400000, v1, vcc_lo
.LBB47_3496:                            ;   in Loop: Header=BB47_17 Depth=1
	s_or_b32 exec_lo, exec_lo, s64
	s_delay_alu instid0(SALU_CYCLE_1)
	s_and_not1_b32 vcc_lo, s62, exec_lo
	s_and_b32 s62, s65, exec_lo
	s_or_b32 s61, s61, exec_lo
	s_and_not1_b32 s60, s60, exec_lo
	s_or_b32 s62, vcc_lo, s62
.LBB47_3497:                            ;   in Loop: Header=BB47_17 Depth=1
	s_or_b32 exec_lo, exec_lo, s63
	s_delay_alu instid0(SALU_CYCLE_1)
	s_and_b32 s61, s61, exec_lo
	s_and_b32 s60, s60, exec_lo
	;; [unrolled: 1-line block ×3, first 2 shown]
                                        ; implicit-def: $vgpr16
                                        ; implicit-def: $vgpr0_vgpr1
.LBB47_3498:                            ;   in Loop: Header=BB47_17 Depth=1
	s_and_not1_saveexec_b32 s59, s59
	s_cbranch_execz .LBB47_3502
; %bb.3499:                             ;   in Loop: Header=BB47_17 Depth=1
	s_mov_b32 s64, s62
	s_mov_b32 s63, exec_lo
                                        ; implicit-def: $vgpr15
	v_cmpx_eq_u16_e32 29, v16
	s_cbranch_execz .LBB47_3501
; %bb.3500:                             ;   in Loop: Header=BB47_17 Depth=1
	flat_load_b64 v[0:1], v[0:1]
	s_or_b32 s64, s62, exec_lo
	s_waitcnt vmcnt(0) lgkmcnt(0)
	v_clz_i32_u32_e32 v15, v1
	s_delay_alu instid0(VALU_DEP_1) | instskip(NEXT) | instid1(VALU_DEP_1)
	v_min_u32_e32 v15, 32, v15
	v_lshlrev_b64 v[0:1], v15, v[0:1]
	s_delay_alu instid0(VALU_DEP_1) | instskip(NEXT) | instid1(VALU_DEP_1)
	v_min_u32_e32 v0, 1, v0
	v_or_b32_e32 v0, v1, v0
	v_sub_nc_u32_e32 v1, 32, v15
	s_delay_alu instid0(VALU_DEP_2) | instskip(NEXT) | instid1(VALU_DEP_1)
	v_cvt_f32_u32_e32 v0, v0
	v_ldexp_f32 v15, v0, v1
.LBB47_3501:                            ;   in Loop: Header=BB47_17 Depth=1
	s_or_b32 exec_lo, exec_lo, s63
	s_delay_alu instid0(SALU_CYCLE_1)
	s_and_not1_b32 vcc_lo, s62, exec_lo
	s_and_b32 s62, s64, exec_lo
	s_or_b32 s61, s61, exec_lo
	s_and_not1_b32 s60, s60, exec_lo
	s_or_b32 s62, vcc_lo, s62
.LBB47_3502:                            ;   in Loop: Header=BB47_17 Depth=1
	s_or_b32 exec_lo, exec_lo, s59
	s_delay_alu instid0(SALU_CYCLE_1)
	s_and_b32 s61, s61, exec_lo
	s_and_b32 s60, s60, exec_lo
	;; [unrolled: 1-line block ×3, first 2 shown]
                                        ; implicit-def: $vgpr16
                                        ; implicit-def: $vgpr0_vgpr1
.LBB47_3503:                            ;   in Loop: Header=BB47_17 Depth=1
	s_and_not1_saveexec_b32 s58, s58
	s_cbranch_execz .LBB47_3517
; %bb.3504:                             ;   in Loop: Header=BB47_17 Depth=1
	s_mov_b32 s62, exec_lo
                                        ; implicit-def: $vgpr15
	v_cmpx_lt_i16_e32 26, v16
	s_xor_b32 s62, exec_lo, s62
	s_cbranch_execz .LBB47_3510
; %bb.3505:                             ;   in Loop: Header=BB47_17 Depth=1
	v_cmp_lt_i16_e32 vcc_lo, 27, v16
                                        ; implicit-def: $vgpr15
	s_and_saveexec_b32 s63, vcc_lo
	s_delay_alu instid0(SALU_CYCLE_1)
	s_xor_b32 vcc_lo, exec_lo, s63
	s_cbranch_execz .LBB47_3507
; %bb.3506:                             ;   in Loop: Header=BB47_17 Depth=1
	flat_load_b32 v0, v[0:1]
	s_waitcnt vmcnt(0) lgkmcnt(0)
	v_cvt_f32_u32_e32 v15, v0
                                        ; implicit-def: $vgpr0_vgpr1
.LBB47_3507:                            ;   in Loop: Header=BB47_17 Depth=1
	s_and_not1_saveexec_b32 vcc_lo, vcc_lo
	s_cbranch_execz .LBB47_3509
; %bb.3508:                             ;   in Loop: Header=BB47_17 Depth=1
	flat_load_u16 v0, v[0:1]
	s_waitcnt vmcnt(0) lgkmcnt(0)
	v_cvt_f32_u32_e32 v15, v0
.LBB47_3509:                            ;   in Loop: Header=BB47_17 Depth=1
	s_or_b32 exec_lo, exec_lo, vcc_lo
                                        ; implicit-def: $vgpr0_vgpr1
.LBB47_3510:                            ;   in Loop: Header=BB47_17 Depth=1
	s_and_not1_saveexec_b32 s62, s62
	s_cbranch_execz .LBB47_3516
; %bb.3511:                             ;   in Loop: Header=BB47_17 Depth=1
	flat_load_u8 v0, v[0:1]
	s_mov_b32 s63, 0
	s_mov_b32 s65, exec_lo
                                        ; implicit-def: $sgpr64
	s_waitcnt vmcnt(0) lgkmcnt(0)
	v_cmpx_lt_i16_e32 0x7f, v0
	s_xor_b32 s65, exec_lo, s65
	s_cbranch_execnz .LBB47_3642
; %bb.3512:                             ;   in Loop: Header=BB47_17 Depth=1
	s_or_saveexec_b32 s65, s65
	v_mov_b32_e32 v15, s64
	s_xor_b32 exec_lo, exec_lo, s65
	s_cbranch_execnz .LBB47_3645
.LBB47_3513:                            ;   in Loop: Header=BB47_17 Depth=1
	s_or_b32 exec_lo, exec_lo, s65
	s_and_saveexec_b32 s64, s63
	s_cbranch_execz .LBB47_3515
.LBB47_3514:                            ;   in Loop: Header=BB47_17 Depth=1
	v_and_b32_e32 v1, 0xffff, v0
	s_delay_alu instid0(VALU_DEP_1) | instskip(NEXT) | instid1(VALU_DEP_1)
	v_and_b32_e32 v15, 7, v1
	v_clz_i32_u32_e32 v16, v15
	s_delay_alu instid0(VALU_DEP_1) | instskip(NEXT) | instid1(VALU_DEP_1)
	v_min_u32_e32 v16, 32, v16
	v_subrev_nc_u32_e32 v17, 28, v16
	v_sub_nc_u32_e32 v16, 29, v16
	s_delay_alu instid0(VALU_DEP_2) | instskip(SKIP_1) | instid1(VALU_DEP_2)
	v_lshlrev_b32_e32 v17, v17, v1
	v_bfe_u32 v1, v1, 3, 4
	v_and_b32_e32 v17, 7, v17
	s_delay_alu instid0(VALU_DEP_2) | instskip(NEXT) | instid1(VALU_DEP_2)
	v_cmp_eq_u32_e32 vcc_lo, 0, v1
	v_dual_cndmask_b32 v15, v15, v17 :: v_dual_lshlrev_b32 v0, 24, v0
	v_cndmask_b32_e32 v1, v1, v16, vcc_lo
	s_delay_alu instid0(VALU_DEP_2) | instskip(NEXT) | instid1(VALU_DEP_3)
	v_and_b32_e32 v0, 0x80000000, v0
	v_lshlrev_b32_e32 v15, 20, v15
	s_delay_alu instid0(VALU_DEP_3) | instskip(NEXT) | instid1(VALU_DEP_1)
	v_lshl_add_u32 v1, v1, 23, 0x3b800000
	v_or3_b32 v15, v0, v1, v15
.LBB47_3515:                            ;   in Loop: Header=BB47_17 Depth=1
	s_or_b32 exec_lo, exec_lo, s64
.LBB47_3516:                            ;   in Loop: Header=BB47_17 Depth=1
	s_delay_alu instid0(SALU_CYCLE_1) | instskip(NEXT) | instid1(SALU_CYCLE_1)
	s_or_b32 exec_lo, exec_lo, s62
	s_and_not1_b32 s61, s61, exec_lo
	s_and_not1_b32 s60, s60, exec_lo
	s_or_b32 s59, s59, exec_lo
.LBB47_3517:                            ;   in Loop: Header=BB47_17 Depth=1
	s_or_b32 exec_lo, exec_lo, s58
	s_delay_alu instid0(SALU_CYCLE_1)
	s_and_b32 s58, s61, exec_lo
	s_and_b32 s60, s60, exec_lo
	;; [unrolled: 1-line block ×3, first 2 shown]
                                        ; implicit-def: $vgpr16
                                        ; implicit-def: $vgpr0_vgpr1
.LBB47_3518:                            ;   in Loop: Header=BB47_17 Depth=1
	s_and_not1_saveexec_b32 s57, s57
	s_cbranch_execz .LBB47_3544
; %bb.3519:                             ;   in Loop: Header=BB47_17 Depth=1
	s_mov_b32 s62, s59
	s_mov_b32 s61, exec_lo
                                        ; implicit-def: $vgpr15
	v_cmpx_lt_i16_e32 22, v16
	s_xor_b32 s61, exec_lo, s61
	s_cbranch_execz .LBB47_3533
; %bb.3520:                             ;   in Loop: Header=BB47_17 Depth=1
	s_mov_b32 s62, exec_lo
                                        ; implicit-def: $vgpr15
	v_cmpx_lt_i16_e32 23, v16
	s_xor_b32 s62, exec_lo, s62
	s_cbranch_execz .LBB47_3530
; %bb.3521:                             ;   in Loop: Header=BB47_17 Depth=1
	;; [unrolled: 6-line block ×3, first 2 shown]
	flat_load_u8 v0, v[0:1]
	s_mov_b32 s64, 0
	s_mov_b32 s66, exec_lo
                                        ; implicit-def: $sgpr65
	s_waitcnt vmcnt(0) lgkmcnt(0)
	v_cmpx_lt_i16_e32 0x7f, v0
	s_xor_b32 s66, exec_lo, s66
	s_cbranch_execnz .LBB47_3646
; %bb.3523:                             ;   in Loop: Header=BB47_17 Depth=1
	s_or_saveexec_b32 s66, s66
	v_mov_b32_e32 v15, s65
	s_xor_b32 exec_lo, exec_lo, s66
	s_cbranch_execnz .LBB47_3649
.LBB47_3524:                            ;   in Loop: Header=BB47_17 Depth=1
	s_or_b32 exec_lo, exec_lo, s66
	s_and_saveexec_b32 s65, s64
	s_cbranch_execz .LBB47_3526
.LBB47_3525:                            ;   in Loop: Header=BB47_17 Depth=1
	v_and_b32_e32 v1, 0xffff, v0
	s_delay_alu instid0(VALU_DEP_1) | instskip(NEXT) | instid1(VALU_DEP_1)
	v_and_b32_e32 v15, 3, v1
	v_clz_i32_u32_e32 v16, v15
	s_delay_alu instid0(VALU_DEP_1) | instskip(NEXT) | instid1(VALU_DEP_1)
	v_min_u32_e32 v16, 32, v16
	v_subrev_nc_u32_e32 v17, 29, v16
	v_sub_nc_u32_e32 v16, 30, v16
	s_delay_alu instid0(VALU_DEP_2) | instskip(SKIP_1) | instid1(VALU_DEP_2)
	v_lshlrev_b32_e32 v17, v17, v1
	v_bfe_u32 v1, v1, 2, 5
	v_and_b32_e32 v17, 3, v17
	s_delay_alu instid0(VALU_DEP_2) | instskip(NEXT) | instid1(VALU_DEP_2)
	v_cmp_eq_u32_e32 vcc_lo, 0, v1
	v_dual_cndmask_b32 v15, v15, v17 :: v_dual_lshlrev_b32 v0, 24, v0
	v_cndmask_b32_e32 v1, v1, v16, vcc_lo
	s_delay_alu instid0(VALU_DEP_2) | instskip(NEXT) | instid1(VALU_DEP_3)
	v_and_b32_e32 v0, 0x80000000, v0
	v_lshlrev_b32_e32 v15, 21, v15
	s_delay_alu instid0(VALU_DEP_3) | instskip(NEXT) | instid1(VALU_DEP_1)
	v_lshl_add_u32 v1, v1, 23, 0x37800000
	v_or3_b32 v15, v0, v1, v15
.LBB47_3526:                            ;   in Loop: Header=BB47_17 Depth=1
	s_or_b32 exec_lo, exec_lo, s65
                                        ; implicit-def: $vgpr0_vgpr1
.LBB47_3527:                            ;   in Loop: Header=BB47_17 Depth=1
	s_and_not1_saveexec_b32 s63, s63
	s_cbranch_execz .LBB47_3529
; %bb.3528:                             ;   in Loop: Header=BB47_17 Depth=1
	flat_load_u8 v0, v[0:1]
	s_waitcnt vmcnt(0) lgkmcnt(0)
	v_lshlrev_b32_e32 v0, 24, v0
	s_delay_alu instid0(VALU_DEP_1) | instskip(NEXT) | instid1(VALU_DEP_1)
	v_and_b32_e32 v1, 0x7f000000, v0
	v_clz_i32_u32_e32 v15, v1
	v_add_nc_u32_e32 v17, 0x1000000, v1
	v_cmp_ne_u32_e32 vcc_lo, 0, v1
	s_delay_alu instid0(VALU_DEP_3) | instskip(NEXT) | instid1(VALU_DEP_1)
	v_min_u32_e32 v15, 32, v15
	v_sub_nc_u32_e64 v15, v15, 4 clamp
	s_delay_alu instid0(VALU_DEP_1) | instskip(SKIP_1) | instid1(VALU_DEP_2)
	v_lshlrev_b32_e32 v16, v15, v1
	v_lshlrev_b32_e32 v15, 23, v15
	v_lshrrev_b32_e32 v16, 4, v16
	s_delay_alu instid0(VALU_DEP_1) | instskip(SKIP_1) | instid1(VALU_DEP_2)
	v_sub_nc_u32_e32 v15, v16, v15
	v_ashrrev_i32_e32 v16, 8, v17
	v_add_nc_u32_e32 v15, 0x3c000000, v15
	s_delay_alu instid0(VALU_DEP_1) | instskip(NEXT) | instid1(VALU_DEP_1)
	v_and_or_b32 v15, 0x7f800000, v16, v15
	v_cndmask_b32_e32 v1, 0, v15, vcc_lo
	s_delay_alu instid0(VALU_DEP_1)
	v_and_or_b32 v15, 0x80000000, v0, v1
.LBB47_3529:                            ;   in Loop: Header=BB47_17 Depth=1
	s_or_b32 exec_lo, exec_lo, s63
                                        ; implicit-def: $vgpr0_vgpr1
.LBB47_3530:                            ;   in Loop: Header=BB47_17 Depth=1
	s_and_not1_saveexec_b32 s62, s62
	s_cbranch_execz .LBB47_3532
; %bb.3531:                             ;   in Loop: Header=BB47_17 Depth=1
	flat_load_u8 v0, v[0:1]
	s_waitcnt vmcnt(0) lgkmcnt(0)
	v_lshlrev_b32_e32 v1, 25, v0
	v_lshlrev_b16 v0, 8, v0
	s_delay_alu instid0(VALU_DEP_2) | instskip(NEXT) | instid1(VALU_DEP_2)
	v_lshrrev_b32_e32 v15, 4, v1
	v_and_or_b32 v16, 0x7f00, v0, 0.5
	v_cmp_gt_u32_e32 vcc_lo, 0x8000000, v1
	v_bfe_i32 v0, v0, 0, 16
	s_delay_alu instid0(VALU_DEP_4) | instskip(NEXT) | instid1(VALU_DEP_1)
	v_or_b32_e32 v15, 0x70000000, v15
	v_dual_add_f32 v16, -0.5, v16 :: v_dual_mul_f32 v15, 0x7800000, v15
	s_delay_alu instid0(VALU_DEP_1) | instskip(NEXT) | instid1(VALU_DEP_1)
	v_cndmask_b32_e32 v1, v15, v16, vcc_lo
	v_and_or_b32 v15, 0x80000000, v0, v1
.LBB47_3532:                            ;   in Loop: Header=BB47_17 Depth=1
	s_or_b32 exec_lo, exec_lo, s62
	s_delay_alu instid0(SALU_CYCLE_1)
	s_or_b32 s62, s59, exec_lo
                                        ; implicit-def: $vgpr16
                                        ; implicit-def: $vgpr0_vgpr1
.LBB47_3533:                            ;   in Loop: Header=BB47_17 Depth=1
	s_or_saveexec_b32 s61, s61
                                        ; implicit-def: $sgpr63
                                        ; implicit-def: $vcc_lo
	s_delay_alu instid0(SALU_CYCLE_1)
	s_xor_b32 exec_lo, exec_lo, s61
	s_cbranch_execz .LBB47_3543
; %bb.3534:                             ;   in Loop: Header=BB47_17 Depth=1
	s_mov_b32 s64, s62
	s_mov_b32 s66, exec_lo
                                        ; implicit-def: $sgpr65
                                        ; implicit-def: $sgpr63
                                        ; implicit-def: $vgpr15
	v_cmpx_lt_i16_e32 14, v16
	s_xor_b32 s66, exec_lo, s66
	s_cbranch_execz .LBB47_3538
; %bb.3535:                             ;   in Loop: Header=BB47_17 Depth=1
	s_mov_b32 s64, s62
	s_mov_b32 s63, exec_lo
                                        ; implicit-def: $vgpr15
	v_cmpx_eq_u16_e32 15, v16
	s_cbranch_execz .LBB47_3537
; %bb.3536:                             ;   in Loop: Header=BB47_17 Depth=1
	flat_load_u16 v0, v[0:1]
	s_or_b32 s64, s62, exec_lo
	s_waitcnt vmcnt(0) lgkmcnt(0)
	v_lshlrev_b32_e32 v15, 16, v0
.LBB47_3537:                            ;   in Loop: Header=BB47_17 Depth=1
	s_or_b32 exec_lo, exec_lo, s63
	s_delay_alu instid0(SALU_CYCLE_1)
	s_and_not1_b32 vcc_lo, s62, exec_lo
	s_and_b32 s64, s64, exec_lo
	s_mov_b32 s63, 0
	s_mov_b32 s65, -1
	s_or_b32 s64, vcc_lo, s64
                                        ; implicit-def: $vgpr16
                                        ; implicit-def: $vgpr0_vgpr1
.LBB47_3538:                            ;   in Loop: Header=BB47_17 Depth=1
	s_and_not1_saveexec_b32 s66, s66
	s_cbranch_execz .LBB47_3542
; %bb.3539:                             ;   in Loop: Header=BB47_17 Depth=1
	s_mov_b32 s67, s64
	s_mov_b32 s68, exec_lo
                                        ; implicit-def: $vgpr15
	v_cmpx_eq_u16_e32 11, v16
	s_cbranch_execz .LBB47_3541
; %bb.3540:                             ;   in Loop: Header=BB47_17 Depth=1
	flat_load_u8 v0, v[0:1]
	s_or_b32 s67, s64, exec_lo
	s_waitcnt vmcnt(0) lgkmcnt(0)
	v_cmp_ne_u16_e32 vcc_lo, 0, v0
	v_cndmask_b32_e64 v15, 0, 1.0, vcc_lo
.LBB47_3541:                            ;   in Loop: Header=BB47_17 Depth=1
	s_or_b32 exec_lo, exec_lo, s68
	s_delay_alu instid0(SALU_CYCLE_1)
	s_and_not1_b32 vcc_lo, s64, exec_lo
	s_and_b32 s64, s67, exec_lo
	s_or_b32 s65, s65, exec_lo
	s_and_not1_b32 s63, s63, exec_lo
	s_or_b32 s64, vcc_lo, s64
.LBB47_3542:                            ;   in Loop: Header=BB47_17 Depth=1
	s_or_b32 exec_lo, exec_lo, s66
	s_delay_alu instid0(SALU_CYCLE_1)
	s_and_not1_b32 s62, s62, exec_lo
	s_and_b32 s64, s64, exec_lo
	s_and_b32 vcc_lo, s65, exec_lo
	s_and_b32 s63, s63, exec_lo
	s_or_b32 s62, s62, s64
.LBB47_3543:                            ;   in Loop: Header=BB47_17 Depth=1
	s_or_b32 exec_lo, exec_lo, s61
	s_delay_alu instid0(SALU_CYCLE_1)
	s_and_not1_b32 s58, s58, exec_lo
	s_and_b32 vcc_lo, vcc_lo, exec_lo
	s_and_not1_b32 s59, s59, exec_lo
	s_or_b32 s58, s58, vcc_lo
	s_and_not1_b32 vcc_lo, s60, exec_lo
	s_and_b32 s60, s63, exec_lo
	s_and_b32 s61, s62, exec_lo
	s_or_b32 s60, vcc_lo, s60
	s_or_b32 s59, s59, s61
.LBB47_3544:                            ;   in Loop: Header=BB47_17 Depth=1
	s_or_b32 exec_lo, exec_lo, s57
	s_delay_alu instid0(SALU_CYCLE_1)
	s_and_b32 s58, s58, exec_lo
	s_and_b32 s57, s60, exec_lo
	s_and_b32 s59, s59, exec_lo
                                        ; implicit-def: $vgpr16
                                        ; implicit-def: $vgpr0_vgpr1
	s_and_not1_saveexec_b32 s56, s56
	s_cbranch_execz .LBB47_3464
.LBB47_3545:                            ;   in Loop: Header=BB47_17 Depth=1
	s_mov_b32 s60, exec_lo
                                        ; implicit-def: $vgpr15
	v_cmpx_lt_i16_e32 4, v16
	s_xor_b32 s60, exec_lo, s60
	s_cbranch_execz .LBB47_3567
; %bb.3546:                             ;   in Loop: Header=BB47_17 Depth=1
	s_mov_b32 s61, exec_lo
                                        ; implicit-def: $vgpr15
	v_cmpx_lt_i16_e32 7, v16
	s_xor_b32 s61, exec_lo, s61
	s_cbranch_execz .LBB47_3556
; %bb.3547:                             ;   in Loop: Header=BB47_17 Depth=1
	;; [unrolled: 6-line block ×3, first 2 shown]
	v_cmp_lt_i16_e32 vcc_lo, 9, v16
                                        ; implicit-def: $vgpr15
	s_and_saveexec_b32 s63, vcc_lo
	s_delay_alu instid0(SALU_CYCLE_1)
	s_xor_b32 vcc_lo, exec_lo, s63
	s_cbranch_execz .LBB47_3550
; %bb.3549:                             ;   in Loop: Header=BB47_17 Depth=1
	flat_load_b64 v[0:1], v[0:1]
	s_waitcnt vmcnt(0) lgkmcnt(0)
	v_cvt_f32_f64_e32 v15, v[0:1]
                                        ; implicit-def: $vgpr0_vgpr1
.LBB47_3550:                            ;   in Loop: Header=BB47_17 Depth=1
	s_and_not1_saveexec_b32 vcc_lo, vcc_lo
	s_cbranch_execz .LBB47_3552
; %bb.3551:                             ;   in Loop: Header=BB47_17 Depth=1
	flat_load_b32 v15, v[0:1]
.LBB47_3552:                            ;   in Loop: Header=BB47_17 Depth=1
	s_or_b32 exec_lo, exec_lo, vcc_lo
                                        ; implicit-def: $vgpr0_vgpr1
.LBB47_3553:                            ;   in Loop: Header=BB47_17 Depth=1
	s_and_not1_saveexec_b32 vcc_lo, s62
	s_cbranch_execz .LBB47_3555
; %bb.3554:                             ;   in Loop: Header=BB47_17 Depth=1
	flat_load_b32 v0, v[0:1]
	s_waitcnt vmcnt(0) lgkmcnt(0)
	v_cvt_f32_f16_e32 v15, v0
.LBB47_3555:                            ;   in Loop: Header=BB47_17 Depth=1
	s_or_b32 exec_lo, exec_lo, vcc_lo
                                        ; implicit-def: $vgpr0_vgpr1
                                        ; implicit-def: $vgpr16
.LBB47_3556:                            ;   in Loop: Header=BB47_17 Depth=1
	s_and_not1_saveexec_b32 s61, s61
	s_cbranch_execz .LBB47_3566
; %bb.3557:                             ;   in Loop: Header=BB47_17 Depth=1
	s_mov_b32 s62, exec_lo
                                        ; implicit-def: $vgpr15
	v_cmpx_lt_i16_e32 5, v16
	s_xor_b32 s62, exec_lo, s62
	s_cbranch_execz .LBB47_3563
; %bb.3558:                             ;   in Loop: Header=BB47_17 Depth=1
	v_cmp_lt_i16_e32 vcc_lo, 6, v16
                                        ; implicit-def: $vgpr15
	s_and_saveexec_b32 s63, vcc_lo
	s_delay_alu instid0(SALU_CYCLE_1)
	s_xor_b32 vcc_lo, exec_lo, s63
	s_cbranch_execz .LBB47_3560
; %bb.3559:                             ;   in Loop: Header=BB47_17 Depth=1
	flat_load_b64 v[0:1], v[0:1]
	s_waitcnt vmcnt(0) lgkmcnt(0)
	v_cvt_f32_f64_e32 v15, v[0:1]
                                        ; implicit-def: $vgpr0_vgpr1
.LBB47_3560:                            ;   in Loop: Header=BB47_17 Depth=1
	s_and_not1_saveexec_b32 vcc_lo, vcc_lo
	s_cbranch_execz .LBB47_3562
; %bb.3561:                             ;   in Loop: Header=BB47_17 Depth=1
	s_waitcnt vmcnt(0) lgkmcnt(0)
	flat_load_b32 v15, v[0:1]
.LBB47_3562:                            ;   in Loop: Header=BB47_17 Depth=1
	s_or_b32 exec_lo, exec_lo, vcc_lo
                                        ; implicit-def: $vgpr0_vgpr1
.LBB47_3563:                            ;   in Loop: Header=BB47_17 Depth=1
	s_and_not1_saveexec_b32 vcc_lo, s62
	s_cbranch_execz .LBB47_3565
; %bb.3564:                             ;   in Loop: Header=BB47_17 Depth=1
	flat_load_u16 v0, v[0:1]
	s_waitcnt vmcnt(0) lgkmcnt(0)
	v_cvt_f32_f16_e32 v15, v0
.LBB47_3565:                            ;   in Loop: Header=BB47_17 Depth=1
	s_or_b32 exec_lo, exec_lo, vcc_lo
.LBB47_3566:                            ;   in Loop: Header=BB47_17 Depth=1
	s_delay_alu instid0(SALU_CYCLE_1)
	s_or_b32 exec_lo, exec_lo, s61
                                        ; implicit-def: $vgpr16
                                        ; implicit-def: $vgpr0_vgpr1
.LBB47_3567:                            ;   in Loop: Header=BB47_17 Depth=1
	s_and_not1_saveexec_b32 s60, s60
	s_cbranch_execz .LBB47_3585
; %bb.3568:                             ;   in Loop: Header=BB47_17 Depth=1
	s_mov_b32 s61, exec_lo
                                        ; implicit-def: $vgpr15
	v_cmpx_lt_i16_e32 1, v16
	s_xor_b32 s61, exec_lo, s61
	s_cbranch_execz .LBB47_3578
; %bb.3569:                             ;   in Loop: Header=BB47_17 Depth=1
	s_mov_b32 s62, exec_lo
                                        ; implicit-def: $vgpr15
	v_cmpx_lt_i16_e32 2, v16
	s_xor_b32 s62, exec_lo, s62
	s_cbranch_execz .LBB47_3575
; %bb.3570:                             ;   in Loop: Header=BB47_17 Depth=1
	v_cmp_lt_i16_e32 vcc_lo, 3, v16
                                        ; implicit-def: $vgpr15
	s_and_saveexec_b32 s63, vcc_lo
	s_delay_alu instid0(SALU_CYCLE_1)
	s_xor_b32 vcc_lo, exec_lo, s63
	s_cbranch_execz .LBB47_3572
; %bb.3571:                             ;   in Loop: Header=BB47_17 Depth=1
	flat_load_b64 v[0:1], v[0:1]
	s_waitcnt vmcnt(0) lgkmcnt(0)
	v_xor_b32_e32 v15, v0, v1
	v_cls_i32_e32 v16, v1
	s_delay_alu instid0(VALU_DEP_2) | instskip(NEXT) | instid1(VALU_DEP_2)
	v_ashrrev_i32_e32 v15, 31, v15
	v_add_nc_u32_e32 v16, -1, v16
	s_delay_alu instid0(VALU_DEP_2) | instskip(NEXT) | instid1(VALU_DEP_1)
	v_add_nc_u32_e32 v15, 32, v15
	v_min_u32_e32 v15, v16, v15
	s_delay_alu instid0(VALU_DEP_1) | instskip(NEXT) | instid1(VALU_DEP_1)
	v_lshlrev_b64 v[0:1], v15, v[0:1]
	v_min_u32_e32 v0, 1, v0
	s_delay_alu instid0(VALU_DEP_1) | instskip(SKIP_1) | instid1(VALU_DEP_2)
	v_or_b32_e32 v0, v1, v0
	v_sub_nc_u32_e32 v1, 32, v15
	v_cvt_f32_i32_e32 v0, v0
	s_delay_alu instid0(VALU_DEP_1)
	v_ldexp_f32 v15, v0, v1
                                        ; implicit-def: $vgpr0_vgpr1
.LBB47_3572:                            ;   in Loop: Header=BB47_17 Depth=1
	s_and_not1_saveexec_b32 vcc_lo, vcc_lo
	s_cbranch_execz .LBB47_3574
; %bb.3573:                             ;   in Loop: Header=BB47_17 Depth=1
	flat_load_b32 v0, v[0:1]
	s_waitcnt vmcnt(0) lgkmcnt(0)
	v_cvt_f32_i32_e32 v15, v0
.LBB47_3574:                            ;   in Loop: Header=BB47_17 Depth=1
	s_or_b32 exec_lo, exec_lo, vcc_lo
                                        ; implicit-def: $vgpr0_vgpr1
.LBB47_3575:                            ;   in Loop: Header=BB47_17 Depth=1
	s_and_not1_saveexec_b32 vcc_lo, s62
	s_cbranch_execz .LBB47_3577
; %bb.3576:                             ;   in Loop: Header=BB47_17 Depth=1
	flat_load_i16 v0, v[0:1]
	s_waitcnt vmcnt(0) lgkmcnt(0)
	v_cvt_f32_i32_e32 v15, v0
.LBB47_3577:                            ;   in Loop: Header=BB47_17 Depth=1
	s_or_b32 exec_lo, exec_lo, vcc_lo
                                        ; implicit-def: $vgpr0_vgpr1
                                        ; implicit-def: $vgpr16
.LBB47_3578:                            ;   in Loop: Header=BB47_17 Depth=1
	s_and_not1_saveexec_b32 s61, s61
	s_cbranch_execz .LBB47_3584
; %bb.3579:                             ;   in Loop: Header=BB47_17 Depth=1
	v_cmp_lt_i16_e32 vcc_lo, 0, v16
                                        ; implicit-def: $vgpr15
	s_and_saveexec_b32 s62, vcc_lo
	s_delay_alu instid0(SALU_CYCLE_1)
	s_xor_b32 vcc_lo, exec_lo, s62
	s_cbranch_execz .LBB47_3581
; %bb.3580:                             ;   in Loop: Header=BB47_17 Depth=1
	flat_load_i8 v0, v[0:1]
	s_waitcnt vmcnt(0) lgkmcnt(0)
	v_cvt_f32_i32_e32 v15, v0
                                        ; implicit-def: $vgpr0_vgpr1
.LBB47_3581:                            ;   in Loop: Header=BB47_17 Depth=1
	s_and_not1_saveexec_b32 vcc_lo, vcc_lo
	s_cbranch_execz .LBB47_3583
; %bb.3582:                             ;   in Loop: Header=BB47_17 Depth=1
	flat_load_u8 v0, v[0:1]
	s_waitcnt vmcnt(0) lgkmcnt(0)
	v_cvt_f32_ubyte0_e32 v15, v0
.LBB47_3583:                            ;   in Loop: Header=BB47_17 Depth=1
	s_or_b32 exec_lo, exec_lo, vcc_lo
.LBB47_3584:                            ;   in Loop: Header=BB47_17 Depth=1
	s_delay_alu instid0(SALU_CYCLE_1)
	s_or_b32 exec_lo, exec_lo, s61
.LBB47_3585:                            ;   in Loop: Header=BB47_17 Depth=1
	s_delay_alu instid0(SALU_CYCLE_1) | instskip(NEXT) | instid1(SALU_CYCLE_1)
	s_or_b32 exec_lo, exec_lo, s60
	s_and_not1_b32 s58, s58, exec_lo
	s_and_not1_b32 s57, s57, exec_lo
	s_or_b32 s59, s59, exec_lo
	s_or_b32 exec_lo, exec_lo, s56
	s_mov_b32 vcc_lo, 0
	s_and_saveexec_b32 s56, s59
	s_cbranch_execnz .LBB47_3465
	s_branch .LBB47_3466
.LBB47_3586:                            ;   in Loop: Header=BB47_17 Depth=1
	s_mov_b32 s52, -1
	s_mov_b32 s55, exec_lo
                                        ; implicit-def: $sgpr53
	v_cmpx_eq_u16_e32 0x80, v0
; %bb.3587:                             ;   in Loop: Header=BB47_17 Depth=1
	s_mov_b32 s53, 0x7f800001
	s_xor_b32 s52, exec_lo, -1
; %bb.3588:                             ;   in Loop: Header=BB47_17 Depth=1
	s_or_b32 exec_lo, exec_lo, s55
	s_delay_alu instid0(SALU_CYCLE_1)
	s_and_b32 s52, s52, exec_lo
	s_or_saveexec_b32 s54, s54
	v_mov_b32_e32 v15, s53
	s_xor_b32 exec_lo, exec_lo, s54
	s_cbranch_execz .LBB47_2619
.LBB47_3589:                            ;   in Loop: Header=BB47_17 Depth=1
	v_cmp_ne_u16_e32 vcc_lo, 0, v0
	v_mov_b32_e32 v15, 0
	s_and_not1_b32 s52, s52, exec_lo
	s_and_b32 vcc_lo, vcc_lo, exec_lo
	s_delay_alu instid0(SALU_CYCLE_1)
	s_or_b32 s52, s52, vcc_lo
	s_or_b32 exec_lo, exec_lo, s54
	s_and_saveexec_b32 s53, s52
	s_cbranch_execnz .LBB47_2620
	s_branch .LBB47_2621
.LBB47_3590:                            ;   in Loop: Header=BB47_17 Depth=1
	s_mov_b32 s52, -1
	s_mov_b32 s55, exec_lo
                                        ; implicit-def: $sgpr53
	v_cmpx_eq_u16_e32 0x80, v0
; %bb.3591:                             ;   in Loop: Header=BB47_17 Depth=1
	s_mov_b32 s53, 0x7f800001
	s_xor_b32 s52, exec_lo, -1
; %bb.3592:                             ;   in Loop: Header=BB47_17 Depth=1
	s_or_b32 exec_lo, exec_lo, s55
	s_delay_alu instid0(SALU_CYCLE_1)
	s_and_b32 s52, s52, exec_lo
	s_or_saveexec_b32 s54, s54
	v_mov_b32_e32 v16, s53
	s_xor_b32 exec_lo, exec_lo, s54
	s_cbranch_execz .LBB47_2719
.LBB47_3593:                            ;   in Loop: Header=BB47_17 Depth=1
	v_cmp_ne_u16_e32 vcc_lo, 0, v0
	v_mov_b32_e32 v16, 0
	s_and_not1_b32 s52, s52, exec_lo
	s_and_b32 vcc_lo, vcc_lo, exec_lo
	s_delay_alu instid0(SALU_CYCLE_1)
	s_or_b32 s52, s52, vcc_lo
	s_or_b32 exec_lo, exec_lo, s54
	s_and_saveexec_b32 s53, s52
	s_cbranch_execnz .LBB47_2720
	s_branch .LBB47_2721
.LBB47_3594:                            ;   in Loop: Header=BB47_17 Depth=1
	s_mov_b32 s54, -1
	s_mov_b32 s57, exec_lo
                                        ; implicit-def: $sgpr55
	v_cmpx_eq_u16_e32 0x80, v0
; %bb.3595:                             ;   in Loop: Header=BB47_17 Depth=1
	s_mov_b32 s55, 0x7f800001
	s_xor_b32 s54, exec_lo, -1
; %bb.3596:                             ;   in Loop: Header=BB47_17 Depth=1
	s_or_b32 exec_lo, exec_lo, s57
	s_delay_alu instid0(SALU_CYCLE_1)
	s_and_b32 s54, s54, exec_lo
	s_or_saveexec_b32 s56, s56
	v_mov_b32_e32 v15, s55
	s_xor_b32 exec_lo, exec_lo, s56
	s_cbranch_execz .LBB47_2835
.LBB47_3597:                            ;   in Loop: Header=BB47_17 Depth=1
	v_cmp_ne_u16_e32 vcc_lo, 0, v0
	v_mov_b32_e32 v15, 0
	s_and_not1_b32 s54, s54, exec_lo
	s_and_b32 vcc_lo, vcc_lo, exec_lo
	s_delay_alu instid0(SALU_CYCLE_1)
	s_or_b32 s54, s54, vcc_lo
	s_or_b32 exec_lo, exec_lo, s56
	s_and_saveexec_b32 s55, s54
	s_cbranch_execnz .LBB47_2836
	s_branch .LBB47_2837
.LBB47_3598:                            ;   in Loop: Header=BB47_17 Depth=1
	s_mov_b32 s54, -1
	s_mov_b32 s57, exec_lo
                                        ; implicit-def: $sgpr55
	v_cmpx_eq_u16_e32 0x80, v0
; %bb.3599:                             ;   in Loop: Header=BB47_17 Depth=1
	s_mov_b32 s55, 0x7f800001
	s_xor_b32 s54, exec_lo, -1
; %bb.3600:                             ;   in Loop: Header=BB47_17 Depth=1
	s_or_b32 exec_lo, exec_lo, s57
	s_delay_alu instid0(SALU_CYCLE_1)
	s_and_b32 s54, s54, exec_lo
	s_or_saveexec_b32 s56, s56
	v_mov_b32_e32 v16, s55
	s_xor_b32 exec_lo, exec_lo, s56
	s_cbranch_execz .LBB47_2935
.LBB47_3601:                            ;   in Loop: Header=BB47_17 Depth=1
	v_cmp_ne_u16_e32 vcc_lo, 0, v0
	v_mov_b32_e32 v16, 0
	s_and_not1_b32 s54, s54, exec_lo
	s_and_b32 vcc_lo, vcc_lo, exec_lo
	s_delay_alu instid0(SALU_CYCLE_1)
	s_or_b32 s54, s54, vcc_lo
	s_or_b32 exec_lo, exec_lo, s56
	s_and_saveexec_b32 s55, s54
	s_cbranch_execnz .LBB47_2936
	s_branch .LBB47_2937
.LBB47_3602:                            ;   in Loop: Header=BB47_17 Depth=1
	s_mov_b32 s55, -1
	s_mov_b32 s58, exec_lo
                                        ; implicit-def: $sgpr56
	v_cmpx_eq_u16_e32 0x80, v0
; %bb.3603:                             ;   in Loop: Header=BB47_17 Depth=1
	s_mov_b32 s56, 0x7f800001
	s_xor_b32 s55, exec_lo, -1
; %bb.3604:                             ;   in Loop: Header=BB47_17 Depth=1
	s_or_b32 exec_lo, exec_lo, s58
	s_delay_alu instid0(SALU_CYCLE_1)
	s_and_b32 s55, s55, exec_lo
	s_or_saveexec_b32 s57, s57
	v_mov_b32_e32 v15, s56
	s_xor_b32 exec_lo, exec_lo, s57
	s_cbranch_execz .LBB47_2846
.LBB47_3605:                            ;   in Loop: Header=BB47_17 Depth=1
	v_cmp_ne_u16_e32 vcc_lo, 0, v0
	v_mov_b32_e32 v15, 0
	s_and_not1_b32 s55, s55, exec_lo
	s_and_b32 vcc_lo, vcc_lo, exec_lo
	s_delay_alu instid0(SALU_CYCLE_1)
	s_or_b32 s55, s55, vcc_lo
	s_or_b32 exec_lo, exec_lo, s57
	s_and_saveexec_b32 s56, s55
	s_cbranch_execnz .LBB47_2847
	s_branch .LBB47_2848
.LBB47_3606:                            ;   in Loop: Header=BB47_17 Depth=1
	s_mov_b32 s55, -1
	s_mov_b32 s58, exec_lo
                                        ; implicit-def: $sgpr56
	v_cmpx_eq_u16_e32 0x80, v0
; %bb.3607:                             ;   in Loop: Header=BB47_17 Depth=1
	s_mov_b32 s56, 0x7f800001
	s_xor_b32 s55, exec_lo, -1
; %bb.3608:                             ;   in Loop: Header=BB47_17 Depth=1
	s_or_b32 exec_lo, exec_lo, s58
	s_delay_alu instid0(SALU_CYCLE_1)
	s_and_b32 s55, s55, exec_lo
	s_or_saveexec_b32 s57, s57
	v_mov_b32_e32 v16, s56
	s_xor_b32 exec_lo, exec_lo, s57
	s_cbranch_execz .LBB47_2946
.LBB47_3609:                            ;   in Loop: Header=BB47_17 Depth=1
	v_cmp_ne_u16_e32 vcc_lo, 0, v0
	v_mov_b32_e32 v16, 0
	s_and_not1_b32 s55, s55, exec_lo
	s_and_b32 vcc_lo, vcc_lo, exec_lo
	s_delay_alu instid0(SALU_CYCLE_1)
	s_or_b32 s55, s55, vcc_lo
	s_or_b32 exec_lo, exec_lo, s57
	s_and_saveexec_b32 s56, s55
	s_cbranch_execnz .LBB47_2947
	s_branch .LBB47_2948
.LBB47_3610:                            ;   in Loop: Header=BB47_17 Depth=1
	s_mov_b32 s57, -1
	s_mov_b32 s60, exec_lo
                                        ; implicit-def: $sgpr58
	v_cmpx_eq_u16_e32 0x80, v0
; %bb.3611:                             ;   in Loop: Header=BB47_17 Depth=1
	s_mov_b32 s58, 0x7f800001
	s_xor_b32 s57, exec_lo, -1
; %bb.3612:                             ;   in Loop: Header=BB47_17 Depth=1
	s_or_b32 exec_lo, exec_lo, s60
	s_delay_alu instid0(SALU_CYCLE_1)
	s_and_b32 s57, s57, exec_lo
	s_or_saveexec_b32 s59, s59
	v_mov_b32_e32 v15, s58
	s_xor_b32 exec_lo, exec_lo, s59
	s_cbranch_execz .LBB47_3062
.LBB47_3613:                            ;   in Loop: Header=BB47_17 Depth=1
	v_cmp_ne_u16_e32 vcc_lo, 0, v0
	v_mov_b32_e32 v15, 0
	s_and_not1_b32 s57, s57, exec_lo
	s_and_b32 vcc_lo, vcc_lo, exec_lo
	s_delay_alu instid0(SALU_CYCLE_1)
	s_or_b32 s57, s57, vcc_lo
	s_or_b32 exec_lo, exec_lo, s59
	s_and_saveexec_b32 s58, s57
	s_cbranch_execnz .LBB47_3063
	s_branch .LBB47_3064
.LBB47_3614:                            ;   in Loop: Header=BB47_17 Depth=1
	s_mov_b32 s57, -1
	s_mov_b32 s60, exec_lo
                                        ; implicit-def: $sgpr58
	v_cmpx_eq_u16_e32 0x80, v0
; %bb.3615:                             ;   in Loop: Header=BB47_17 Depth=1
	s_mov_b32 s58, 0x7f800001
	s_xor_b32 s57, exec_lo, -1
; %bb.3616:                             ;   in Loop: Header=BB47_17 Depth=1
	s_or_b32 exec_lo, exec_lo, s60
	s_delay_alu instid0(SALU_CYCLE_1)
	s_and_b32 s57, s57, exec_lo
	s_or_saveexec_b32 s59, s59
	v_mov_b32_e32 v16, s58
	s_xor_b32 exec_lo, exec_lo, s59
	s_cbranch_execz .LBB47_3162
.LBB47_3617:                            ;   in Loop: Header=BB47_17 Depth=1
	v_cmp_ne_u16_e32 vcc_lo, 0, v0
	v_mov_b32_e32 v16, 0
	s_and_not1_b32 s57, s57, exec_lo
	s_and_b32 vcc_lo, vcc_lo, exec_lo
	s_delay_alu instid0(SALU_CYCLE_1)
	s_or_b32 s57, s57, vcc_lo
	s_or_b32 exec_lo, exec_lo, s59
	s_and_saveexec_b32 s58, s57
	s_cbranch_execnz .LBB47_3163
	s_branch .LBB47_3164
.LBB47_3618:                            ;   in Loop: Header=BB47_17 Depth=1
	s_mov_b32 s58, -1
	s_mov_b32 s61, exec_lo
                                        ; implicit-def: $sgpr59
	v_cmpx_eq_u16_e32 0x80, v0
; %bb.3619:                             ;   in Loop: Header=BB47_17 Depth=1
	s_mov_b32 s59, 0x7f800001
	s_xor_b32 s58, exec_lo, -1
; %bb.3620:                             ;   in Loop: Header=BB47_17 Depth=1
	s_or_b32 exec_lo, exec_lo, s61
	s_delay_alu instid0(SALU_CYCLE_1)
	s_and_b32 s58, s58, exec_lo
	s_or_saveexec_b32 s60, s60
	v_mov_b32_e32 v15, s59
	s_xor_b32 exec_lo, exec_lo, s60
	s_cbranch_execz .LBB47_3073
.LBB47_3621:                            ;   in Loop: Header=BB47_17 Depth=1
	v_cmp_ne_u16_e32 vcc_lo, 0, v0
	v_mov_b32_e32 v15, 0
	s_and_not1_b32 s58, s58, exec_lo
	s_and_b32 vcc_lo, vcc_lo, exec_lo
	s_delay_alu instid0(SALU_CYCLE_1)
	s_or_b32 s58, s58, vcc_lo
	s_or_b32 exec_lo, exec_lo, s60
	s_and_saveexec_b32 s59, s58
	s_cbranch_execnz .LBB47_3074
	s_branch .LBB47_3075
.LBB47_3622:                            ;   in Loop: Header=BB47_17 Depth=1
	s_mov_b32 s58, -1
	s_mov_b32 s61, exec_lo
                                        ; implicit-def: $sgpr59
	v_cmpx_eq_u16_e32 0x80, v0
; %bb.3623:                             ;   in Loop: Header=BB47_17 Depth=1
	s_mov_b32 s59, 0x7f800001
	s_xor_b32 s58, exec_lo, -1
; %bb.3624:                             ;   in Loop: Header=BB47_17 Depth=1
	s_or_b32 exec_lo, exec_lo, s61
	s_delay_alu instid0(SALU_CYCLE_1)
	s_and_b32 s58, s58, exec_lo
	s_or_saveexec_b32 s60, s60
	v_mov_b32_e32 v16, s59
	s_xor_b32 exec_lo, exec_lo, s60
	s_cbranch_execz .LBB47_3173
.LBB47_3625:                            ;   in Loop: Header=BB47_17 Depth=1
	v_cmp_ne_u16_e32 vcc_lo, 0, v0
	v_mov_b32_e32 v16, 0
	s_and_not1_b32 s58, s58, exec_lo
	s_and_b32 vcc_lo, vcc_lo, exec_lo
	s_delay_alu instid0(SALU_CYCLE_1)
	s_or_b32 s58, s58, vcc_lo
	s_or_b32 exec_lo, exec_lo, s60
	s_and_saveexec_b32 s59, s58
	s_cbranch_execnz .LBB47_3174
	s_branch .LBB47_3175
.LBB47_3626:                            ;   in Loop: Header=BB47_17 Depth=1
	s_mov_b32 s60, -1
	s_mov_b32 s63, exec_lo
                                        ; implicit-def: $sgpr61
	v_cmpx_eq_u16_e32 0x80, v0
; %bb.3627:                             ;   in Loop: Header=BB47_17 Depth=1
	s_mov_b32 s61, 0x7f800001
	s_xor_b32 s60, exec_lo, -1
; %bb.3628:                             ;   in Loop: Header=BB47_17 Depth=1
	s_or_b32 exec_lo, exec_lo, s63
	s_delay_alu instid0(SALU_CYCLE_1)
	s_and_b32 s60, s60, exec_lo
	s_or_saveexec_b32 s62, s62
	v_mov_b32_e32 v15, s61
	s_xor_b32 exec_lo, exec_lo, s62
	s_cbranch_execz .LBB47_3289
.LBB47_3629:                            ;   in Loop: Header=BB47_17 Depth=1
	v_cmp_ne_u16_e32 vcc_lo, 0, v0
	v_mov_b32_e32 v15, 0
	s_and_not1_b32 s60, s60, exec_lo
	s_and_b32 vcc_lo, vcc_lo, exec_lo
	s_delay_alu instid0(SALU_CYCLE_1)
	s_or_b32 s60, s60, vcc_lo
	s_or_b32 exec_lo, exec_lo, s62
	s_and_saveexec_b32 s61, s60
	s_cbranch_execnz .LBB47_3290
	s_branch .LBB47_3291
.LBB47_3630:                            ;   in Loop: Header=BB47_17 Depth=1
	s_mov_b32 s60, -1
	s_mov_b32 s63, exec_lo
                                        ; implicit-def: $sgpr61
	v_cmpx_eq_u16_e32 0x80, v0
; %bb.3631:                             ;   in Loop: Header=BB47_17 Depth=1
	s_mov_b32 s61, 0x7f800001
	s_xor_b32 s60, exec_lo, -1
; %bb.3632:                             ;   in Loop: Header=BB47_17 Depth=1
	s_or_b32 exec_lo, exec_lo, s63
	s_delay_alu instid0(SALU_CYCLE_1)
	s_and_b32 s60, s60, exec_lo
	s_or_saveexec_b32 s62, s62
	v_mov_b32_e32 v16, s61
	s_xor_b32 exec_lo, exec_lo, s62
	s_cbranch_execz .LBB47_3389
.LBB47_3633:                            ;   in Loop: Header=BB47_17 Depth=1
	v_cmp_ne_u16_e32 vcc_lo, 0, v0
	v_mov_b32_e32 v16, 0
	s_and_not1_b32 s60, s60, exec_lo
	s_and_b32 vcc_lo, vcc_lo, exec_lo
	s_delay_alu instid0(SALU_CYCLE_1)
	s_or_b32 s60, s60, vcc_lo
	s_or_b32 exec_lo, exec_lo, s62
	s_and_saveexec_b32 s61, s60
	s_cbranch_execnz .LBB47_3390
	s_branch .LBB47_3391
.LBB47_3634:                            ;   in Loop: Header=BB47_17 Depth=1
	s_mov_b32 s61, -1
	s_mov_b32 s64, exec_lo
                                        ; implicit-def: $sgpr62
	v_cmpx_eq_u16_e32 0x80, v0
; %bb.3635:                             ;   in Loop: Header=BB47_17 Depth=1
	s_mov_b32 s62, 0x7f800001
	s_xor_b32 s61, exec_lo, -1
; %bb.3636:                             ;   in Loop: Header=BB47_17 Depth=1
	s_or_b32 exec_lo, exec_lo, s64
	s_delay_alu instid0(SALU_CYCLE_1)
	s_and_b32 s61, s61, exec_lo
	s_or_saveexec_b32 s63, s63
	v_mov_b32_e32 v15, s62
	s_xor_b32 exec_lo, exec_lo, s63
	s_cbranch_execz .LBB47_3300
.LBB47_3637:                            ;   in Loop: Header=BB47_17 Depth=1
	v_cmp_ne_u16_e32 vcc_lo, 0, v0
	v_mov_b32_e32 v15, 0
	s_and_not1_b32 s61, s61, exec_lo
	s_and_b32 vcc_lo, vcc_lo, exec_lo
	s_delay_alu instid0(SALU_CYCLE_1)
	s_or_b32 s61, s61, vcc_lo
	s_or_b32 exec_lo, exec_lo, s63
	s_and_saveexec_b32 s62, s61
	s_cbranch_execnz .LBB47_3301
	s_branch .LBB47_3302
.LBB47_3638:                            ;   in Loop: Header=BB47_17 Depth=1
	s_mov_b32 s61, -1
	s_mov_b32 s64, exec_lo
                                        ; implicit-def: $sgpr62
	v_cmpx_eq_u16_e32 0x80, v0
; %bb.3639:                             ;   in Loop: Header=BB47_17 Depth=1
	s_mov_b32 s62, 0x7f800001
	s_xor_b32 s61, exec_lo, -1
; %bb.3640:                             ;   in Loop: Header=BB47_17 Depth=1
	s_or_b32 exec_lo, exec_lo, s64
	s_delay_alu instid0(SALU_CYCLE_1)
	s_and_b32 s61, s61, exec_lo
	s_or_saveexec_b32 s63, s63
	v_mov_b32_e32 v16, s62
	s_xor_b32 exec_lo, exec_lo, s63
	s_cbranch_execz .LBB47_3400
.LBB47_3641:                            ;   in Loop: Header=BB47_17 Depth=1
	v_cmp_ne_u16_e32 vcc_lo, 0, v0
	v_mov_b32_e32 v16, 0
	s_and_not1_b32 s61, s61, exec_lo
	s_and_b32 vcc_lo, vcc_lo, exec_lo
	s_delay_alu instid0(SALU_CYCLE_1)
	s_or_b32 s61, s61, vcc_lo
	s_or_b32 exec_lo, exec_lo, s63
	s_and_saveexec_b32 s62, s61
	s_cbranch_execnz .LBB47_3401
	s_branch .LBB47_3402
.LBB47_3642:                            ;   in Loop: Header=BB47_17 Depth=1
	s_mov_b32 s63, -1
	s_mov_b32 s66, exec_lo
                                        ; implicit-def: $sgpr64
	v_cmpx_eq_u16_e32 0x80, v0
; %bb.3643:                             ;   in Loop: Header=BB47_17 Depth=1
	s_mov_b32 s64, 0x7f800001
	s_xor_b32 s63, exec_lo, -1
; %bb.3644:                             ;   in Loop: Header=BB47_17 Depth=1
	s_or_b32 exec_lo, exec_lo, s66
	s_delay_alu instid0(SALU_CYCLE_1)
	s_and_b32 s63, s63, exec_lo
	s_or_saveexec_b32 s65, s65
	v_mov_b32_e32 v15, s64
	s_xor_b32 exec_lo, exec_lo, s65
	s_cbranch_execz .LBB47_3513
.LBB47_3645:                            ;   in Loop: Header=BB47_17 Depth=1
	v_cmp_ne_u16_e32 vcc_lo, 0, v0
	v_mov_b32_e32 v15, 0
	s_and_not1_b32 s63, s63, exec_lo
	s_and_b32 vcc_lo, vcc_lo, exec_lo
	s_delay_alu instid0(SALU_CYCLE_1)
	s_or_b32 s63, s63, vcc_lo
	s_or_b32 exec_lo, exec_lo, s65
	s_and_saveexec_b32 s64, s63
	s_cbranch_execnz .LBB47_3514
	s_branch .LBB47_3515
.LBB47_3646:                            ;   in Loop: Header=BB47_17 Depth=1
	s_mov_b32 s64, -1
	s_mov_b32 s67, exec_lo
                                        ; implicit-def: $sgpr65
	v_cmpx_eq_u16_e32 0x80, v0
; %bb.3647:                             ;   in Loop: Header=BB47_17 Depth=1
	s_mov_b32 s65, 0x7f800001
	s_xor_b32 s64, exec_lo, -1
; %bb.3648:                             ;   in Loop: Header=BB47_17 Depth=1
	s_or_b32 exec_lo, exec_lo, s67
	s_delay_alu instid0(SALU_CYCLE_1)
	s_and_b32 s64, s64, exec_lo
	s_or_saveexec_b32 s66, s66
	v_mov_b32_e32 v15, s65
	s_xor_b32 exec_lo, exec_lo, s66
	s_cbranch_execz .LBB47_3524
.LBB47_3649:                            ;   in Loop: Header=BB47_17 Depth=1
	v_cmp_ne_u16_e32 vcc_lo, 0, v0
	v_mov_b32_e32 v15, 0
	s_and_not1_b32 s64, s64, exec_lo
	s_and_b32 vcc_lo, vcc_lo, exec_lo
	s_delay_alu instid0(SALU_CYCLE_1)
	s_or_b32 s64, s64, vcc_lo
	s_or_b32 exec_lo, exec_lo, s66
	s_and_saveexec_b32 s65, s64
	s_cbranch_execnz .LBB47_3525
	s_branch .LBB47_3526
.LBB47_3650:
	s_or_b32 exec_lo, exec_lo, s0
	s_xor_b32 s1, s3, -1
	s_xor_b32 s2, s2, -1
	s_mov_b32 s0, 0
	s_and_saveexec_b32 s3, s2
	s_delay_alu instid0(SALU_CYCLE_1)
	s_xor_b32 s12, exec_lo, s3
	s_cbranch_execz .LBB47_4214
; %bb.3651:
	s_and_saveexec_b32 s2, s1
	s_delay_alu instid0(SALU_CYCLE_1)
	s_xor_b32 s13, exec_lo, s2
	s_cbranch_execz .LBB47_4212
; %bb.3652:
	v_cmp_lt_i32_e64 s10, v37, v6
                                        ; implicit-def: $vgpr36
	s_delay_alu instid0(VALU_DEP_1)
	s_and_saveexec_b32 s14, s10
	s_cbranch_execz .LBB47_3654
; %bb.3653:
	scratch_load_b64 v[0:1], off, s33
	s_getpc_b64 s[0:1]
	s_add_u32 s0, s0, _ZN3c104guts5applyIRN2at6native13BinaryFunctorIfffZZZNS3_12_GLOBAL__N_132hermite_polynomial_h_kernel_cudaERNS2_18TensorIteratorBaseEENKUlvE_clEvENKUlvE0_clEvEUlffE_EERSt5tupleIJffEEEEDaOT_OT0_@rel32@lo+4
	s_addc_u32 s1, s1, _ZN3c104guts5applyIRN2at6native13BinaryFunctorIfffZZZNS3_12_GLOBAL__N_132hermite_polynomial_h_kernel_cudaERNS2_18TensorIteratorBaseEENKUlvE_clEvENKUlvE0_clEvEUlffE_EERSt5tupleIJffEEEEDaOT_OT0_@rel32@hi+12
	s_delay_alu instid0(SALU_CYCLE_1)
	s_swappc_b64 s[30:31], s[0:1]
	v_mov_b32_e32 v36, v0
.LBB47_3654:
	s_or_b32 exec_lo, exec_lo, s14
	v_add_nc_u32_e32 v10, 0x200, v37
	s_mov_b32 s14, exec_lo
                                        ; implicit-def: $vgpr35
	s_delay_alu instid0(VALU_DEP_1)
	v_cmpx_lt_i32_e64 v10, v6
	s_cbranch_execz .LBB47_3656
; %bb.3655:
	scratch_load_b64 v[0:1], off, s33 offset:8
	s_getpc_b64 s[0:1]
	s_add_u32 s0, s0, _ZN3c104guts5applyIRN2at6native13BinaryFunctorIfffZZZNS3_12_GLOBAL__N_132hermite_polynomial_h_kernel_cudaERNS2_18TensorIteratorBaseEENKUlvE_clEvENKUlvE0_clEvEUlffE_EERSt5tupleIJffEEEEDaOT_OT0_@rel32@lo+4
	s_addc_u32 s1, s1, _ZN3c104guts5applyIRN2at6native13BinaryFunctorIfffZZZNS3_12_GLOBAL__N_132hermite_polynomial_h_kernel_cudaERNS2_18TensorIteratorBaseEENKUlvE_clEvENKUlvE0_clEvEUlffE_EERSt5tupleIJffEEEEDaOT_OT0_@rel32@hi+12
	s_delay_alu instid0(SALU_CYCLE_1)
	s_swappc_b64 s[30:31], s[0:1]
	v_mov_b32_e32 v35, v0
.LBB47_3656:
	s_or_b32 exec_lo, exec_lo, s14
	v_or_b32_e32 v0, 0x400, v37
	s_mov_b32 s14, exec_lo
                                        ; implicit-def: $vgpr34
	s_delay_alu instid0(VALU_DEP_1)
	v_cmpx_lt_i32_e64 v0, v6
	s_cbranch_execz .LBB47_3658
; %bb.3657:
	scratch_load_b64 v[0:1], off, s33 offset:16
	s_getpc_b64 s[0:1]
	s_add_u32 s0, s0, _ZN3c104guts5applyIRN2at6native13BinaryFunctorIfffZZZNS3_12_GLOBAL__N_132hermite_polynomial_h_kernel_cudaERNS2_18TensorIteratorBaseEENKUlvE_clEvENKUlvE0_clEvEUlffE_EERSt5tupleIJffEEEEDaOT_OT0_@rel32@lo+4
	s_addc_u32 s1, s1, _ZN3c104guts5applyIRN2at6native13BinaryFunctorIfffZZZNS3_12_GLOBAL__N_132hermite_polynomial_h_kernel_cudaERNS2_18TensorIteratorBaseEENKUlvE_clEvENKUlvE0_clEvEUlffE_EERSt5tupleIJffEEEEDaOT_OT0_@rel32@hi+12
	s_delay_alu instid0(SALU_CYCLE_1)
	s_swappc_b64 s[30:31], s[0:1]
	v_mov_b32_e32 v34, v0
.LBB47_3658:
	s_or_b32 exec_lo, exec_lo, s14
	v_add_nc_u32_e32 v0, 0x600, v37
	s_mov_b32 s14, exec_lo
                                        ; implicit-def: $vgpr33
	s_delay_alu instid0(VALU_DEP_1)
	v_cmpx_lt_i32_e64 v0, v6
	s_cbranch_execz .LBB47_3660
; %bb.3659:
	scratch_load_b64 v[0:1], off, s33 offset:24
	s_getpc_b64 s[0:1]
	s_add_u32 s0, s0, _ZN3c104guts5applyIRN2at6native13BinaryFunctorIfffZZZNS3_12_GLOBAL__N_132hermite_polynomial_h_kernel_cudaERNS2_18TensorIteratorBaseEENKUlvE_clEvENKUlvE0_clEvEUlffE_EERSt5tupleIJffEEEEDaOT_OT0_@rel32@lo+4
	s_addc_u32 s1, s1, _ZN3c104guts5applyIRN2at6native13BinaryFunctorIfffZZZNS3_12_GLOBAL__N_132hermite_polynomial_h_kernel_cudaERNS2_18TensorIteratorBaseEENKUlvE_clEvENKUlvE0_clEvEUlffE_EERSt5tupleIJffEEEEDaOT_OT0_@rel32@hi+12
	s_delay_alu instid0(SALU_CYCLE_1)
	s_swappc_b64 s[30:31], s[0:1]
	v_mov_b32_e32 v33, v0
.LBB47_3660:
	s_or_b32 exec_lo, exec_lo, s14
	v_or_b32_e32 v0, 0x800, v37
	s_mov_b32 s14, exec_lo
                                        ; implicit-def: $vgpr32
	s_delay_alu instid0(VALU_DEP_1)
	v_cmpx_lt_i32_e64 v0, v6
	s_cbranch_execz .LBB47_3662
; %bb.3661:
	scratch_load_b64 v[0:1], off, s33 offset:32
	s_getpc_b64 s[0:1]
	s_add_u32 s0, s0, _ZN3c104guts5applyIRN2at6native13BinaryFunctorIfffZZZNS3_12_GLOBAL__N_132hermite_polynomial_h_kernel_cudaERNS2_18TensorIteratorBaseEENKUlvE_clEvENKUlvE0_clEvEUlffE_EERSt5tupleIJffEEEEDaOT_OT0_@rel32@lo+4
	s_addc_u32 s1, s1, _ZN3c104guts5applyIRN2at6native13BinaryFunctorIfffZZZNS3_12_GLOBAL__N_132hermite_polynomial_h_kernel_cudaERNS2_18TensorIteratorBaseEENKUlvE_clEvENKUlvE0_clEvEUlffE_EERSt5tupleIJffEEEEDaOT_OT0_@rel32@hi+12
	s_delay_alu instid0(SALU_CYCLE_1)
	s_swappc_b64 s[30:31], s[0:1]
	v_mov_b32_e32 v32, v0
.LBB47_3662:
	s_or_b32 exec_lo, exec_lo, s14
	v_add_nc_u32_e32 v0, 0xa00, v37
	s_mov_b32 s14, exec_lo
                                        ; implicit-def: $vgpr31
	s_delay_alu instid0(VALU_DEP_1)
	v_cmpx_lt_i32_e64 v0, v6
	s_cbranch_execz .LBB47_3664
; %bb.3663:
	scratch_load_b64 v[0:1], off, s33 offset:40
	s_getpc_b64 s[0:1]
	s_add_u32 s0, s0, _ZN3c104guts5applyIRN2at6native13BinaryFunctorIfffZZZNS3_12_GLOBAL__N_132hermite_polynomial_h_kernel_cudaERNS2_18TensorIteratorBaseEENKUlvE_clEvENKUlvE0_clEvEUlffE_EERSt5tupleIJffEEEEDaOT_OT0_@rel32@lo+4
	s_addc_u32 s1, s1, _ZN3c104guts5applyIRN2at6native13BinaryFunctorIfffZZZNS3_12_GLOBAL__N_132hermite_polynomial_h_kernel_cudaERNS2_18TensorIteratorBaseEENKUlvE_clEvENKUlvE0_clEvEUlffE_EERSt5tupleIJffEEEEDaOT_OT0_@rel32@hi+12
	s_delay_alu instid0(SALU_CYCLE_1)
	s_swappc_b64 s[30:31], s[0:1]
	v_mov_b32_e32 v31, v0
.LBB47_3664:
	s_or_b32 exec_lo, exec_lo, s14
	v_or_b32_e32 v0, 0xc00, v37
	s_mov_b32 s14, exec_lo
                                        ; implicit-def: $vgpr30
	s_delay_alu instid0(VALU_DEP_1)
	v_cmpx_lt_i32_e64 v0, v6
	s_cbranch_execz .LBB47_3666
; %bb.3665:
	scratch_load_b64 v[0:1], off, s33 offset:48
	s_getpc_b64 s[0:1]
	s_add_u32 s0, s0, _ZN3c104guts5applyIRN2at6native13BinaryFunctorIfffZZZNS3_12_GLOBAL__N_132hermite_polynomial_h_kernel_cudaERNS2_18TensorIteratorBaseEENKUlvE_clEvENKUlvE0_clEvEUlffE_EERSt5tupleIJffEEEEDaOT_OT0_@rel32@lo+4
	s_addc_u32 s1, s1, _ZN3c104guts5applyIRN2at6native13BinaryFunctorIfffZZZNS3_12_GLOBAL__N_132hermite_polynomial_h_kernel_cudaERNS2_18TensorIteratorBaseEENKUlvE_clEvENKUlvE0_clEvEUlffE_EERSt5tupleIJffEEEEDaOT_OT0_@rel32@hi+12
	s_delay_alu instid0(SALU_CYCLE_1)
	s_swappc_b64 s[30:31], s[0:1]
	v_mov_b32_e32 v30, v0
.LBB47_3666:
	s_or_b32 exec_lo, exec_lo, s14
	v_add_nc_u32_e32 v0, 0xe00, v37
	s_mov_b32 s14, exec_lo
                                        ; implicit-def: $vgpr29
	s_delay_alu instid0(VALU_DEP_1)
	v_cmpx_lt_i32_e64 v0, v6
	s_cbranch_execz .LBB47_3668
; %bb.3667:
	scratch_load_b64 v[0:1], off, s33 offset:56
	s_getpc_b64 s[0:1]
	s_add_u32 s0, s0, _ZN3c104guts5applyIRN2at6native13BinaryFunctorIfffZZZNS3_12_GLOBAL__N_132hermite_polynomial_h_kernel_cudaERNS2_18TensorIteratorBaseEENKUlvE_clEvENKUlvE0_clEvEUlffE_EERSt5tupleIJffEEEEDaOT_OT0_@rel32@lo+4
	s_addc_u32 s1, s1, _ZN3c104guts5applyIRN2at6native13BinaryFunctorIfffZZZNS3_12_GLOBAL__N_132hermite_polynomial_h_kernel_cudaERNS2_18TensorIteratorBaseEENKUlvE_clEvENKUlvE0_clEvEUlffE_EERSt5tupleIJffEEEEDaOT_OT0_@rel32@hi+12
	s_delay_alu instid0(SALU_CYCLE_1)
	s_swappc_b64 s[30:31], s[0:1]
	v_mov_b32_e32 v29, v0
.LBB47_3668:
	s_or_b32 exec_lo, exec_lo, s14
	v_or_b32_e32 v0, 0x1000, v37
	s_mov_b32 s14, exec_lo
                                        ; implicit-def: $vgpr28
	s_delay_alu instid0(VALU_DEP_1)
	v_cmpx_lt_i32_e64 v0, v6
	s_cbranch_execz .LBB47_3670
; %bb.3669:
	scratch_load_b64 v[0:1], off, s33 offset:64
	s_getpc_b64 s[0:1]
	s_add_u32 s0, s0, _ZN3c104guts5applyIRN2at6native13BinaryFunctorIfffZZZNS3_12_GLOBAL__N_132hermite_polynomial_h_kernel_cudaERNS2_18TensorIteratorBaseEENKUlvE_clEvENKUlvE0_clEvEUlffE_EERSt5tupleIJffEEEEDaOT_OT0_@rel32@lo+4
	s_addc_u32 s1, s1, _ZN3c104guts5applyIRN2at6native13BinaryFunctorIfffZZZNS3_12_GLOBAL__N_132hermite_polynomial_h_kernel_cudaERNS2_18TensorIteratorBaseEENKUlvE_clEvENKUlvE0_clEvEUlffE_EERSt5tupleIJffEEEEDaOT_OT0_@rel32@hi+12
	s_delay_alu instid0(SALU_CYCLE_1)
	s_swappc_b64 s[30:31], s[0:1]
	v_mov_b32_e32 v28, v0
.LBB47_3670:
	s_or_b32 exec_lo, exec_lo, s14
	v_add_nc_u32_e32 v0, 0x1200, v37
	s_mov_b32 s14, exec_lo
                                        ; implicit-def: $vgpr27
	s_delay_alu instid0(VALU_DEP_1)
	v_cmpx_lt_i32_e64 v0, v6
	s_cbranch_execz .LBB47_3672
; %bb.3671:
	scratch_load_b64 v[0:1], off, s33 offset:72
	s_getpc_b64 s[0:1]
	s_add_u32 s0, s0, _ZN3c104guts5applyIRN2at6native13BinaryFunctorIfffZZZNS3_12_GLOBAL__N_132hermite_polynomial_h_kernel_cudaERNS2_18TensorIteratorBaseEENKUlvE_clEvENKUlvE0_clEvEUlffE_EERSt5tupleIJffEEEEDaOT_OT0_@rel32@lo+4
	s_addc_u32 s1, s1, _ZN3c104guts5applyIRN2at6native13BinaryFunctorIfffZZZNS3_12_GLOBAL__N_132hermite_polynomial_h_kernel_cudaERNS2_18TensorIteratorBaseEENKUlvE_clEvENKUlvE0_clEvEUlffE_EERSt5tupleIJffEEEEDaOT_OT0_@rel32@hi+12
	s_delay_alu instid0(SALU_CYCLE_1)
	s_swappc_b64 s[30:31], s[0:1]
	v_mov_b32_e32 v27, v0
.LBB47_3672:
	s_or_b32 exec_lo, exec_lo, s14
	v_or_b32_e32 v0, 0x1400, v37
	s_mov_b32 s14, exec_lo
                                        ; implicit-def: $vgpr26
	s_delay_alu instid0(VALU_DEP_1)
	v_cmpx_lt_i32_e64 v0, v6
	s_cbranch_execz .LBB47_3674
; %bb.3673:
	scratch_load_b64 v[0:1], off, s33 offset:80
	s_getpc_b64 s[0:1]
	s_add_u32 s0, s0, _ZN3c104guts5applyIRN2at6native13BinaryFunctorIfffZZZNS3_12_GLOBAL__N_132hermite_polynomial_h_kernel_cudaERNS2_18TensorIteratorBaseEENKUlvE_clEvENKUlvE0_clEvEUlffE_EERSt5tupleIJffEEEEDaOT_OT0_@rel32@lo+4
	s_addc_u32 s1, s1, _ZN3c104guts5applyIRN2at6native13BinaryFunctorIfffZZZNS3_12_GLOBAL__N_132hermite_polynomial_h_kernel_cudaERNS2_18TensorIteratorBaseEENKUlvE_clEvENKUlvE0_clEvEUlffE_EERSt5tupleIJffEEEEDaOT_OT0_@rel32@hi+12
	s_delay_alu instid0(SALU_CYCLE_1)
	s_swappc_b64 s[30:31], s[0:1]
	v_mov_b32_e32 v26, v0
.LBB47_3674:
	s_or_b32 exec_lo, exec_lo, s14
	v_add_nc_u32_e32 v0, 0x1600, v37
	s_mov_b32 s14, exec_lo
                                        ; implicit-def: $vgpr25
	s_delay_alu instid0(VALU_DEP_1)
	v_cmpx_lt_i32_e64 v0, v6
	s_cbranch_execz .LBB47_3676
; %bb.3675:
	scratch_load_b64 v[0:1], off, s33 offset:88
	s_getpc_b64 s[0:1]
	s_add_u32 s0, s0, _ZN3c104guts5applyIRN2at6native13BinaryFunctorIfffZZZNS3_12_GLOBAL__N_132hermite_polynomial_h_kernel_cudaERNS2_18TensorIteratorBaseEENKUlvE_clEvENKUlvE0_clEvEUlffE_EERSt5tupleIJffEEEEDaOT_OT0_@rel32@lo+4
	s_addc_u32 s1, s1, _ZN3c104guts5applyIRN2at6native13BinaryFunctorIfffZZZNS3_12_GLOBAL__N_132hermite_polynomial_h_kernel_cudaERNS2_18TensorIteratorBaseEENKUlvE_clEvENKUlvE0_clEvEUlffE_EERSt5tupleIJffEEEEDaOT_OT0_@rel32@hi+12
	s_delay_alu instid0(SALU_CYCLE_1)
	s_swappc_b64 s[30:31], s[0:1]
	v_mov_b32_e32 v25, v0
.LBB47_3676:
	s_or_b32 exec_lo, exec_lo, s14
	v_or_b32_e32 v0, 0x1800, v37
	s_mov_b32 s14, exec_lo
                                        ; implicit-def: $vgpr24
	s_delay_alu instid0(VALU_DEP_1)
	v_cmpx_lt_i32_e64 v0, v6
	s_cbranch_execz .LBB47_3678
; %bb.3677:
	scratch_load_b64 v[0:1], off, s33 offset:96
	s_getpc_b64 s[0:1]
	s_add_u32 s0, s0, _ZN3c104guts5applyIRN2at6native13BinaryFunctorIfffZZZNS3_12_GLOBAL__N_132hermite_polynomial_h_kernel_cudaERNS2_18TensorIteratorBaseEENKUlvE_clEvENKUlvE0_clEvEUlffE_EERSt5tupleIJffEEEEDaOT_OT0_@rel32@lo+4
	s_addc_u32 s1, s1, _ZN3c104guts5applyIRN2at6native13BinaryFunctorIfffZZZNS3_12_GLOBAL__N_132hermite_polynomial_h_kernel_cudaERNS2_18TensorIteratorBaseEENKUlvE_clEvENKUlvE0_clEvEUlffE_EERSt5tupleIJffEEEEDaOT_OT0_@rel32@hi+12
	s_delay_alu instid0(SALU_CYCLE_1)
	s_swappc_b64 s[30:31], s[0:1]
	v_mov_b32_e32 v24, v0
.LBB47_3678:
	s_or_b32 exec_lo, exec_lo, s14
	v_add_nc_u32_e32 v0, 0x1a00, v37
	s_mov_b32 s14, exec_lo
                                        ; implicit-def: $vgpr23
	s_delay_alu instid0(VALU_DEP_1)
	v_cmpx_lt_i32_e64 v0, v6
	s_cbranch_execz .LBB47_3680
; %bb.3679:
	scratch_load_b64 v[0:1], off, s33 offset:104
	s_getpc_b64 s[0:1]
	s_add_u32 s0, s0, _ZN3c104guts5applyIRN2at6native13BinaryFunctorIfffZZZNS3_12_GLOBAL__N_132hermite_polynomial_h_kernel_cudaERNS2_18TensorIteratorBaseEENKUlvE_clEvENKUlvE0_clEvEUlffE_EERSt5tupleIJffEEEEDaOT_OT0_@rel32@lo+4
	s_addc_u32 s1, s1, _ZN3c104guts5applyIRN2at6native13BinaryFunctorIfffZZZNS3_12_GLOBAL__N_132hermite_polynomial_h_kernel_cudaERNS2_18TensorIteratorBaseEENKUlvE_clEvENKUlvE0_clEvEUlffE_EERSt5tupleIJffEEEEDaOT_OT0_@rel32@hi+12
	s_delay_alu instid0(SALU_CYCLE_1)
	s_swappc_b64 s[30:31], s[0:1]
	v_mov_b32_e32 v23, v0
.LBB47_3680:
	s_or_b32 exec_lo, exec_lo, s14
	v_or_b32_e32 v0, 0x1c00, v37
	s_mov_b32 s14, exec_lo
                                        ; implicit-def: $vgpr22
	s_delay_alu instid0(VALU_DEP_1)
	v_cmpx_lt_i32_e64 v0, v6
	s_cbranch_execz .LBB47_3682
; %bb.3681:
	scratch_load_b64 v[0:1], off, s33 offset:112
	s_getpc_b64 s[0:1]
	s_add_u32 s0, s0, _ZN3c104guts5applyIRN2at6native13BinaryFunctorIfffZZZNS3_12_GLOBAL__N_132hermite_polynomial_h_kernel_cudaERNS2_18TensorIteratorBaseEENKUlvE_clEvENKUlvE0_clEvEUlffE_EERSt5tupleIJffEEEEDaOT_OT0_@rel32@lo+4
	s_addc_u32 s1, s1, _ZN3c104guts5applyIRN2at6native13BinaryFunctorIfffZZZNS3_12_GLOBAL__N_132hermite_polynomial_h_kernel_cudaERNS2_18TensorIteratorBaseEENKUlvE_clEvENKUlvE0_clEvEUlffE_EERSt5tupleIJffEEEEDaOT_OT0_@rel32@hi+12
	s_delay_alu instid0(SALU_CYCLE_1)
	s_swappc_b64 s[30:31], s[0:1]
	v_mov_b32_e32 v22, v0
.LBB47_3682:
	s_or_b32 exec_lo, exec_lo, s14
	v_add_nc_u32_e32 v0, 0x1e00, v37
	s_mov_b32 s14, exec_lo
                                        ; implicit-def: $vgpr21
	s_delay_alu instid0(VALU_DEP_1)
	v_cmpx_lt_i32_e64 v0, v6
	s_cbranch_execz .LBB47_3684
; %bb.3683:
	scratch_load_b64 v[0:1], off, s33 offset:120
	s_getpc_b64 s[0:1]
	s_add_u32 s0, s0, _ZN3c104guts5applyIRN2at6native13BinaryFunctorIfffZZZNS3_12_GLOBAL__N_132hermite_polynomial_h_kernel_cudaERNS2_18TensorIteratorBaseEENKUlvE_clEvENKUlvE0_clEvEUlffE_EERSt5tupleIJffEEEEDaOT_OT0_@rel32@lo+4
	s_addc_u32 s1, s1, _ZN3c104guts5applyIRN2at6native13BinaryFunctorIfffZZZNS3_12_GLOBAL__N_132hermite_polynomial_h_kernel_cudaERNS2_18TensorIteratorBaseEENKUlvE_clEvENKUlvE0_clEvEUlffE_EERSt5tupleIJffEEEEDaOT_OT0_@rel32@hi+12
	s_delay_alu instid0(SALU_CYCLE_1)
	s_swappc_b64 s[30:31], s[0:1]
	v_mov_b32_e32 v21, v0
.LBB47_3684:
	s_or_b32 exec_lo, exec_lo, s14
	v_or_b32_e32 v0, 0x2000, v37
	s_mov_b32 s14, exec_lo
                                        ; implicit-def: $vgpr20
	s_delay_alu instid0(VALU_DEP_1)
	v_cmpx_lt_i32_e64 v0, v6
	s_cbranch_execz .LBB47_3686
; %bb.3685:
	scratch_load_b64 v[0:1], off, s33 offset:128
	s_getpc_b64 s[0:1]
	s_add_u32 s0, s0, _ZN3c104guts5applyIRN2at6native13BinaryFunctorIfffZZZNS3_12_GLOBAL__N_132hermite_polynomial_h_kernel_cudaERNS2_18TensorIteratorBaseEENKUlvE_clEvENKUlvE0_clEvEUlffE_EERSt5tupleIJffEEEEDaOT_OT0_@rel32@lo+4
	s_addc_u32 s1, s1, _ZN3c104guts5applyIRN2at6native13BinaryFunctorIfffZZZNS3_12_GLOBAL__N_132hermite_polynomial_h_kernel_cudaERNS2_18TensorIteratorBaseEENKUlvE_clEvENKUlvE0_clEvEUlffE_EERSt5tupleIJffEEEEDaOT_OT0_@rel32@hi+12
	s_delay_alu instid0(SALU_CYCLE_1)
	s_swappc_b64 s[30:31], s[0:1]
	v_mov_b32_e32 v20, v0
.LBB47_3686:
	s_or_b32 exec_lo, exec_lo, s14
	v_add_nc_u32_e32 v0, 0x2200, v37
	s_mov_b32 s14, exec_lo
                                        ; implicit-def: $vgpr19
	s_delay_alu instid0(VALU_DEP_1)
	v_cmpx_lt_i32_e64 v0, v6
	s_cbranch_execz .LBB47_3688
; %bb.3687:
	scratch_load_b64 v[0:1], off, s33 offset:136
	s_getpc_b64 s[0:1]
	s_add_u32 s0, s0, _ZN3c104guts5applyIRN2at6native13BinaryFunctorIfffZZZNS3_12_GLOBAL__N_132hermite_polynomial_h_kernel_cudaERNS2_18TensorIteratorBaseEENKUlvE_clEvENKUlvE0_clEvEUlffE_EERSt5tupleIJffEEEEDaOT_OT0_@rel32@lo+4
	s_addc_u32 s1, s1, _ZN3c104guts5applyIRN2at6native13BinaryFunctorIfffZZZNS3_12_GLOBAL__N_132hermite_polynomial_h_kernel_cudaERNS2_18TensorIteratorBaseEENKUlvE_clEvENKUlvE0_clEvEUlffE_EERSt5tupleIJffEEEEDaOT_OT0_@rel32@hi+12
	s_delay_alu instid0(SALU_CYCLE_1)
	s_swappc_b64 s[30:31], s[0:1]
	v_mov_b32_e32 v19, v0
.LBB47_3688:
	s_or_b32 exec_lo, exec_lo, s14
	v_or_b32_e32 v0, 0x2400, v37
	s_mov_b32 s14, exec_lo
                                        ; implicit-def: $vgpr18
	s_delay_alu instid0(VALU_DEP_1)
	v_cmpx_lt_i32_e64 v0, v6
	s_cbranch_execz .LBB47_3690
; %bb.3689:
	scratch_load_b64 v[0:1], off, s33 offset:144
	s_getpc_b64 s[0:1]
	s_add_u32 s0, s0, _ZN3c104guts5applyIRN2at6native13BinaryFunctorIfffZZZNS3_12_GLOBAL__N_132hermite_polynomial_h_kernel_cudaERNS2_18TensorIteratorBaseEENKUlvE_clEvENKUlvE0_clEvEUlffE_EERSt5tupleIJffEEEEDaOT_OT0_@rel32@lo+4
	s_addc_u32 s1, s1, _ZN3c104guts5applyIRN2at6native13BinaryFunctorIfffZZZNS3_12_GLOBAL__N_132hermite_polynomial_h_kernel_cudaERNS2_18TensorIteratorBaseEENKUlvE_clEvENKUlvE0_clEvEUlffE_EERSt5tupleIJffEEEEDaOT_OT0_@rel32@hi+12
	s_delay_alu instid0(SALU_CYCLE_1)
	s_swappc_b64 s[30:31], s[0:1]
	v_mov_b32_e32 v18, v0
.LBB47_3690:
	s_or_b32 exec_lo, exec_lo, s14
	v_add_nc_u32_e32 v0, 0x2600, v37
	s_mov_b32 s14, exec_lo
                                        ; implicit-def: $vgpr17
	s_delay_alu instid0(VALU_DEP_1)
	v_cmpx_lt_i32_e64 v0, v6
	s_cbranch_execz .LBB47_3692
; %bb.3691:
	scratch_load_b64 v[0:1], off, s33 offset:152
	s_getpc_b64 s[0:1]
	s_add_u32 s0, s0, _ZN3c104guts5applyIRN2at6native13BinaryFunctorIfffZZZNS3_12_GLOBAL__N_132hermite_polynomial_h_kernel_cudaERNS2_18TensorIteratorBaseEENKUlvE_clEvENKUlvE0_clEvEUlffE_EERSt5tupleIJffEEEEDaOT_OT0_@rel32@lo+4
	s_addc_u32 s1, s1, _ZN3c104guts5applyIRN2at6native13BinaryFunctorIfffZZZNS3_12_GLOBAL__N_132hermite_polynomial_h_kernel_cudaERNS2_18TensorIteratorBaseEENKUlvE_clEvENKUlvE0_clEvEUlffE_EERSt5tupleIJffEEEEDaOT_OT0_@rel32@hi+12
	s_delay_alu instid0(SALU_CYCLE_1)
	s_swappc_b64 s[30:31], s[0:1]
	v_mov_b32_e32 v17, v0
.LBB47_3692:
	s_or_b32 exec_lo, exec_lo, s14
	v_or_b32_e32 v0, 0x2800, v37
	s_mov_b32 s14, exec_lo
                                        ; implicit-def: $vgpr16
	s_delay_alu instid0(VALU_DEP_1)
	v_cmpx_lt_i32_e64 v0, v6
	s_cbranch_execz .LBB47_3694
; %bb.3693:
	scratch_load_b64 v[0:1], off, s33 offset:160
	s_getpc_b64 s[0:1]
	s_add_u32 s0, s0, _ZN3c104guts5applyIRN2at6native13BinaryFunctorIfffZZZNS3_12_GLOBAL__N_132hermite_polynomial_h_kernel_cudaERNS2_18TensorIteratorBaseEENKUlvE_clEvENKUlvE0_clEvEUlffE_EERSt5tupleIJffEEEEDaOT_OT0_@rel32@lo+4
	s_addc_u32 s1, s1, _ZN3c104guts5applyIRN2at6native13BinaryFunctorIfffZZZNS3_12_GLOBAL__N_132hermite_polynomial_h_kernel_cudaERNS2_18TensorIteratorBaseEENKUlvE_clEvENKUlvE0_clEvEUlffE_EERSt5tupleIJffEEEEDaOT_OT0_@rel32@hi+12
	s_delay_alu instid0(SALU_CYCLE_1)
	s_swappc_b64 s[30:31], s[0:1]
	v_mov_b32_e32 v16, v0
.LBB47_3694:
	s_or_b32 exec_lo, exec_lo, s14
	v_add_nc_u32_e32 v0, 0x2a00, v37
	s_mov_b32 s14, exec_lo
                                        ; implicit-def: $vgpr15
	s_delay_alu instid0(VALU_DEP_1)
	v_cmpx_lt_i32_e64 v0, v6
	s_cbranch_execz .LBB47_3696
; %bb.3695:
	scratch_load_b64 v[0:1], off, s33 offset:168
	s_getpc_b64 s[0:1]
	s_add_u32 s0, s0, _ZN3c104guts5applyIRN2at6native13BinaryFunctorIfffZZZNS3_12_GLOBAL__N_132hermite_polynomial_h_kernel_cudaERNS2_18TensorIteratorBaseEENKUlvE_clEvENKUlvE0_clEvEUlffE_EERSt5tupleIJffEEEEDaOT_OT0_@rel32@lo+4
	s_addc_u32 s1, s1, _ZN3c104guts5applyIRN2at6native13BinaryFunctorIfffZZZNS3_12_GLOBAL__N_132hermite_polynomial_h_kernel_cudaERNS2_18TensorIteratorBaseEENKUlvE_clEvENKUlvE0_clEvEUlffE_EERSt5tupleIJffEEEEDaOT_OT0_@rel32@hi+12
	s_delay_alu instid0(SALU_CYCLE_1)
	s_swappc_b64 s[30:31], s[0:1]
	v_mov_b32_e32 v15, v0
.LBB47_3696:
	s_or_b32 exec_lo, exec_lo, s14
	v_or_b32_e32 v0, 0x2c00, v37
	s_mov_b32 s14, exec_lo
                                        ; implicit-def: $vgpr14
	s_delay_alu instid0(VALU_DEP_1)
	v_cmpx_lt_i32_e64 v0, v6
	s_cbranch_execz .LBB47_3698
; %bb.3697:
	scratch_load_b64 v[0:1], off, s33 offset:176
	s_getpc_b64 s[0:1]
	s_add_u32 s0, s0, _ZN3c104guts5applyIRN2at6native13BinaryFunctorIfffZZZNS3_12_GLOBAL__N_132hermite_polynomial_h_kernel_cudaERNS2_18TensorIteratorBaseEENKUlvE_clEvENKUlvE0_clEvEUlffE_EERSt5tupleIJffEEEEDaOT_OT0_@rel32@lo+4
	s_addc_u32 s1, s1, _ZN3c104guts5applyIRN2at6native13BinaryFunctorIfffZZZNS3_12_GLOBAL__N_132hermite_polynomial_h_kernel_cudaERNS2_18TensorIteratorBaseEENKUlvE_clEvENKUlvE0_clEvEUlffE_EERSt5tupleIJffEEEEDaOT_OT0_@rel32@hi+12
	s_delay_alu instid0(SALU_CYCLE_1)
	s_swappc_b64 s[30:31], s[0:1]
	v_mov_b32_e32 v14, v0
.LBB47_3698:
	s_or_b32 exec_lo, exec_lo, s14
	v_add_nc_u32_e32 v0, 0x2e00, v37
	s_mov_b32 s14, exec_lo
                                        ; implicit-def: $vgpr13
	s_delay_alu instid0(VALU_DEP_1)
	v_cmpx_lt_i32_e64 v0, v6
	s_cbranch_execz .LBB47_3700
; %bb.3699:
	scratch_load_b64 v[0:1], off, s33 offset:184
	s_getpc_b64 s[0:1]
	s_add_u32 s0, s0, _ZN3c104guts5applyIRN2at6native13BinaryFunctorIfffZZZNS3_12_GLOBAL__N_132hermite_polynomial_h_kernel_cudaERNS2_18TensorIteratorBaseEENKUlvE_clEvENKUlvE0_clEvEUlffE_EERSt5tupleIJffEEEEDaOT_OT0_@rel32@lo+4
	s_addc_u32 s1, s1, _ZN3c104guts5applyIRN2at6native13BinaryFunctorIfffZZZNS3_12_GLOBAL__N_132hermite_polynomial_h_kernel_cudaERNS2_18TensorIteratorBaseEENKUlvE_clEvENKUlvE0_clEvEUlffE_EERSt5tupleIJffEEEEDaOT_OT0_@rel32@hi+12
	s_delay_alu instid0(SALU_CYCLE_1)
	s_swappc_b64 s[30:31], s[0:1]
	v_mov_b32_e32 v13, v0
.LBB47_3700:
	s_or_b32 exec_lo, exec_lo, s14
	v_or_b32_e32 v0, 0x3000, v37
	s_mov_b32 s14, exec_lo
                                        ; implicit-def: $vgpr49
	s_delay_alu instid0(VALU_DEP_1)
	v_cmpx_lt_i32_e64 v0, v6
	s_cbranch_execz .LBB47_3702
; %bb.3701:
	scratch_load_b64 v[0:1], off, s33 offset:192
	s_getpc_b64 s[0:1]
	s_add_u32 s0, s0, _ZN3c104guts5applyIRN2at6native13BinaryFunctorIfffZZZNS3_12_GLOBAL__N_132hermite_polynomial_h_kernel_cudaERNS2_18TensorIteratorBaseEENKUlvE_clEvENKUlvE0_clEvEUlffE_EERSt5tupleIJffEEEEDaOT_OT0_@rel32@lo+4
	s_addc_u32 s1, s1, _ZN3c104guts5applyIRN2at6native13BinaryFunctorIfffZZZNS3_12_GLOBAL__N_132hermite_polynomial_h_kernel_cudaERNS2_18TensorIteratorBaseEENKUlvE_clEvENKUlvE0_clEvEUlffE_EERSt5tupleIJffEEEEDaOT_OT0_@rel32@hi+12
	s_delay_alu instid0(SALU_CYCLE_1)
	s_swappc_b64 s[30:31], s[0:1]
	v_mov_b32_e32 v49, v0
.LBB47_3702:
	s_or_b32 exec_lo, exec_lo, s14
	v_add_nc_u32_e32 v0, 0x3200, v37
	s_mov_b32 s14, exec_lo
                                        ; implicit-def: $vgpr48
	s_delay_alu instid0(VALU_DEP_1)
	v_cmpx_lt_i32_e64 v0, v6
	s_cbranch_execz .LBB47_3704
; %bb.3703:
	scratch_load_b64 v[0:1], off, s33 offset:200
	s_getpc_b64 s[0:1]
	s_add_u32 s0, s0, _ZN3c104guts5applyIRN2at6native13BinaryFunctorIfffZZZNS3_12_GLOBAL__N_132hermite_polynomial_h_kernel_cudaERNS2_18TensorIteratorBaseEENKUlvE_clEvENKUlvE0_clEvEUlffE_EERSt5tupleIJffEEEEDaOT_OT0_@rel32@lo+4
	s_addc_u32 s1, s1, _ZN3c104guts5applyIRN2at6native13BinaryFunctorIfffZZZNS3_12_GLOBAL__N_132hermite_polynomial_h_kernel_cudaERNS2_18TensorIteratorBaseEENKUlvE_clEvENKUlvE0_clEvEUlffE_EERSt5tupleIJffEEEEDaOT_OT0_@rel32@hi+12
	s_delay_alu instid0(SALU_CYCLE_1)
	s_swappc_b64 s[30:31], s[0:1]
	v_mov_b32_e32 v48, v0
.LBB47_3704:
	s_or_b32 exec_lo, exec_lo, s14
	v_or_b32_e32 v0, 0x3400, v37
	s_mov_b32 s14, exec_lo
                                        ; implicit-def: $vgpr38
	s_delay_alu instid0(VALU_DEP_1)
	v_cmpx_lt_i32_e64 v0, v6
	s_cbranch_execz .LBB47_3706
; %bb.3705:
	scratch_load_b64 v[0:1], off, s33 offset:208
	s_getpc_b64 s[0:1]
	s_add_u32 s0, s0, _ZN3c104guts5applyIRN2at6native13BinaryFunctorIfffZZZNS3_12_GLOBAL__N_132hermite_polynomial_h_kernel_cudaERNS2_18TensorIteratorBaseEENKUlvE_clEvENKUlvE0_clEvEUlffE_EERSt5tupleIJffEEEEDaOT_OT0_@rel32@lo+4
	s_addc_u32 s1, s1, _ZN3c104guts5applyIRN2at6native13BinaryFunctorIfffZZZNS3_12_GLOBAL__N_132hermite_polynomial_h_kernel_cudaERNS2_18TensorIteratorBaseEENKUlvE_clEvENKUlvE0_clEvEUlffE_EERSt5tupleIJffEEEEDaOT_OT0_@rel32@hi+12
	s_delay_alu instid0(SALU_CYCLE_1)
	s_swappc_b64 s[30:31], s[0:1]
	v_mov_b32_e32 v38, v0
.LBB47_3706:
	s_or_b32 exec_lo, exec_lo, s14
	v_add_nc_u32_e32 v0, 0x3600, v37
	s_mov_b32 s14, exec_lo
                                        ; implicit-def: $vgpr9
	s_delay_alu instid0(VALU_DEP_1)
	v_cmpx_lt_i32_e64 v0, v6
	s_cbranch_execz .LBB47_3708
; %bb.3707:
	scratch_load_b64 v[0:1], off, s33 offset:216
	s_getpc_b64 s[0:1]
	s_add_u32 s0, s0, _ZN3c104guts5applyIRN2at6native13BinaryFunctorIfffZZZNS3_12_GLOBAL__N_132hermite_polynomial_h_kernel_cudaERNS2_18TensorIteratorBaseEENKUlvE_clEvENKUlvE0_clEvEUlffE_EERSt5tupleIJffEEEEDaOT_OT0_@rel32@lo+4
	s_addc_u32 s1, s1, _ZN3c104guts5applyIRN2at6native13BinaryFunctorIfffZZZNS3_12_GLOBAL__N_132hermite_polynomial_h_kernel_cudaERNS2_18TensorIteratorBaseEENKUlvE_clEvENKUlvE0_clEvEUlffE_EERSt5tupleIJffEEEEDaOT_OT0_@rel32@hi+12
	s_delay_alu instid0(SALU_CYCLE_1)
	s_swappc_b64 s[30:31], s[0:1]
	v_mov_b32_e32 v9, v0
.LBB47_3708:
	s_or_b32 exec_lo, exec_lo, s14
	v_or_b32_e32 v0, 0x3800, v37
	s_mov_b32 s14, exec_lo
                                        ; implicit-def: $vgpr8
	s_delay_alu instid0(VALU_DEP_1)
	v_cmpx_lt_i32_e64 v0, v6
	s_cbranch_execz .LBB47_3710
; %bb.3709:
	scratch_load_b64 v[0:1], off, s33 offset:224
	s_getpc_b64 s[0:1]
	s_add_u32 s0, s0, _ZN3c104guts5applyIRN2at6native13BinaryFunctorIfffZZZNS3_12_GLOBAL__N_132hermite_polynomial_h_kernel_cudaERNS2_18TensorIteratorBaseEENKUlvE_clEvENKUlvE0_clEvEUlffE_EERSt5tupleIJffEEEEDaOT_OT0_@rel32@lo+4
	s_addc_u32 s1, s1, _ZN3c104guts5applyIRN2at6native13BinaryFunctorIfffZZZNS3_12_GLOBAL__N_132hermite_polynomial_h_kernel_cudaERNS2_18TensorIteratorBaseEENKUlvE_clEvENKUlvE0_clEvEUlffE_EERSt5tupleIJffEEEEDaOT_OT0_@rel32@hi+12
	s_delay_alu instid0(SALU_CYCLE_1)
	s_swappc_b64 s[30:31], s[0:1]
	v_mov_b32_e32 v8, v0
.LBB47_3710:
	s_or_b32 exec_lo, exec_lo, s14
	v_add_nc_u32_e32 v0, 0x3a00, v37
	s_mov_b32 s14, exec_lo
                                        ; implicit-def: $vgpr7
	s_delay_alu instid0(VALU_DEP_1)
	v_cmpx_lt_i32_e64 v0, v6
	s_cbranch_execz .LBB47_3712
; %bb.3711:
	scratch_load_b64 v[0:1], off, s33 offset:232
	s_getpc_b64 s[0:1]
	s_add_u32 s0, s0, _ZN3c104guts5applyIRN2at6native13BinaryFunctorIfffZZZNS3_12_GLOBAL__N_132hermite_polynomial_h_kernel_cudaERNS2_18TensorIteratorBaseEENKUlvE_clEvENKUlvE0_clEvEUlffE_EERSt5tupleIJffEEEEDaOT_OT0_@rel32@lo+4
	s_addc_u32 s1, s1, _ZN3c104guts5applyIRN2at6native13BinaryFunctorIfffZZZNS3_12_GLOBAL__N_132hermite_polynomial_h_kernel_cudaERNS2_18TensorIteratorBaseEENKUlvE_clEvENKUlvE0_clEvEUlffE_EERSt5tupleIJffEEEEDaOT_OT0_@rel32@hi+12
	s_delay_alu instid0(SALU_CYCLE_1)
	s_swappc_b64 s[30:31], s[0:1]
	v_mov_b32_e32 v7, v0
.LBB47_3712:
	s_or_b32 exec_lo, exec_lo, s14
	v_or_b32_e32 v0, 0x3c00, v37
	s_mov_b32 s14, exec_lo
                                        ; implicit-def: $vgpr53
	s_delay_alu instid0(VALU_DEP_1)
	v_cmpx_lt_i32_e64 v0, v6
	s_cbranch_execz .LBB47_3714
; %bb.3713:
	scratch_load_b64 v[0:1], off, s33 offset:240
	s_getpc_b64 s[0:1]
	s_add_u32 s0, s0, _ZN3c104guts5applyIRN2at6native13BinaryFunctorIfffZZZNS3_12_GLOBAL__N_132hermite_polynomial_h_kernel_cudaERNS2_18TensorIteratorBaseEENKUlvE_clEvENKUlvE0_clEvEUlffE_EERSt5tupleIJffEEEEDaOT_OT0_@rel32@lo+4
	s_addc_u32 s1, s1, _ZN3c104guts5applyIRN2at6native13BinaryFunctorIfffZZZNS3_12_GLOBAL__N_132hermite_polynomial_h_kernel_cudaERNS2_18TensorIteratorBaseEENKUlvE_clEvENKUlvE0_clEvEUlffE_EERSt5tupleIJffEEEEDaOT_OT0_@rel32@hi+12
	s_delay_alu instid0(SALU_CYCLE_1)
	s_swappc_b64 s[30:31], s[0:1]
	v_mov_b32_e32 v53, v0
.LBB47_3714:
	s_or_b32 exec_lo, exec_lo, s14
	v_add_nc_u32_e32 v0, 0x3e00, v37
	s_delay_alu instid0(VALU_DEP_1)
	v_cmp_lt_i32_e32 vcc_lo, v0, v6
                                        ; implicit-def: $vgpr0
	s_and_saveexec_b32 s14, vcc_lo
	s_cbranch_execz .LBB47_3716
; %bb.3715:
	scratch_load_b64 v[0:1], off, s33 offset:248
	s_getpc_b64 s[0:1]
	s_add_u32 s0, s0, _ZN3c104guts5applyIRN2at6native13BinaryFunctorIfffZZZNS3_12_GLOBAL__N_132hermite_polynomial_h_kernel_cudaERNS2_18TensorIteratorBaseEENKUlvE_clEvENKUlvE0_clEvEUlffE_EERSt5tupleIJffEEEEDaOT_OT0_@rel32@lo+4
	s_addc_u32 s1, s1, _ZN3c104guts5applyIRN2at6native13BinaryFunctorIfffZZZNS3_12_GLOBAL__N_132hermite_polynomial_h_kernel_cudaERNS2_18TensorIteratorBaseEENKUlvE_clEvENKUlvE0_clEvEUlffE_EERSt5tupleIJffEEEEDaOT_OT0_@rel32@hi+12
	s_delay_alu instid0(SALU_CYCLE_1)
	s_swappc_b64 s[30:31], s[0:1]
.LBB47_3716:
	s_or_b32 exec_lo, exec_lo, s14
	s_mov_b32 s5, -1
	s_mov_b32 s3, 0
	s_mov_b32 s1, 0
	s_and_saveexec_b32 s0, s10
	s_delay_alu instid0(SALU_CYCLE_1)
	s_xor_b32 s2, exec_lo, s0
	s_cbranch_execz .LBB47_3842
; %bb.3717:
	v_or_b32_e32 v1, s11, v37
	v_and_b32_e32 v3, 0xff, v11
	s_mov_b32 s0, 0
	s_mov_b32 s4, 0
	s_mov_b32 s1, exec_lo
	v_mul_lo_u32 v1, v1, v12
	s_delay_alu instid0(VALU_DEP_1)
	v_add_co_u32 v1, vcc_lo, v52, v1
	v_add_co_ci_u32_e32 v2, vcc_lo, 0, v51, vcc_lo
	v_cmpx_lt_i16_e32 10, v3
	s_xor_b32 s1, exec_lo, s1
	s_cbranch_execz .LBB47_3799
; %bb.3718:
	s_mov_b32 s5, exec_lo
	v_cmpx_lt_i16_e32 25, v3
	s_xor_b32 s5, exec_lo, s5
	s_cbranch_execz .LBB47_3754
; %bb.3719:
	s_mov_b32 s6, 0
	s_mov_b32 s4, exec_lo
	v_cmpx_lt_i16_e32 28, v3
	s_xor_b32 s4, exec_lo, s4
	s_cbranch_execz .LBB47_3737
; %bb.3720:
	s_mov_b32 s8, 0
	;; [unrolled: 6-line block ×3, first 2 shown]
	s_mov_b32 s0, exec_lo
	v_cmpx_lt_i16_e32 45, v3
	s_xor_b32 s0, exec_lo, s0
	s_cbranch_execz .LBB47_3725
; %bb.3722:
	s_mov_b32 s9, -1
	s_mov_b32 s8, exec_lo
	v_cmpx_eq_u16_e32 46, v3
	s_cbranch_execz .LBB47_3724
; %bb.3723:
	v_bfe_u32 v3, v36, 16, 1
	v_cmp_o_f32_e32 vcc_lo, v36, v36
	s_mov_b32 s7, exec_lo
	s_xor_b32 s9, exec_lo, -1
	s_delay_alu instid0(VALU_DEP_2) | instskip(NEXT) | instid1(VALU_DEP_1)
	v_add3_u32 v3, v36, v3, 0x7fff
	v_lshrrev_b32_e32 v3, 16, v3
	s_delay_alu instid0(VALU_DEP_1)
	v_cndmask_b32_e32 v3, 0x7fc0, v3, vcc_lo
	flat_store_b32 v[1:2], v3
.LBB47_3724:
	s_or_b32 exec_lo, exec_lo, s8
	s_delay_alu instid0(SALU_CYCLE_1)
	s_and_b32 s8, s9, exec_lo
	s_and_b32 s7, s7, exec_lo
                                        ; implicit-def: $vgpr3
                                        ; implicit-def: $vgpr1_vgpr2
                                        ; implicit-def: $vgpr36
.LBB47_3725:
	s_and_not1_saveexec_b32 s9, s0
	s_cbranch_execz .LBB47_3731
; %bb.3726:
	s_mov_b32 s14, -1
	s_mov_b32 s0, s7
	s_mov_b32 s10, exec_lo
	v_cmpx_eq_u16_e32 44, v3
	s_cbranch_execz .LBB47_3730
; %bb.3727:
	v_bfe_u32 v4, v36, 23, 8
	v_mov_b32_e32 v3, 0xff
	s_mov_b32 s14, exec_lo
	s_delay_alu instid0(VALU_DEP_2)
	v_cmpx_ne_u32_e32 0xff, v4
; %bb.3728:
	v_and_b32_e32 v3, 0x400000, v36
	v_and_or_b32 v4, 0x3fffff, v36, v4
	s_delay_alu instid0(VALU_DEP_2) | instskip(NEXT) | instid1(VALU_DEP_2)
	v_cmp_ne_u32_e32 vcc_lo, 0, v3
	v_cmp_ne_u32_e64 s0, 0, v4
	v_lshrrev_b32_e32 v3, 23, v36
	s_delay_alu instid0(VALU_DEP_2) | instskip(NEXT) | instid1(SALU_CYCLE_1)
	s_and_b32 s0, vcc_lo, s0
	v_cndmask_b32_e64 v4, 0, 1, s0
	s_delay_alu instid0(VALU_DEP_1)
	v_add_nc_u32_e32 v3, v3, v4
; %bb.3729:
	s_or_b32 exec_lo, exec_lo, s14
	s_delay_alu instid0(SALU_CYCLE_1)
	s_xor_b32 s14, exec_lo, -1
	s_or_b32 s0, s7, exec_lo
	flat_store_b8 v[1:2], v3
.LBB47_3730:
	s_or_b32 exec_lo, exec_lo, s10
	s_delay_alu instid0(SALU_CYCLE_1)
	s_and_not1_b32 s8, s8, exec_lo
	s_and_b32 s10, s14, exec_lo
	s_and_not1_b32 s7, s7, exec_lo
	s_and_b32 s0, s0, exec_lo
	s_or_b32 s8, s8, s10
	s_or_b32 s7, s7, s0
.LBB47_3731:
	s_or_b32 exec_lo, exec_lo, s9
	s_delay_alu instid0(SALU_CYCLE_1)
	s_and_b32 s8, s8, exec_lo
	s_and_b32 s0, s7, exec_lo
                                        ; implicit-def: $vgpr3
                                        ; implicit-def: $vgpr36
                                        ; implicit-def: $vgpr1_vgpr2
.LBB47_3732:
	s_and_not1_saveexec_b32 s6, s6
	s_cbranch_execz .LBB47_3736
; %bb.3733:
	s_mov_b32 s10, -1
	s_mov_b32 s9, s0
	s_mov_b32 s7, exec_lo
	v_cmpx_eq_u16_e32 29, v3
	s_cbranch_execz .LBB47_3735
; %bb.3734:
	v_trunc_f32_e32 v3, v36
	s_xor_b32 s10, exec_lo, -1
	s_or_b32 s9, s0, exec_lo
	s_delay_alu instid0(VALU_DEP_1) | instskip(NEXT) | instid1(VALU_DEP_1)
	v_mul_f32_e32 v4, 0x2f800000, v3
	v_floor_f32_e32 v4, v4
	s_delay_alu instid0(VALU_DEP_1) | instskip(SKIP_1) | instid1(VALU_DEP_2)
	v_fmamk_f32 v3, v4, 0xcf800000, v3
	v_cvt_u32_f32_e32 v4, v4
	v_cvt_u32_f32_e32 v3, v3
	flat_store_b64 v[1:2], v[3:4]
.LBB47_3735:
	s_or_b32 exec_lo, exec_lo, s7
	s_delay_alu instid0(SALU_CYCLE_1)
	s_and_not1_b32 s7, s8, exec_lo
	s_and_b32 s8, s10, exec_lo
	s_and_not1_b32 s0, s0, exec_lo
	s_and_b32 s9, s9, exec_lo
	s_or_b32 s8, s7, s8
	s_or_b32 s0, s0, s9
.LBB47_3736:
	s_or_b32 exec_lo, exec_lo, s6
	s_delay_alu instid0(SALU_CYCLE_1)
	s_and_b32 s6, s8, exec_lo
	s_and_b32 s0, s0, exec_lo
                                        ; implicit-def: $vgpr1_vgpr2
                                        ; implicit-def: $vgpr3
                                        ; implicit-def: $vgpr36
.LBB47_3737:
	s_and_not1_saveexec_b32 s4, s4
	s_cbranch_execz .LBB47_3753
; %bb.3738:
	s_mov_b32 s7, exec_lo
	v_cmpx_lt_i16_e32 26, v3
	s_xor_b32 s7, exec_lo, s7
	s_cbranch_execz .LBB47_3744
; %bb.3739:
	v_cmp_lt_i16_e32 vcc_lo, 27, v3
	v_cvt_u32_f32_e32 v3, v36
	s_and_saveexec_b32 s8, vcc_lo
	s_delay_alu instid0(SALU_CYCLE_1)
	s_xor_b32 s8, exec_lo, s8
	s_cbranch_execz .LBB47_3741
; %bb.3740:
	flat_store_b32 v[1:2], v3
                                        ; implicit-def: $vgpr1_vgpr2
                                        ; implicit-def: $vgpr3
.LBB47_3741:
	s_and_not1_saveexec_b32 s8, s8
	s_cbranch_execz .LBB47_3743
; %bb.3742:
	flat_store_b16 v[1:2], v3
.LBB47_3743:
	s_or_b32 exec_lo, exec_lo, s8
                                        ; implicit-def: $vgpr1_vgpr2
                                        ; implicit-def: $vgpr36
.LBB47_3744:
	s_and_not1_saveexec_b32 s7, s7
	s_cbranch_execz .LBB47_3752
; %bb.3745:
	v_and_b32_e32 v3, 0x7fffffff, v36
	v_mov_b32_e32 v4, 0x80
	s_mov_b32 s8, exec_lo
	s_delay_alu instid0(VALU_DEP_2)
	v_cmpx_gt_u32_e32 0x43800000, v3
	s_cbranch_execz .LBB47_3751
; %bb.3746:
	v_cmp_lt_u32_e32 vcc_lo, 0x3bffffff, v3
	s_mov_b32 s9, 0
                                        ; implicit-def: $vgpr3
	s_and_saveexec_b32 s10, vcc_lo
	s_delay_alu instid0(SALU_CYCLE_1)
	s_xor_b32 s10, exec_lo, s10
	s_cbranch_execnz .LBB47_4718
; %bb.3747:
	s_or_saveexec_b32 s10, s10
                                        ; implicit-def: $sgpr14
	s_delay_alu instid0(SALU_CYCLE_1)
	s_xor_b32 exec_lo, exec_lo, s10
	s_cbranch_execnz .LBB47_4719
.LBB47_3748:
	s_or_b32 exec_lo, exec_lo, s10
	v_mov_b32_e32 v4, s14
	s_and_saveexec_b32 s10, s9
.LBB47_3749:
	v_lshrrev_b32_e32 v4, 24, v36
	s_delay_alu instid0(VALU_DEP_1)
	v_and_or_b32 v4, 0x80, v4, v3
.LBB47_3750:
	s_or_b32 exec_lo, exec_lo, s10
.LBB47_3751:
	s_delay_alu instid0(SALU_CYCLE_1)
	s_or_b32 exec_lo, exec_lo, s8
	flat_store_b8 v[1:2], v4
.LBB47_3752:
	s_or_b32 exec_lo, exec_lo, s7
	s_delay_alu instid0(SALU_CYCLE_1)
	s_or_b32 s0, s0, exec_lo
.LBB47_3753:
	s_or_b32 exec_lo, exec_lo, s4
	s_delay_alu instid0(SALU_CYCLE_1)
	s_and_b32 s4, s6, exec_lo
	s_and_b32 s0, s0, exec_lo
                                        ; implicit-def: $vgpr3
                                        ; implicit-def: $vgpr36
                                        ; implicit-def: $vgpr1_vgpr2
.LBB47_3754:
	s_and_not1_saveexec_b32 s5, s5
	s_cbranch_execz .LBB47_3798
; %bb.3755:
	s_mov_b32 s7, s0
	s_mov_b32 s6, exec_lo
	v_cmpx_lt_i16_e32 22, v3
	s_xor_b32 s6, exec_lo, s6
	s_cbranch_execz .LBB47_3787
; %bb.3756:
	s_mov_b32 s7, exec_lo
	v_cmpx_lt_i16_e32 23, v3
	s_xor_b32 s7, exec_lo, s7
	s_cbranch_execz .LBB47_3776
; %bb.3757:
	;; [unrolled: 5-line block ×3, first 2 shown]
	v_and_b32_e32 v3, 0x7fffffff, v36
	v_mov_b32_e32 v4, 0x80
	s_mov_b32 s9, exec_lo
	s_delay_alu instid0(VALU_DEP_2)
	v_cmpx_gt_u32_e32 0x47800000, v3
	s_cbranch_execz .LBB47_3764
; %bb.3759:
	v_cmp_lt_u32_e32 vcc_lo, 0x37ffffff, v3
	s_mov_b32 s10, 0
                                        ; implicit-def: $vgpr3
	s_and_saveexec_b32 s14, vcc_lo
	s_delay_alu instid0(SALU_CYCLE_1)
	s_xor_b32 s14, exec_lo, s14
	s_cbranch_execnz .LBB47_4842
; %bb.3760:
	s_or_saveexec_b32 s14, s14
                                        ; implicit-def: $sgpr15
	s_delay_alu instid0(SALU_CYCLE_1)
	s_xor_b32 exec_lo, exec_lo, s14
	s_cbranch_execnz .LBB47_4843
.LBB47_3761:
	s_or_b32 exec_lo, exec_lo, s14
	v_mov_b32_e32 v4, s15
	s_and_saveexec_b32 s14, s10
.LBB47_3762:
	v_lshrrev_b32_e32 v4, 24, v36
	s_delay_alu instid0(VALU_DEP_1)
	v_and_or_b32 v4, 0x80, v4, v3
.LBB47_3763:
	s_or_b32 exec_lo, exec_lo, s14
.LBB47_3764:
	s_delay_alu instid0(SALU_CYCLE_1)
	s_or_b32 exec_lo, exec_lo, s9
	flat_store_b8 v[1:2], v4
                                        ; implicit-def: $vgpr36
                                        ; implicit-def: $vgpr1_vgpr2
.LBB47_3765:
	s_and_not1_saveexec_b32 s8, s8
	s_cbranch_execz .LBB47_3775
; %bb.3766:
	v_and_b32_e32 v4, 0x7fffffff, v36
	s_mov_b32 s9, exec_lo
                                        ; implicit-def: $vgpr3
	s_delay_alu instid0(VALU_DEP_1)
	v_cmpx_gt_u32_e32 0x43f00000, v4
	s_xor_b32 s9, exec_lo, s9
	s_cbranch_execz .LBB47_3772
; %bb.3767:
	s_mov_b32 s10, exec_lo
                                        ; implicit-def: $vgpr3
	v_cmpx_lt_u32_e32 0x3c7fffff, v4
	s_xor_b32 s10, exec_lo, s10
; %bb.3768:
	v_bfe_u32 v3, v36, 20, 1
	s_delay_alu instid0(VALU_DEP_1) | instskip(NEXT) | instid1(VALU_DEP_1)
	v_add3_u32 v3, v36, v3, 0x407ffff
	v_and_b32_e32 v4, 0xff00000, v3
	v_lshrrev_b32_e32 v3, 20, v3
	s_delay_alu instid0(VALU_DEP_2) | instskip(NEXT) | instid1(VALU_DEP_2)
	v_cmp_ne_u32_e32 vcc_lo, 0x7f00000, v4
	v_cndmask_b32_e32 v3, 0x7e, v3, vcc_lo
; %bb.3769:
	s_and_not1_saveexec_b32 s10, s10
; %bb.3770:
	v_add_f32_e64 v3, 0x46800000, |v36|
; %bb.3771:
	s_or_b32 exec_lo, exec_lo, s10
                                        ; implicit-def: $vgpr4
.LBB47_3772:
	s_and_not1_saveexec_b32 s9, s9
; %bb.3773:
	v_mov_b32_e32 v3, 0x7f
	v_cmp_lt_u32_e32 vcc_lo, 0x7f800000, v4
	s_delay_alu instid0(VALU_DEP_2)
	v_cndmask_b32_e32 v3, 0x7e, v3, vcc_lo
; %bb.3774:
	s_or_b32 exec_lo, exec_lo, s9
	v_lshrrev_b32_e32 v4, 24, v36
	s_delay_alu instid0(VALU_DEP_1)
	v_and_or_b32 v3, 0x80, v4, v3
	flat_store_b8 v[1:2], v3
.LBB47_3775:
	s_or_b32 exec_lo, exec_lo, s8
                                        ; implicit-def: $vgpr36
                                        ; implicit-def: $vgpr1_vgpr2
.LBB47_3776:
	s_and_not1_saveexec_b32 s7, s7
	s_cbranch_execz .LBB47_3786
; %bb.3777:
	v_and_b32_e32 v4, 0x7fffffff, v36
	s_mov_b32 s8, exec_lo
                                        ; implicit-def: $vgpr3
	s_delay_alu instid0(VALU_DEP_1)
	v_cmpx_gt_u32_e32 0x47800000, v4
	s_xor_b32 s8, exec_lo, s8
	s_cbranch_execz .LBB47_3783
; %bb.3778:
	s_mov_b32 s9, exec_lo
                                        ; implicit-def: $vgpr3
	v_cmpx_lt_u32_e32 0x387fffff, v4
	s_xor_b32 s9, exec_lo, s9
; %bb.3779:
	v_bfe_u32 v3, v36, 21, 1
	s_delay_alu instid0(VALU_DEP_1) | instskip(NEXT) | instid1(VALU_DEP_1)
	v_add3_u32 v3, v36, v3, 0x80fffff
	v_lshrrev_b32_e32 v3, 21, v3
; %bb.3780:
	s_and_not1_saveexec_b32 s9, s9
; %bb.3781:
	v_add_f32_e64 v3, 0x43000000, |v36|
; %bb.3782:
	s_or_b32 exec_lo, exec_lo, s9
                                        ; implicit-def: $vgpr4
.LBB47_3783:
	s_and_not1_saveexec_b32 s8, s8
; %bb.3784:
	v_mov_b32_e32 v3, 0x7f
	v_cmp_lt_u32_e32 vcc_lo, 0x7f800000, v4
	s_delay_alu instid0(VALU_DEP_2)
	v_cndmask_b32_e32 v3, 0x7c, v3, vcc_lo
; %bb.3785:
	s_or_b32 exec_lo, exec_lo, s8
	v_lshrrev_b32_e32 v4, 24, v36
	s_delay_alu instid0(VALU_DEP_1)
	v_and_or_b32 v3, 0x80, v4, v3
	flat_store_b8 v[1:2], v3
.LBB47_3786:
	s_or_b32 exec_lo, exec_lo, s7
	s_delay_alu instid0(SALU_CYCLE_1)
	s_or_b32 s7, s0, exec_lo
                                        ; implicit-def: $vgpr3
                                        ; implicit-def: $vgpr36
                                        ; implicit-def: $vgpr1_vgpr2
.LBB47_3787:
	s_or_saveexec_b32 s6, s6
	s_mov_b32 s8, s4
	s_xor_b32 exec_lo, exec_lo, s6
	s_cbranch_execz .LBB47_3797
; %bb.3788:
	s_mov_b32 s8, s7
	s_mov_b32 s9, s4
	s_mov_b32 s10, exec_lo
	v_cmpx_lt_i16_e32 14, v3
	s_xor_b32 s10, exec_lo, s10
	s_cbranch_execz .LBB47_3792
; %bb.3789:
	s_mov_b32 s9, -1
	s_mov_b32 s8, s7
	s_mov_b32 s14, exec_lo
	v_cmpx_eq_u16_e32 15, v3
	s_cbranch_execz .LBB47_3791
; %bb.3790:
	v_bfe_u32 v3, v36, 16, 1
	v_cmp_o_f32_e32 vcc_lo, v36, v36
	s_xor_b32 s9, exec_lo, -1
	s_or_b32 s8, s7, exec_lo
	s_delay_alu instid0(VALU_DEP_2) | instskip(NEXT) | instid1(VALU_DEP_1)
	v_add3_u32 v3, v36, v3, 0x7fff
	v_lshrrev_b32_e32 v3, 16, v3
	s_delay_alu instid0(VALU_DEP_1)
	v_cndmask_b32_e32 v3, 0x7fc0, v3, vcc_lo
	flat_store_b16 v[1:2], v3
.LBB47_3791:
	s_or_b32 exec_lo, exec_lo, s14
	s_delay_alu instid0(SALU_CYCLE_1)
	s_and_not1_b32 s14, s4, exec_lo
	s_and_b32 s9, s9, exec_lo
	s_and_not1_b32 s15, s7, exec_lo
	s_and_b32 s8, s8, exec_lo
	s_or_b32 s9, s14, s9
	s_or_b32 s8, s15, s8
                                        ; implicit-def: $vgpr3
                                        ; implicit-def: $vgpr36
                                        ; implicit-def: $vgpr1_vgpr2
.LBB47_3792:
	s_and_not1_saveexec_b32 s10, s10
	s_cbranch_execz .LBB47_3796
; %bb.3793:
	s_mov_b32 s15, -1
	s_mov_b32 s14, s8
	s_mov_b32 s16, exec_lo
	v_cmpx_eq_u16_e32 11, v3
	s_cbranch_execz .LBB47_3795
; %bb.3794:
	v_cmp_neq_f32_e32 vcc_lo, 0, v36
	s_xor_b32 s15, exec_lo, -1
	s_or_b32 s14, s8, exec_lo
	v_cndmask_b32_e64 v3, 0, 1, vcc_lo
	flat_store_b8 v[1:2], v3
.LBB47_3795:
	s_or_b32 exec_lo, exec_lo, s16
	s_delay_alu instid0(SALU_CYCLE_1)
	s_and_not1_b32 s9, s9, exec_lo
	s_and_b32 s15, s15, exec_lo
	s_and_not1_b32 s8, s8, exec_lo
	s_and_b32 s14, s14, exec_lo
	s_or_b32 s9, s9, s15
	s_or_b32 s8, s8, s14
.LBB47_3796:
	s_or_b32 exec_lo, exec_lo, s10
	s_delay_alu instid0(SALU_CYCLE_1)
	s_and_not1_b32 s10, s4, exec_lo
	s_and_b32 s9, s9, exec_lo
	s_and_not1_b32 s7, s7, exec_lo
	s_and_b32 s14, s8, exec_lo
	s_or_b32 s8, s10, s9
	s_or_b32 s7, s7, s14
.LBB47_3797:
	s_or_b32 exec_lo, exec_lo, s6
	s_delay_alu instid0(SALU_CYCLE_1)
	s_and_not1_b32 s4, s4, exec_lo
	s_and_b32 s6, s8, exec_lo
	s_and_not1_b32 s0, s0, exec_lo
	s_and_b32 s7, s7, exec_lo
	s_or_b32 s4, s4, s6
	s_or_b32 s0, s0, s7
.LBB47_3798:
	s_or_b32 exec_lo, exec_lo, s5
	s_delay_alu instid0(SALU_CYCLE_1)
	s_and_b32 s4, s4, exec_lo
	s_and_b32 s0, s0, exec_lo
                                        ; implicit-def: $vgpr3
                                        ; implicit-def: $vgpr36
                                        ; implicit-def: $vgpr1_vgpr2
.LBB47_3799:
	s_and_not1_saveexec_b32 s1, s1
	s_cbranch_execz .LBB47_3841
; %bb.3800:
	s_mov_b32 s5, exec_lo
	v_cmpx_lt_i16_e32 4, v3
	s_xor_b32 s5, exec_lo, s5
	s_cbranch_execz .LBB47_3822
; %bb.3801:
	s_mov_b32 s6, exec_lo
	v_cmpx_lt_i16_e32 7, v3
	s_xor_b32 s6, exec_lo, s6
	s_cbranch_execz .LBB47_3811
; %bb.3802:
	s_mov_b32 s7, exec_lo
	v_cmpx_lt_i16_e32 8, v3
	s_xor_b32 s7, exec_lo, s7
	s_cbranch_execz .LBB47_3808
; %bb.3803:
	s_mov_b32 s8, exec_lo
	v_cmpx_lt_i16_e32 9, v3
	s_xor_b32 s8, exec_lo, s8
	s_cbranch_execz .LBB47_3805
; %bb.3804:
	v_cvt_f64_f32_e32 v[64:65], v36
	v_mov_b32_e32 v66, 0
                                        ; implicit-def: $vgpr36
	s_delay_alu instid0(VALU_DEP_1)
	v_mov_b32_e32 v67, v66
	flat_store_b128 v[1:2], v[64:67]
                                        ; implicit-def: $vgpr1_vgpr2
.LBB47_3805:
	s_and_not1_saveexec_b32 s8, s8
	s_cbranch_execz .LBB47_3807
; %bb.3806:
	v_mov_b32_e32 v37, 0
	flat_store_b64 v[1:2], v[36:37]
.LBB47_3807:
	s_or_b32 exec_lo, exec_lo, s8
                                        ; implicit-def: $vgpr36
                                        ; implicit-def: $vgpr1_vgpr2
.LBB47_3808:
	s_and_not1_saveexec_b32 s7, s7
	s_cbranch_execz .LBB47_3810
; %bb.3809:
	v_cvt_f16_f32_e32 v3, v36
	s_delay_alu instid0(VALU_DEP_1)
	v_and_b32_e32 v3, 0xffff, v3
	flat_store_b32 v[1:2], v3
.LBB47_3810:
	s_or_b32 exec_lo, exec_lo, s7
                                        ; implicit-def: $vgpr36
                                        ; implicit-def: $vgpr1_vgpr2
                                        ; implicit-def: $vgpr3
.LBB47_3811:
	s_and_not1_saveexec_b32 s6, s6
	s_cbranch_execz .LBB47_3821
; %bb.3812:
	s_mov_b32 s7, exec_lo
	v_cmpx_lt_i16_e32 5, v3
	s_xor_b32 s7, exec_lo, s7
	s_cbranch_execz .LBB47_3818
; %bb.3813:
	s_mov_b32 s8, exec_lo
	v_cmpx_lt_i16_e32 6, v3
	s_xor_b32 s8, exec_lo, s8
	s_cbranch_execz .LBB47_3815
; %bb.3814:
	v_cvt_f64_f32_e32 v[3:4], v36
                                        ; implicit-def: $vgpr36
	flat_store_b64 v[1:2], v[3:4]
                                        ; implicit-def: $vgpr1_vgpr2
.LBB47_3815:
	s_and_not1_saveexec_b32 s8, s8
	s_cbranch_execz .LBB47_3817
; %bb.3816:
	flat_store_b32 v[1:2], v36
.LBB47_3817:
	s_or_b32 exec_lo, exec_lo, s8
                                        ; implicit-def: $vgpr36
                                        ; implicit-def: $vgpr1_vgpr2
.LBB47_3818:
	s_and_not1_saveexec_b32 s7, s7
	s_cbranch_execz .LBB47_3820
; %bb.3819:
	v_cvt_f16_f32_e32 v3, v36
	flat_store_b16 v[1:2], v3
.LBB47_3820:
	s_or_b32 exec_lo, exec_lo, s7
.LBB47_3821:
	s_delay_alu instid0(SALU_CYCLE_1)
	s_or_b32 exec_lo, exec_lo, s6
                                        ; implicit-def: $vgpr3
                                        ; implicit-def: $vgpr36
                                        ; implicit-def: $vgpr1_vgpr2
.LBB47_3822:
	s_and_not1_saveexec_b32 s5, s5
	s_cbranch_execz .LBB47_3840
; %bb.3823:
	s_mov_b32 s6, exec_lo
	v_cmpx_lt_i16_e32 1, v3
	s_xor_b32 s6, exec_lo, s6
	s_cbranch_execz .LBB47_3833
; %bb.3824:
	s_mov_b32 s7, exec_lo
	v_cmpx_lt_i16_e32 2, v3
	s_xor_b32 s7, exec_lo, s7
	;; [unrolled: 5-line block ×3, first 2 shown]
	s_cbranch_execz .LBB47_3827
; %bb.3826:
	v_trunc_f32_e32 v3, v36
	s_delay_alu instid0(VALU_DEP_1) | instskip(SKIP_1) | instid1(VALU_DEP_2)
	v_mul_f32_e64 v4, 0x2f800000, |v3|
	v_ashrrev_i32_e32 v36, 31, v3
	v_floor_f32_e32 v4, v4
	s_delay_alu instid0(VALU_DEP_1) | instskip(SKIP_1) | instid1(VALU_DEP_2)
	v_fma_f32 v5, 0xcf800000, v4, |v3|
	v_cvt_u32_f32_e32 v4, v4
	v_cvt_u32_f32_e32 v3, v5
	s_delay_alu instid0(VALU_DEP_2) | instskip(NEXT) | instid1(VALU_DEP_2)
	v_xor_b32_e32 v4, v4, v36
	v_xor_b32_e32 v3, v3, v36
	s_delay_alu instid0(VALU_DEP_1) | instskip(NEXT) | instid1(VALU_DEP_3)
	v_sub_co_u32 v3, vcc_lo, v3, v36
	v_sub_co_ci_u32_e32 v4, vcc_lo, v4, v36, vcc_lo
                                        ; implicit-def: $vgpr36
	flat_store_b64 v[1:2], v[3:4]
                                        ; implicit-def: $vgpr1_vgpr2
.LBB47_3827:
	s_and_not1_saveexec_b32 s8, s8
	s_cbranch_execz .LBB47_3829
; %bb.3828:
	v_cvt_i32_f32_e32 v3, v36
	flat_store_b32 v[1:2], v3
.LBB47_3829:
	s_or_b32 exec_lo, exec_lo, s8
                                        ; implicit-def: $vgpr36
                                        ; implicit-def: $vgpr1_vgpr2
.LBB47_3830:
	s_and_not1_saveexec_b32 s7, s7
	s_cbranch_execz .LBB47_3832
; %bb.3831:
	v_cvt_i32_f32_e32 v3, v36
	flat_store_b16 v[1:2], v3
.LBB47_3832:
	s_or_b32 exec_lo, exec_lo, s7
                                        ; implicit-def: $vgpr36
                                        ; implicit-def: $vgpr1_vgpr2
                                        ; implicit-def: $vgpr3
.LBB47_3833:
	s_and_not1_saveexec_b32 s6, s6
	s_cbranch_execz .LBB47_3839
; %bb.3834:
	s_mov_b32 s7, exec_lo
	v_cmpx_lt_i16_e32 0, v3
	s_xor_b32 s7, exec_lo, s7
	s_cbranch_execz .LBB47_3836
; %bb.3835:
	v_cvt_i32_f32_e32 v3, v36
                                        ; implicit-def: $vgpr36
	flat_store_b8 v[1:2], v3
                                        ; implicit-def: $vgpr1_vgpr2
.LBB47_3836:
	s_and_not1_saveexec_b32 s7, s7
	s_cbranch_execz .LBB47_3838
; %bb.3837:
	v_trunc_f32_e32 v3, v36
	s_delay_alu instid0(VALU_DEP_1) | instskip(NEXT) | instid1(VALU_DEP_1)
	v_mul_f32_e64 v4, 0x2f800000, |v3|
	v_floor_f32_e32 v4, v4
	s_delay_alu instid0(VALU_DEP_1) | instskip(SKIP_1) | instid1(VALU_DEP_2)
	v_fma_f32 v4, 0xcf800000, v4, |v3|
	v_ashrrev_i32_e32 v3, 31, v3
	v_cvt_u32_f32_e32 v4, v4
	s_delay_alu instid0(VALU_DEP_1) | instskip(NEXT) | instid1(VALU_DEP_1)
	v_xor_b32_e32 v4, v4, v3
	v_sub_nc_u32_e32 v3, v4, v3
	flat_store_b8 v[1:2], v3
.LBB47_3838:
	s_or_b32 exec_lo, exec_lo, s7
.LBB47_3839:
	s_delay_alu instid0(SALU_CYCLE_1)
	s_or_b32 exec_lo, exec_lo, s6
.LBB47_3840:
	s_delay_alu instid0(SALU_CYCLE_1) | instskip(NEXT) | instid1(SALU_CYCLE_1)
	s_or_b32 exec_lo, exec_lo, s5
	s_or_b32 s0, s0, exec_lo
.LBB47_3841:
	s_or_b32 exec_lo, exec_lo, s1
	v_mov_b32_e32 v37, v10
	s_and_b32 s1, s4, exec_lo
	s_or_not1_b32 s5, s0, exec_lo
.LBB47_3842:
	s_or_b32 exec_lo, exec_lo, s2
	s_mov_b32 s4, 0
	s_mov_b32 s0, 0
                                        ; implicit-def: $vgpr4
                                        ; implicit-def: $vgpr2_vgpr3
	s_and_saveexec_b32 s2, s5
	s_cbranch_execz .LBB47_4166
; %bb.3843:
	s_mov_b32 s0, -1
	s_mov_b32 s3, s1
	s_mov_b32 s4, exec_lo
	v_cmpx_lt_i32_e64 v37, v6
	s_cbranch_execz .LBB47_3849
; %bb.3844:
	v_add_nc_u32_e32 v1, s11, v37
	v_and_b32_e32 v3, 0xff, v11
	s_mov_b32 s0, 0
	s_mov_b32 s5, s1
	s_mov_b32 s3, exec_lo
	v_mul_lo_u32 v1, v1, v12
	s_delay_alu instid0(VALU_DEP_1)
	v_add_co_u32 v1, vcc_lo, v52, v1
	v_add_co_ci_u32_e32 v2, vcc_lo, 0, v51, vcc_lo
	v_cmpx_lt_i16_e32 10, v3
	s_xor_b32 s3, exec_lo, s3
	s_cbranch_execnz .LBB47_4220
; %bb.3845:
	s_and_not1_saveexec_b32 s3, s3
	s_cbranch_execnz .LBB47_4301
.LBB47_3846:
	s_or_b32 exec_lo, exec_lo, s3
	s_mov_b32 s6, 0
	s_and_saveexec_b32 s3, s0
.LBB47_3847:
	v_add_nc_u32_e32 v37, 0x200, v37
	s_mov_b32 s6, exec_lo
.LBB47_3848:
	s_or_b32 exec_lo, exec_lo, s3
	s_delay_alu instid0(SALU_CYCLE_1) | instskip(SKIP_1) | instid1(SALU_CYCLE_1)
	s_and_not1_b32 s0, s1, exec_lo
	s_and_b32 s3, s5, exec_lo
	s_or_b32 s3, s0, s3
	s_or_not1_b32 s0, s6, exec_lo
.LBB47_3849:
	s_or_b32 exec_lo, exec_lo, s4
	s_mov_b32 s5, 0
	s_mov_b32 s6, 0
	;; [unrolled: 1-line block ×3, first 2 shown]
                                        ; implicit-def: $vgpr4
                                        ; implicit-def: $vgpr2_vgpr3
	s_and_saveexec_b32 s4, s0
	s_cbranch_execz .LBB47_4165
; %bb.3850:
	s_mov_b32 s7, -1
	s_mov_b32 s5, s3
	s_mov_b32 s6, exec_lo
	v_cmpx_lt_i32_e64 v37, v6
	s_cbranch_execz .LBB47_3856
; %bb.3851:
	v_add_nc_u32_e32 v1, s11, v37
	v_and_b32_e32 v3, 0xff, v11
	s_mov_b32 s0, 0
	s_mov_b32 s7, s3
	s_mov_b32 s5, exec_lo
	v_mul_lo_u32 v1, v1, v12
	s_delay_alu instid0(VALU_DEP_1)
	v_add_co_u32 v1, vcc_lo, v52, v1
	v_add_co_ci_u32_e32 v2, vcc_lo, 0, v51, vcc_lo
	v_cmpx_lt_i16_e32 10, v3
	s_xor_b32 s5, exec_lo, s5
	s_cbranch_execnz .LBB47_4346
; %bb.3852:
	s_and_not1_saveexec_b32 s5, s5
	s_cbranch_execnz .LBB47_4427
.LBB47_3853:
	s_or_b32 exec_lo, exec_lo, s5
	s_mov_b32 s8, 0
	s_and_saveexec_b32 s5, s0
.LBB47_3854:
	v_add_nc_u32_e32 v37, 0x200, v37
	s_mov_b32 s8, exec_lo
.LBB47_3855:
	s_or_b32 exec_lo, exec_lo, s5
	s_delay_alu instid0(SALU_CYCLE_1)
	s_and_not1_b32 s0, s3, exec_lo
	s_and_b32 s5, s7, exec_lo
	s_or_not1_b32 s7, s8, exec_lo
	s_or_b32 s5, s0, s5
.LBB47_3856:
	s_or_b32 exec_lo, exec_lo, s6
	s_mov_b32 s0, 0
	s_mov_b32 s8, 0
	;; [unrolled: 1-line block ×3, first 2 shown]
                                        ; implicit-def: $vgpr4
                                        ; implicit-def: $vgpr2_vgpr3
	s_and_saveexec_b32 s6, s7
	s_cbranch_execz .LBB47_4164
; %bb.3857:
	s_mov_b32 s9, -1
	s_mov_b32 s7, s5
	s_mov_b32 s8, exec_lo
	v_cmpx_lt_i32_e64 v37, v6
	s_cbranch_execz .LBB47_3863
; %bb.3858:
	v_add_nc_u32_e32 v1, s11, v37
	v_and_b32_e32 v3, 0xff, v11
	s_mov_b32 s9, s5
	s_mov_b32 s7, exec_lo
	s_delay_alu instid0(VALU_DEP_2) | instskip(NEXT) | instid1(VALU_DEP_1)
	v_mul_lo_u32 v1, v1, v12
	v_add_co_u32 v1, vcc_lo, v52, v1
	v_add_co_ci_u32_e32 v2, vcc_lo, 0, v51, vcc_lo
	v_cmpx_lt_i16_e32 10, v3
	s_xor_b32 s7, exec_lo, s7
	s_cbranch_execnz .LBB47_4472
; %bb.3859:
	s_and_not1_saveexec_b32 s7, s7
	s_cbranch_execnz .LBB47_4553
.LBB47_3860:
	s_or_b32 exec_lo, exec_lo, s7
	s_mov_b32 s10, 0
	s_and_saveexec_b32 s7, s0
.LBB47_3861:
	v_add_nc_u32_e32 v37, 0x200, v37
	s_mov_b32 s10, exec_lo
.LBB47_3862:
	s_or_b32 exec_lo, exec_lo, s7
	s_delay_alu instid0(SALU_CYCLE_1)
	s_and_not1_b32 s0, s5, exec_lo
	s_and_b32 s7, s9, exec_lo
	s_or_not1_b32 s9, s10, exec_lo
	s_or_b32 s7, s0, s7
.LBB47_3863:
	s_or_b32 exec_lo, exec_lo, s8
	s_mov_b32 s0, 0
	s_mov_b32 s10, 0
	;; [unrolled: 1-line block ×3, first 2 shown]
                                        ; implicit-def: $vgpr4
                                        ; implicit-def: $vgpr2_vgpr3
	s_and_saveexec_b32 s8, s9
	s_cbranch_execz .LBB47_4163
; %bb.3864:
	s_mov_b32 s14, -1
	s_mov_b32 s9, s7
	s_mov_b32 s10, exec_lo
	v_cmpx_lt_i32_e64 v37, v6
	s_cbranch_execz .LBB47_3870
; %bb.3865:
	v_add_nc_u32_e32 v1, s11, v37
	v_and_b32_e32 v3, 0xff, v11
	s_mov_b32 s14, s7
	s_mov_b32 s9, exec_lo
	s_delay_alu instid0(VALU_DEP_2) | instskip(NEXT) | instid1(VALU_DEP_1)
	v_mul_lo_u32 v1, v1, v12
	v_add_co_u32 v1, vcc_lo, v52, v1
	v_add_co_ci_u32_e32 v2, vcc_lo, 0, v51, vcc_lo
	v_cmpx_lt_i16_e32 10, v3
	s_xor_b32 s9, exec_lo, s9
	s_cbranch_execnz .LBB47_4596
; %bb.3866:
	s_and_not1_saveexec_b32 s9, s9
	s_cbranch_execnz .LBB47_4677
.LBB47_3867:
	s_or_b32 exec_lo, exec_lo, s9
	s_mov_b32 s15, 0
	s_and_saveexec_b32 s9, s0
.LBB47_3868:
	v_add_nc_u32_e32 v37, 0x200, v37
	s_mov_b32 s15, exec_lo
.LBB47_3869:
	s_or_b32 exec_lo, exec_lo, s9
	s_delay_alu instid0(SALU_CYCLE_1)
	s_and_not1_b32 s0, s7, exec_lo
	s_and_b32 s9, s14, exec_lo
	s_or_not1_b32 s14, s15, exec_lo
	s_or_b32 s9, s0, s9
.LBB47_3870:
	s_or_b32 exec_lo, exec_lo, s10
	s_mov_b32 s0, 0
	s_mov_b32 s15, 0
	;; [unrolled: 1-line block ×3, first 2 shown]
                                        ; implicit-def: $vgpr4
                                        ; implicit-def: $vgpr2_vgpr3
	s_and_saveexec_b32 s10, s14
	s_cbranch_execz .LBB47_4162
; %bb.3871:
	s_mov_b32 s16, -1
	s_mov_b32 s14, s9
	s_mov_b32 s15, exec_lo
	v_cmpx_lt_i32_e64 v37, v6
	s_cbranch_execz .LBB47_3877
; %bb.3872:
	v_add_nc_u32_e32 v1, s11, v37
	v_and_b32_e32 v3, 0xff, v11
	s_mov_b32 s16, s9
	s_mov_b32 s14, exec_lo
	s_delay_alu instid0(VALU_DEP_2) | instskip(NEXT) | instid1(VALU_DEP_1)
	v_mul_lo_u32 v1, v1, v12
	v_add_co_u32 v1, vcc_lo, v52, v1
	v_add_co_ci_u32_e32 v2, vcc_lo, 0, v51, vcc_lo
	v_cmpx_lt_i16_e32 10, v3
	s_xor_b32 s14, exec_lo, s14
	s_cbranch_execnz .LBB47_4720
; %bb.3873:
	s_and_not1_saveexec_b32 s14, s14
	s_cbranch_execnz .LBB47_4801
.LBB47_3874:
	s_or_b32 exec_lo, exec_lo, s14
	s_mov_b32 s17, 0
	s_and_saveexec_b32 s14, s0
.LBB47_3875:
	v_add_nc_u32_e32 v37, 0x200, v37
	s_mov_b32 s17, exec_lo
.LBB47_3876:
	s_or_b32 exec_lo, exec_lo, s14
	s_delay_alu instid0(SALU_CYCLE_1)
	s_and_not1_b32 s0, s9, exec_lo
	s_and_b32 s14, s16, exec_lo
	s_or_not1_b32 s16, s17, exec_lo
	s_or_b32 s14, s0, s14
.LBB47_3877:
	s_or_b32 exec_lo, exec_lo, s15
	s_mov_b32 s0, 0
	s_mov_b32 s17, 0
	;; [unrolled: 1-line block ×3, first 2 shown]
                                        ; implicit-def: $vgpr4
                                        ; implicit-def: $vgpr2_vgpr3
	s_and_saveexec_b32 s15, s16
	s_cbranch_execz .LBB47_4161
; %bb.3878:
	s_mov_b32 s18, -1
	s_mov_b32 s16, s14
	s_mov_b32 s17, exec_lo
	v_cmpx_lt_i32_e64 v37, v6
	s_cbranch_execz .LBB47_3884
; %bb.3879:
	v_add_nc_u32_e32 v1, s11, v37
	v_and_b32_e32 v3, 0xff, v11
	s_mov_b32 s18, s14
	s_mov_b32 s16, exec_lo
	s_delay_alu instid0(VALU_DEP_2) | instskip(NEXT) | instid1(VALU_DEP_1)
	v_mul_lo_u32 v1, v1, v12
	v_add_co_u32 v1, vcc_lo, v52, v1
	v_add_co_ci_u32_e32 v2, vcc_lo, 0, v51, vcc_lo
	v_cmpx_lt_i16_e32 10, v3
	s_xor_b32 s16, exec_lo, s16
	s_cbranch_execnz .LBB47_4844
; %bb.3880:
	s_and_not1_saveexec_b32 s16, s16
	s_cbranch_execnz .LBB47_4925
.LBB47_3881:
	s_or_b32 exec_lo, exec_lo, s16
	s_mov_b32 s19, 0
	s_and_saveexec_b32 s16, s0
.LBB47_3882:
	v_add_nc_u32_e32 v37, 0x200, v37
	s_mov_b32 s19, exec_lo
.LBB47_3883:
	s_or_b32 exec_lo, exec_lo, s16
	s_delay_alu instid0(SALU_CYCLE_1)
	s_and_not1_b32 s0, s14, exec_lo
	s_and_b32 s16, s18, exec_lo
	s_or_not1_b32 s18, s19, exec_lo
	s_or_b32 s16, s0, s16
.LBB47_3884:
	s_or_b32 exec_lo, exec_lo, s17
	s_mov_b32 s0, 0
	s_mov_b32 s19, 0
	;; [unrolled: 1-line block ×3, first 2 shown]
                                        ; implicit-def: $vgpr4
                                        ; implicit-def: $vgpr2_vgpr3
	s_and_saveexec_b32 s17, s18
	s_cbranch_execz .LBB47_4160
; %bb.3885:
	s_mov_b32 s20, -1
	s_mov_b32 s18, s16
	s_mov_b32 s19, exec_lo
	v_cmpx_lt_i32_e64 v37, v6
	s_cbranch_execz .LBB47_3891
; %bb.3886:
	v_add_nc_u32_e32 v1, s11, v37
	v_and_b32_e32 v3, 0xff, v11
	s_mov_b32 s20, s16
	s_mov_b32 s18, exec_lo
	s_delay_alu instid0(VALU_DEP_2) | instskip(NEXT) | instid1(VALU_DEP_1)
	v_mul_lo_u32 v1, v1, v12
	v_add_co_u32 v1, vcc_lo, v52, v1
	v_add_co_ci_u32_e32 v2, vcc_lo, 0, v51, vcc_lo
	v_cmpx_lt_i16_e32 10, v3
	s_xor_b32 s18, exec_lo, s18
	s_cbranch_execnz .LBB47_4968
; %bb.3887:
	s_and_not1_saveexec_b32 s18, s18
	s_cbranch_execnz .LBB47_5049
.LBB47_3888:
	s_or_b32 exec_lo, exec_lo, s18
	s_mov_b32 s21, 0
	s_and_saveexec_b32 s18, s0
.LBB47_3889:
	v_add_nc_u32_e32 v37, 0x200, v37
	s_mov_b32 s21, exec_lo
.LBB47_3890:
	s_or_b32 exec_lo, exec_lo, s18
	s_delay_alu instid0(SALU_CYCLE_1)
	s_and_not1_b32 s0, s16, exec_lo
	s_and_b32 s18, s20, exec_lo
	s_or_not1_b32 s20, s21, exec_lo
	s_or_b32 s18, s0, s18
.LBB47_3891:
	s_or_b32 exec_lo, exec_lo, s19
	s_mov_b32 s0, 0
	s_mov_b32 s21, 0
	;; [unrolled: 1-line block ×3, first 2 shown]
                                        ; implicit-def: $vgpr4
                                        ; implicit-def: $vgpr2_vgpr3
	s_and_saveexec_b32 s19, s20
	s_cbranch_execz .LBB47_4159
; %bb.3892:
	s_mov_b32 s22, -1
	s_mov_b32 s20, s18
	s_mov_b32 s21, exec_lo
	v_cmpx_lt_i32_e64 v37, v6
	s_cbranch_execz .LBB47_3898
; %bb.3893:
	v_add_nc_u32_e32 v1, s11, v37
	v_and_b32_e32 v3, 0xff, v11
	s_mov_b32 s22, s18
	s_mov_b32 s20, exec_lo
	s_delay_alu instid0(VALU_DEP_2) | instskip(NEXT) | instid1(VALU_DEP_1)
	v_mul_lo_u32 v1, v1, v12
	v_add_co_u32 v1, vcc_lo, v52, v1
	v_add_co_ci_u32_e32 v2, vcc_lo, 0, v51, vcc_lo
	v_cmpx_lt_i16_e32 10, v3
	s_xor_b32 s20, exec_lo, s20
	s_cbranch_execnz .LBB47_5094
; %bb.3894:
	s_and_not1_saveexec_b32 s20, s20
	s_cbranch_execnz .LBB47_5175
.LBB47_3895:
	s_or_b32 exec_lo, exec_lo, s20
	s_mov_b32 s23, 0
	s_and_saveexec_b32 s20, s0
.LBB47_3896:
	v_add_nc_u32_e32 v37, 0x200, v37
	s_mov_b32 s23, exec_lo
.LBB47_3897:
	s_or_b32 exec_lo, exec_lo, s20
	s_delay_alu instid0(SALU_CYCLE_1)
	s_and_not1_b32 s0, s18, exec_lo
	s_and_b32 s20, s22, exec_lo
	s_or_not1_b32 s22, s23, exec_lo
	s_or_b32 s20, s0, s20
.LBB47_3898:
	s_or_b32 exec_lo, exec_lo, s21
	s_mov_b32 s0, 0
	s_mov_b32 s23, 0
	;; [unrolled: 1-line block ×3, first 2 shown]
                                        ; implicit-def: $vgpr4
                                        ; implicit-def: $vgpr2_vgpr3
	s_and_saveexec_b32 s21, s22
	s_cbranch_execz .LBB47_4158
; %bb.3899:
	s_mov_b32 s24, -1
	s_mov_b32 s22, s20
	s_mov_b32 s23, exec_lo
	v_cmpx_lt_i32_e64 v37, v6
	s_cbranch_execz .LBB47_3905
; %bb.3900:
	v_add_nc_u32_e32 v1, s11, v37
	v_and_b32_e32 v3, 0xff, v11
	s_mov_b32 s24, s20
	s_mov_b32 s22, exec_lo
	s_delay_alu instid0(VALU_DEP_2) | instskip(NEXT) | instid1(VALU_DEP_1)
	v_mul_lo_u32 v1, v1, v12
	v_add_co_u32 v1, vcc_lo, v52, v1
	v_add_co_ci_u32_e32 v2, vcc_lo, 0, v51, vcc_lo
	v_cmpx_lt_i16_e32 10, v3
	s_xor_b32 s22, exec_lo, s22
	s_cbranch_execnz .LBB47_5220
; %bb.3901:
	s_and_not1_saveexec_b32 s22, s22
	s_cbranch_execnz .LBB47_5301
.LBB47_3902:
	s_or_b32 exec_lo, exec_lo, s22
	s_mov_b32 s25, 0
	s_and_saveexec_b32 s22, s0
.LBB47_3903:
	v_add_nc_u32_e32 v37, 0x200, v37
	s_mov_b32 s25, exec_lo
.LBB47_3904:
	s_or_b32 exec_lo, exec_lo, s22
	s_delay_alu instid0(SALU_CYCLE_1)
	s_and_not1_b32 s0, s20, exec_lo
	s_and_b32 s22, s24, exec_lo
	s_or_not1_b32 s24, s25, exec_lo
	s_or_b32 s22, s0, s22
.LBB47_3905:
	s_or_b32 exec_lo, exec_lo, s23
	s_mov_b32 s0, 0
	s_mov_b32 s25, 0
	;; [unrolled: 1-line block ×3, first 2 shown]
                                        ; implicit-def: $vgpr4
                                        ; implicit-def: $vgpr2_vgpr3
	s_and_saveexec_b32 s23, s24
	s_cbranch_execz .LBB47_4157
; %bb.3906:
	s_mov_b32 s26, -1
	s_mov_b32 s24, s22
	s_mov_b32 s25, exec_lo
	v_cmpx_lt_i32_e64 v37, v6
	s_cbranch_execz .LBB47_3912
; %bb.3907:
	v_add_nc_u32_e32 v1, s11, v37
	v_and_b32_e32 v3, 0xff, v11
	s_mov_b32 s26, s22
	s_mov_b32 s24, exec_lo
	s_delay_alu instid0(VALU_DEP_2) | instskip(NEXT) | instid1(VALU_DEP_1)
	v_mul_lo_u32 v1, v1, v12
	v_add_co_u32 v1, vcc_lo, v52, v1
	v_add_co_ci_u32_e32 v2, vcc_lo, 0, v51, vcc_lo
	v_cmpx_lt_i16_e32 10, v3
	s_xor_b32 s24, exec_lo, s24
	s_cbranch_execnz .LBB47_5346
; %bb.3908:
	s_and_not1_saveexec_b32 s24, s24
	s_cbranch_execnz .LBB47_5427
.LBB47_3909:
	s_or_b32 exec_lo, exec_lo, s24
	s_mov_b32 s27, 0
	s_and_saveexec_b32 s24, s0
.LBB47_3910:
	v_add_nc_u32_e32 v37, 0x200, v37
	s_mov_b32 s27, exec_lo
.LBB47_3911:
	s_or_b32 exec_lo, exec_lo, s24
	s_delay_alu instid0(SALU_CYCLE_1)
	s_and_not1_b32 s0, s22, exec_lo
	s_and_b32 s24, s26, exec_lo
	s_or_not1_b32 s26, s27, exec_lo
	s_or_b32 s24, s0, s24
.LBB47_3912:
	s_or_b32 exec_lo, exec_lo, s25
	s_mov_b32 s0, 0
	s_mov_b32 s27, 0
	;; [unrolled: 1-line block ×3, first 2 shown]
                                        ; implicit-def: $vgpr4
                                        ; implicit-def: $vgpr2_vgpr3
	s_and_saveexec_b32 s25, s26
	s_cbranch_execz .LBB47_4156
; %bb.3913:
	s_mov_b32 s28, -1
	s_mov_b32 s26, s24
	s_mov_b32 s27, exec_lo
	v_cmpx_lt_i32_e64 v37, v6
	s_cbranch_execz .LBB47_3919
; %bb.3914:
	v_add_nc_u32_e32 v1, s11, v37
	v_and_b32_e32 v3, 0xff, v11
	s_mov_b32 s28, s24
	s_mov_b32 s26, exec_lo
	s_delay_alu instid0(VALU_DEP_2) | instskip(NEXT) | instid1(VALU_DEP_1)
	v_mul_lo_u32 v1, v1, v12
	v_add_co_u32 v1, vcc_lo, v52, v1
	v_add_co_ci_u32_e32 v2, vcc_lo, 0, v51, vcc_lo
	v_cmpx_lt_i16_e32 10, v3
	s_xor_b32 s26, exec_lo, s26
	s_cbranch_execnz .LBB47_5472
; %bb.3915:
	s_and_not1_saveexec_b32 s26, s26
	s_cbranch_execnz .LBB47_5553
.LBB47_3916:
	s_or_b32 exec_lo, exec_lo, s26
	s_mov_b32 s29, 0
	s_and_saveexec_b32 s26, s0
.LBB47_3917:
	v_add_nc_u32_e32 v37, 0x200, v37
	s_mov_b32 s29, exec_lo
.LBB47_3918:
	s_or_b32 exec_lo, exec_lo, s26
	s_delay_alu instid0(SALU_CYCLE_1)
	s_and_not1_b32 s0, s24, exec_lo
	s_and_b32 s26, s28, exec_lo
	s_or_not1_b32 s28, s29, exec_lo
	s_or_b32 s26, s0, s26
.LBB47_3919:
	s_or_b32 exec_lo, exec_lo, s27
	s_mov_b32 s0, 0
	s_mov_b32 s29, 0
	s_mov_b32 vcc_hi, 0
                                        ; implicit-def: $vgpr4
                                        ; implicit-def: $vgpr2_vgpr3
	s_and_saveexec_b32 s27, s28
	s_cbranch_execz .LBB47_4155
; %bb.3920:
	s_mov_b32 vcc_hi, -1
	s_mov_b32 s28, s26
	s_mov_b32 s29, exec_lo
	v_cmpx_lt_i32_e64 v37, v6
	s_cbranch_execz .LBB47_3926
; %bb.3921:
	v_add_nc_u32_e32 v1, s11, v37
	v_and_b32_e32 v3, 0xff, v11
	s_mov_b32 vcc_hi, s26
	s_mov_b32 s28, exec_lo
	s_delay_alu instid0(VALU_DEP_2) | instskip(NEXT) | instid1(VALU_DEP_1)
	v_mul_lo_u32 v1, v1, v12
	v_add_co_u32 v1, vcc_lo, v52, v1
	v_add_co_ci_u32_e32 v2, vcc_lo, 0, v51, vcc_lo
	v_cmpx_lt_i16_e32 10, v3
	s_xor_b32 s28, exec_lo, s28
	s_cbranch_execnz .LBB47_5598
; %bb.3922:
	s_and_not1_saveexec_b32 s28, s28
	s_cbranch_execnz .LBB47_5679
.LBB47_3923:
	s_or_b32 exec_lo, exec_lo, s28
	s_mov_b32 vcc_lo, 0
	s_and_saveexec_b32 s28, s0
.LBB47_3924:
	v_add_nc_u32_e32 v37, 0x200, v37
	s_mov_b32 vcc_lo, exec_lo
.LBB47_3925:
	s_or_b32 exec_lo, exec_lo, s28
	s_delay_alu instid0(SALU_CYCLE_1)
	s_and_not1_b32 s0, s26, exec_lo
	s_and_b32 s28, vcc_hi, exec_lo
	s_or_not1_b32 vcc_hi, vcc_lo, exec_lo
	s_or_b32 s28, s0, s28
.LBB47_3926:
	s_or_b32 exec_lo, exec_lo, s29
	s_mov_b32 s0, 0
	s_mov_b32 vcc_lo, 0
	s_mov_b32 s30, 0
                                        ; implicit-def: $vgpr4
                                        ; implicit-def: $vgpr2_vgpr3
	s_and_saveexec_b32 s29, vcc_hi
	s_cbranch_execz .LBB47_4154
; %bb.3927:
	s_mov_b32 s31, -1
	s_mov_b32 vcc_hi, s28
	s_mov_b32 s30, exec_lo
	v_cmpx_lt_i32_e64 v37, v6
	s_cbranch_execz .LBB47_3933
; %bb.3928:
	v_add_nc_u32_e32 v1, s11, v37
	v_and_b32_e32 v3, 0xff, v11
	s_mov_b32 s31, s28
	s_mov_b32 vcc_hi, exec_lo
	s_delay_alu instid0(VALU_DEP_2) | instskip(NEXT) | instid1(VALU_DEP_1)
	v_mul_lo_u32 v1, v1, v12
	v_add_co_u32 v1, vcc_lo, v52, v1
	v_add_co_ci_u32_e32 v2, vcc_lo, 0, v51, vcc_lo
	v_cmpx_lt_i16_e32 10, v3
	s_xor_b32 vcc_hi, exec_lo, vcc_hi
	s_cbranch_execnz .LBB47_5724
; %bb.3929:
	s_and_not1_saveexec_b32 vcc_hi, vcc_hi
	s_cbranch_execnz .LBB47_5805
.LBB47_3930:
	s_or_b32 exec_lo, exec_lo, vcc_hi
	s_mov_b32 vcc_lo, 0
	s_and_saveexec_b32 vcc_hi, s0
.LBB47_3931:
	v_add_nc_u32_e32 v37, 0x200, v37
	s_mov_b32 vcc_lo, exec_lo
.LBB47_3932:
	s_or_b32 exec_lo, exec_lo, vcc_hi
	s_delay_alu instid0(SALU_CYCLE_1)
	s_and_not1_b32 s0, s28, exec_lo
	s_and_b32 vcc_hi, s31, exec_lo
	s_or_not1_b32 s31, vcc_lo, exec_lo
	s_or_b32 vcc_hi, s0, vcc_hi
.LBB47_3933:
	s_or_b32 exec_lo, exec_lo, s30
	s_mov_b32 s0, 0
	s_mov_b32 vcc_lo, 0
	s_mov_b32 s34, 0
                                        ; implicit-def: $vgpr4
                                        ; implicit-def: $vgpr2_vgpr3
	s_and_saveexec_b32 s30, s31
	s_cbranch_execz .LBB47_4153
; %bb.3934:
	s_mov_b32 s35, -1
	s_mov_b32 s31, vcc_hi
	s_mov_b32 s34, exec_lo
	v_cmpx_lt_i32_e64 v37, v6
	s_cbranch_execz .LBB47_3940
; %bb.3935:
	v_add_nc_u32_e32 v1, s11, v37
	v_and_b32_e32 v3, 0xff, v11
	s_mov_b32 s35, vcc_hi
	s_mov_b32 s31, exec_lo
	s_delay_alu instid0(VALU_DEP_2) | instskip(NEXT) | instid1(VALU_DEP_1)
	v_mul_lo_u32 v1, v1, v12
	v_add_co_u32 v1, vcc_lo, v52, v1
	v_add_co_ci_u32_e32 v2, vcc_lo, 0, v51, vcc_lo
	v_cmpx_lt_i16_e32 10, v3
	s_xor_b32 s31, exec_lo, s31
	s_cbranch_execnz .LBB47_5850
; %bb.3936:
	s_and_not1_saveexec_b32 s31, s31
	s_cbranch_execnz .LBB47_5931
.LBB47_3937:
	s_or_b32 exec_lo, exec_lo, s31
	s_mov_b32 vcc_lo, 0
	s_and_saveexec_b32 s31, s0
.LBB47_3938:
	v_add_nc_u32_e32 v37, 0x200, v37
	s_mov_b32 vcc_lo, exec_lo
.LBB47_3939:
	s_or_b32 exec_lo, exec_lo, s31
	s_delay_alu instid0(SALU_CYCLE_1)
	s_and_not1_b32 s0, vcc_hi, exec_lo
	s_and_b32 s31, s35, exec_lo
	s_or_not1_b32 s35, vcc_lo, exec_lo
	s_or_b32 s31, s0, s31
.LBB47_3940:
	s_or_b32 exec_lo, exec_lo, s34
	s_mov_b32 s0, 0
	s_mov_b32 vcc_lo, 0
	s_mov_b32 s36, 0
                                        ; implicit-def: $vgpr4
                                        ; implicit-def: $vgpr2_vgpr3
	s_and_saveexec_b32 s34, s35
	s_cbranch_execz .LBB47_4152
; %bb.3941:
	s_mov_b32 s37, -1
	s_mov_b32 s35, s31
	s_mov_b32 s36, exec_lo
	v_cmpx_lt_i32_e64 v37, v6
	s_cbranch_execz .LBB47_3947
; %bb.3942:
	v_add_nc_u32_e32 v1, s11, v37
	v_and_b32_e32 v3, 0xff, v11
	s_mov_b32 s37, s31
	s_mov_b32 s35, exec_lo
	s_delay_alu instid0(VALU_DEP_2) | instskip(NEXT) | instid1(VALU_DEP_1)
	v_mul_lo_u32 v1, v1, v12
	v_add_co_u32 v1, vcc_lo, v52, v1
	v_add_co_ci_u32_e32 v2, vcc_lo, 0, v51, vcc_lo
	v_cmpx_lt_i16_e32 10, v3
	s_xor_b32 s35, exec_lo, s35
	s_cbranch_execnz .LBB47_5976
; %bb.3943:
	s_and_not1_saveexec_b32 s35, s35
	s_cbranch_execnz .LBB47_6057
.LBB47_3944:
	s_or_b32 exec_lo, exec_lo, s35
	s_mov_b32 vcc_lo, 0
	s_and_saveexec_b32 s35, s0
.LBB47_3945:
	v_add_nc_u32_e32 v37, 0x200, v37
	s_mov_b32 vcc_lo, exec_lo
.LBB47_3946:
	s_or_b32 exec_lo, exec_lo, s35
	s_delay_alu instid0(SALU_CYCLE_1)
	s_and_not1_b32 s0, s31, exec_lo
	s_and_b32 s35, s37, exec_lo
	s_or_not1_b32 s37, vcc_lo, exec_lo
	s_or_b32 s35, s0, s35
.LBB47_3947:
	s_or_b32 exec_lo, exec_lo, s36
	s_mov_b32 s0, 0
	s_mov_b32 vcc_lo, 0
	s_mov_b32 s38, 0
                                        ; implicit-def: $vgpr4
                                        ; implicit-def: $vgpr2_vgpr3
	s_and_saveexec_b32 s36, s37
	s_cbranch_execz .LBB47_4151
; %bb.3948:
	s_mov_b32 s39, -1
	s_mov_b32 s37, s35
	s_mov_b32 s38, exec_lo
	v_cmpx_lt_i32_e64 v37, v6
	s_cbranch_execz .LBB47_3954
; %bb.3949:
	v_add_nc_u32_e32 v1, s11, v37
	v_and_b32_e32 v3, 0xff, v11
	s_mov_b32 s39, s35
	s_mov_b32 s37, exec_lo
	s_delay_alu instid0(VALU_DEP_2) | instskip(NEXT) | instid1(VALU_DEP_1)
	v_mul_lo_u32 v1, v1, v12
	v_add_co_u32 v1, vcc_lo, v52, v1
	v_add_co_ci_u32_e32 v2, vcc_lo, 0, v51, vcc_lo
	v_cmpx_lt_i16_e32 10, v3
	s_xor_b32 s37, exec_lo, s37
	s_cbranch_execnz .LBB47_6102
; %bb.3950:
	s_and_not1_saveexec_b32 s37, s37
	s_cbranch_execnz .LBB47_6183
.LBB47_3951:
	s_or_b32 exec_lo, exec_lo, s37
	s_mov_b32 vcc_lo, 0
	s_and_saveexec_b32 s37, s0
.LBB47_3952:
	v_add_nc_u32_e32 v37, 0x200, v37
	s_mov_b32 vcc_lo, exec_lo
.LBB47_3953:
	s_or_b32 exec_lo, exec_lo, s37
	s_delay_alu instid0(SALU_CYCLE_1)
	s_and_not1_b32 s0, s35, exec_lo
	s_and_b32 s37, s39, exec_lo
	s_or_not1_b32 s39, vcc_lo, exec_lo
	s_or_b32 s37, s0, s37
.LBB47_3954:
	s_or_b32 exec_lo, exec_lo, s38
	s_mov_b32 s0, 0
	s_mov_b32 vcc_lo, 0
	s_mov_b32 s40, 0
                                        ; implicit-def: $vgpr4
                                        ; implicit-def: $vgpr2_vgpr3
	s_and_saveexec_b32 s38, s39
	s_cbranch_execz .LBB47_4150
; %bb.3955:
	s_mov_b32 s41, -1
	s_mov_b32 s39, s37
	s_mov_b32 s40, exec_lo
	v_cmpx_lt_i32_e64 v37, v6
	s_cbranch_execz .LBB47_3961
; %bb.3956:
	v_add_nc_u32_e32 v1, s11, v37
	v_and_b32_e32 v3, 0xff, v11
	s_mov_b32 s41, s37
	s_mov_b32 s39, exec_lo
	s_delay_alu instid0(VALU_DEP_2) | instskip(NEXT) | instid1(VALU_DEP_1)
	v_mul_lo_u32 v1, v1, v12
	v_add_co_u32 v1, vcc_lo, v52, v1
	v_add_co_ci_u32_e32 v2, vcc_lo, 0, v51, vcc_lo
	v_cmpx_lt_i16_e32 10, v3
	s_xor_b32 s39, exec_lo, s39
	s_cbranch_execnz .LBB47_6228
; %bb.3957:
	s_and_not1_saveexec_b32 s39, s39
	s_cbranch_execnz .LBB47_6309
.LBB47_3958:
	s_or_b32 exec_lo, exec_lo, s39
	s_mov_b32 vcc_lo, 0
	s_and_saveexec_b32 s39, s0
.LBB47_3959:
	v_add_nc_u32_e32 v37, 0x200, v37
	s_mov_b32 vcc_lo, exec_lo
.LBB47_3960:
	s_or_b32 exec_lo, exec_lo, s39
	s_delay_alu instid0(SALU_CYCLE_1)
	s_and_not1_b32 s0, s37, exec_lo
	s_and_b32 s39, s41, exec_lo
	s_or_not1_b32 s41, vcc_lo, exec_lo
	s_or_b32 s39, s0, s39
.LBB47_3961:
	s_or_b32 exec_lo, exec_lo, s40
	s_mov_b32 s0, 0
	s_mov_b32 vcc_lo, 0
	s_mov_b32 s42, 0
                                        ; implicit-def: $vgpr4
                                        ; implicit-def: $vgpr2_vgpr3
	s_and_saveexec_b32 s40, s41
	s_cbranch_execz .LBB47_4149
; %bb.3962:
	s_mov_b32 s43, -1
	s_mov_b32 s41, s39
	s_mov_b32 s42, exec_lo
	v_cmpx_lt_i32_e64 v37, v6
	s_cbranch_execz .LBB47_3968
; %bb.3963:
	v_add_nc_u32_e32 v1, s11, v37
	v_and_b32_e32 v3, 0xff, v11
	s_mov_b32 s43, s39
	s_mov_b32 s41, exec_lo
	s_delay_alu instid0(VALU_DEP_2) | instskip(NEXT) | instid1(VALU_DEP_1)
	v_mul_lo_u32 v1, v1, v12
	v_add_co_u32 v1, vcc_lo, v52, v1
	v_add_co_ci_u32_e32 v2, vcc_lo, 0, v51, vcc_lo
	v_cmpx_lt_i16_e32 10, v3
	s_xor_b32 s41, exec_lo, s41
	s_cbranch_execnz .LBB47_6354
; %bb.3964:
	s_and_not1_saveexec_b32 s41, s41
	s_cbranch_execnz .LBB47_6435
.LBB47_3965:
	s_or_b32 exec_lo, exec_lo, s41
	s_mov_b32 vcc_lo, 0
	s_and_saveexec_b32 s41, s0
.LBB47_3966:
	v_add_nc_u32_e32 v37, 0x200, v37
	s_mov_b32 vcc_lo, exec_lo
.LBB47_3967:
	s_or_b32 exec_lo, exec_lo, s41
	s_delay_alu instid0(SALU_CYCLE_1)
	s_and_not1_b32 s0, s39, exec_lo
	s_and_b32 s41, s43, exec_lo
	s_or_not1_b32 s43, vcc_lo, exec_lo
	s_or_b32 s41, s0, s41
.LBB47_3968:
	s_or_b32 exec_lo, exec_lo, s42
	s_mov_b32 s0, 0
	s_mov_b32 vcc_lo, 0
	s_mov_b32 s44, 0
                                        ; implicit-def: $vgpr4
                                        ; implicit-def: $vgpr2_vgpr3
	s_and_saveexec_b32 s42, s43
	s_cbranch_execz .LBB47_4148
; %bb.3969:
	s_mov_b32 s45, -1
	s_mov_b32 s43, s41
	s_mov_b32 s44, exec_lo
	v_cmpx_lt_i32_e64 v37, v6
	s_cbranch_execz .LBB47_3975
; %bb.3970:
	v_add_nc_u32_e32 v1, s11, v37
	v_and_b32_e32 v3, 0xff, v11
	s_mov_b32 s45, s41
	s_mov_b32 s43, exec_lo
	s_delay_alu instid0(VALU_DEP_2) | instskip(NEXT) | instid1(VALU_DEP_1)
	v_mul_lo_u32 v1, v1, v12
	v_add_co_u32 v1, vcc_lo, v52, v1
	v_add_co_ci_u32_e32 v2, vcc_lo, 0, v51, vcc_lo
	v_cmpx_lt_i16_e32 10, v3
	s_xor_b32 s43, exec_lo, s43
	s_cbranch_execnz .LBB47_6480
; %bb.3971:
	s_and_not1_saveexec_b32 s43, s43
	s_cbranch_execnz .LBB47_6561
.LBB47_3972:
	s_or_b32 exec_lo, exec_lo, s43
	s_mov_b32 vcc_lo, 0
	s_and_saveexec_b32 s43, s0
.LBB47_3973:
	v_add_nc_u32_e32 v37, 0x200, v37
	s_mov_b32 vcc_lo, exec_lo
.LBB47_3974:
	s_or_b32 exec_lo, exec_lo, s43
	s_delay_alu instid0(SALU_CYCLE_1)
	s_and_not1_b32 s0, s41, exec_lo
	s_and_b32 s43, s45, exec_lo
	s_or_not1_b32 s45, vcc_lo, exec_lo
	s_or_b32 s43, s0, s43
.LBB47_3975:
	s_or_b32 exec_lo, exec_lo, s44
	s_mov_b32 s0, 0
	s_mov_b32 vcc_lo, 0
	s_mov_b32 s46, 0
                                        ; implicit-def: $vgpr4
                                        ; implicit-def: $vgpr2_vgpr3
	s_and_saveexec_b32 s44, s45
	s_cbranch_execz .LBB47_4147
; %bb.3976:
	s_mov_b32 s47, -1
	s_mov_b32 s45, s43
	s_mov_b32 s46, exec_lo
	v_cmpx_lt_i32_e64 v37, v6
	s_cbranch_execz .LBB47_3982
; %bb.3977:
	v_add_nc_u32_e32 v1, s11, v37
	v_and_b32_e32 v3, 0xff, v11
	s_mov_b32 s47, s43
	s_mov_b32 s45, exec_lo
	s_delay_alu instid0(VALU_DEP_2) | instskip(NEXT) | instid1(VALU_DEP_1)
	v_mul_lo_u32 v1, v1, v12
	v_add_co_u32 v1, vcc_lo, v52, v1
	v_add_co_ci_u32_e32 v2, vcc_lo, 0, v51, vcc_lo
	v_cmpx_lt_i16_e32 10, v3
	s_xor_b32 s45, exec_lo, s45
	s_cbranch_execnz .LBB47_6606
; %bb.3978:
	s_and_not1_saveexec_b32 s45, s45
	s_cbranch_execnz .LBB47_6687
.LBB47_3979:
	s_or_b32 exec_lo, exec_lo, s45
	s_mov_b32 vcc_lo, 0
	s_and_saveexec_b32 s45, s0
.LBB47_3980:
	v_add_nc_u32_e32 v37, 0x200, v37
	s_mov_b32 vcc_lo, exec_lo
.LBB47_3981:
	s_or_b32 exec_lo, exec_lo, s45
	s_delay_alu instid0(SALU_CYCLE_1)
	s_and_not1_b32 s0, s43, exec_lo
	s_and_b32 s45, s47, exec_lo
	s_or_not1_b32 s47, vcc_lo, exec_lo
	s_or_b32 s45, s0, s45
.LBB47_3982:
	s_or_b32 exec_lo, exec_lo, s46
	s_mov_b32 s0, 0
	s_mov_b32 vcc_lo, 0
	s_mov_b32 s48, 0
                                        ; implicit-def: $vgpr4
                                        ; implicit-def: $vgpr2_vgpr3
	s_and_saveexec_b32 s46, s47
	s_cbranch_execz .LBB47_4146
; %bb.3983:
	s_mov_b32 s49, -1
	s_mov_b32 s47, s45
	s_mov_b32 s48, exec_lo
	v_cmpx_lt_i32_e64 v37, v6
	s_cbranch_execz .LBB47_3989
; %bb.3984:
	v_add_nc_u32_e32 v1, s11, v37
	v_and_b32_e32 v3, 0xff, v11
	s_mov_b32 s49, s45
	s_mov_b32 s47, exec_lo
	s_delay_alu instid0(VALU_DEP_2) | instskip(NEXT) | instid1(VALU_DEP_1)
	v_mul_lo_u32 v1, v1, v12
	v_add_co_u32 v1, vcc_lo, v52, v1
	v_add_co_ci_u32_e32 v2, vcc_lo, 0, v51, vcc_lo
	v_cmpx_lt_i16_e32 10, v3
	s_xor_b32 s47, exec_lo, s47
	s_cbranch_execnz .LBB47_6732
; %bb.3985:
	s_and_not1_saveexec_b32 s47, s47
	s_cbranch_execnz .LBB47_6813
.LBB47_3986:
	s_or_b32 exec_lo, exec_lo, s47
	s_mov_b32 vcc_lo, 0
	s_and_saveexec_b32 s47, s0
.LBB47_3987:
	v_add_nc_u32_e32 v37, 0x200, v37
	s_mov_b32 vcc_lo, exec_lo
.LBB47_3988:
	s_or_b32 exec_lo, exec_lo, s47
	s_delay_alu instid0(SALU_CYCLE_1)
	s_and_not1_b32 s0, s45, exec_lo
	s_and_b32 s47, s49, exec_lo
	s_or_not1_b32 s49, vcc_lo, exec_lo
	s_or_b32 s47, s0, s47
.LBB47_3989:
	s_or_b32 exec_lo, exec_lo, s48
	s_mov_b32 s0, 0
	s_mov_b32 vcc_lo, 0
	s_mov_b32 s50, 0
                                        ; implicit-def: $vgpr4
                                        ; implicit-def: $vgpr2_vgpr3
	s_and_saveexec_b32 s48, s49
	s_cbranch_execz .LBB47_4145
; %bb.3990:
	s_mov_b32 s51, -1
	s_mov_b32 s49, s47
	s_mov_b32 s50, exec_lo
	v_cmpx_lt_i32_e64 v37, v6
	s_cbranch_execz .LBB47_3996
; %bb.3991:
	v_add_nc_u32_e32 v1, s11, v37
	v_and_b32_e32 v3, 0xff, v11
	s_mov_b32 s51, s47
	s_mov_b32 s49, exec_lo
	s_delay_alu instid0(VALU_DEP_2) | instskip(NEXT) | instid1(VALU_DEP_1)
	v_mul_lo_u32 v1, v1, v12
	v_add_co_u32 v1, vcc_lo, v52, v1
	v_add_co_ci_u32_e32 v2, vcc_lo, 0, v51, vcc_lo
	v_cmpx_lt_i16_e32 10, v3
	s_xor_b32 s49, exec_lo, s49
	s_cbranch_execnz .LBB47_6858
; %bb.3992:
	s_and_not1_saveexec_b32 s49, s49
	s_cbranch_execnz .LBB47_6939
.LBB47_3993:
	s_or_b32 exec_lo, exec_lo, s49
	s_mov_b32 vcc_lo, 0
	s_and_saveexec_b32 s49, s0
.LBB47_3994:
	v_add_nc_u32_e32 v37, 0x200, v37
	s_mov_b32 vcc_lo, exec_lo
.LBB47_3995:
	s_or_b32 exec_lo, exec_lo, s49
	s_delay_alu instid0(SALU_CYCLE_1)
	s_and_not1_b32 s0, s47, exec_lo
	s_and_b32 s49, s51, exec_lo
	s_or_not1_b32 s51, vcc_lo, exec_lo
	s_or_b32 s49, s0, s49
.LBB47_3996:
	s_or_b32 exec_lo, exec_lo, s50
	s_mov_b32 s0, 0
	s_mov_b32 vcc_lo, 0
	s_mov_b32 s52, 0
                                        ; implicit-def: $vgpr4
                                        ; implicit-def: $vgpr2_vgpr3
	s_and_saveexec_b32 s50, s51
	s_cbranch_execz .LBB47_4144
; %bb.3997:
	s_mov_b32 s53, -1
	s_mov_b32 s51, s49
	s_mov_b32 s52, exec_lo
	v_cmpx_lt_i32_e64 v37, v6
	s_cbranch_execz .LBB47_4003
; %bb.3998:
	v_add_nc_u32_e32 v1, s11, v37
	v_and_b32_e32 v3, 0xff, v11
	s_mov_b32 s53, s49
	s_mov_b32 s51, exec_lo
	s_delay_alu instid0(VALU_DEP_2) | instskip(NEXT) | instid1(VALU_DEP_1)
	v_mul_lo_u32 v1, v1, v12
	v_add_co_u32 v1, vcc_lo, v52, v1
	v_add_co_ci_u32_e32 v2, vcc_lo, 0, v51, vcc_lo
	v_cmpx_lt_i16_e32 10, v3
	s_xor_b32 s51, exec_lo, s51
	s_cbranch_execnz .LBB47_6984
; %bb.3999:
	s_and_not1_saveexec_b32 s51, s51
	s_cbranch_execnz .LBB47_7065
.LBB47_4000:
	s_or_b32 exec_lo, exec_lo, s51
	s_mov_b32 vcc_lo, 0
	s_and_saveexec_b32 s51, s0
.LBB47_4001:
	v_add_nc_u32_e32 v37, 0x200, v37
	s_mov_b32 vcc_lo, exec_lo
.LBB47_4002:
	s_or_b32 exec_lo, exec_lo, s51
	s_delay_alu instid0(SALU_CYCLE_1)
	s_and_not1_b32 s0, s49, exec_lo
	s_and_b32 s51, s53, exec_lo
	s_or_not1_b32 s53, vcc_lo, exec_lo
	s_or_b32 s51, s0, s51
.LBB47_4003:
	s_or_b32 exec_lo, exec_lo, s52
	s_mov_b32 s0, 0
	s_mov_b32 vcc_lo, 0
	s_mov_b32 s54, 0
                                        ; implicit-def: $vgpr4
                                        ; implicit-def: $vgpr2_vgpr3
	s_and_saveexec_b32 s52, s53
	s_cbranch_execz .LBB47_4143
; %bb.4004:
	s_mov_b32 s55, -1
	s_mov_b32 s53, s51
	s_mov_b32 s54, exec_lo
	v_cmpx_lt_i32_e64 v37, v6
	s_cbranch_execz .LBB47_4010
; %bb.4005:
	v_add_nc_u32_e32 v1, s11, v37
	v_and_b32_e32 v3, 0xff, v11
	s_mov_b32 s55, s51
	s_mov_b32 s53, exec_lo
	s_delay_alu instid0(VALU_DEP_2) | instskip(NEXT) | instid1(VALU_DEP_1)
	v_mul_lo_u32 v1, v1, v12
	v_add_co_u32 v1, vcc_lo, v52, v1
	v_add_co_ci_u32_e32 v2, vcc_lo, 0, v51, vcc_lo
	v_cmpx_lt_i16_e32 10, v3
	s_xor_b32 s53, exec_lo, s53
	s_cbranch_execnz .LBB47_7110
; %bb.4006:
	s_and_not1_saveexec_b32 s53, s53
	s_cbranch_execnz .LBB47_7191
.LBB47_4007:
	s_or_b32 exec_lo, exec_lo, s53
	s_mov_b32 vcc_lo, 0
	s_and_saveexec_b32 s53, s0
.LBB47_4008:
	v_add_nc_u32_e32 v37, 0x200, v37
	s_mov_b32 vcc_lo, exec_lo
.LBB47_4009:
	s_or_b32 exec_lo, exec_lo, s53
	s_delay_alu instid0(SALU_CYCLE_1)
	s_and_not1_b32 s0, s51, exec_lo
	s_and_b32 s53, s55, exec_lo
	s_or_not1_b32 s55, vcc_lo, exec_lo
	s_or_b32 s53, s0, s53
.LBB47_4010:
	s_or_b32 exec_lo, exec_lo, s54
	s_mov_b32 s0, 0
	s_mov_b32 vcc_lo, 0
	s_mov_b32 s56, 0
                                        ; implicit-def: $vgpr4
                                        ; implicit-def: $vgpr2_vgpr3
	s_and_saveexec_b32 s54, s55
	s_cbranch_execz .LBB47_4142
; %bb.4011:
	s_mov_b32 s57, -1
	s_mov_b32 s55, s53
	s_mov_b32 s56, exec_lo
	v_cmpx_lt_i32_e64 v37, v6
	s_cbranch_execz .LBB47_4017
; %bb.4012:
	v_add_nc_u32_e32 v1, s11, v37
	v_and_b32_e32 v3, 0xff, v11
	s_mov_b32 s57, s53
	s_mov_b32 s55, exec_lo
	s_delay_alu instid0(VALU_DEP_2) | instskip(NEXT) | instid1(VALU_DEP_1)
	v_mul_lo_u32 v1, v1, v12
	v_add_co_u32 v1, vcc_lo, v52, v1
	v_add_co_ci_u32_e32 v2, vcc_lo, 0, v51, vcc_lo
	v_cmpx_lt_i16_e32 10, v3
	s_xor_b32 s55, exec_lo, s55
	s_cbranch_execnz .LBB47_7236
; %bb.4013:
	s_and_not1_saveexec_b32 s55, s55
	s_cbranch_execnz .LBB47_7317
.LBB47_4014:
	s_or_b32 exec_lo, exec_lo, s55
	s_mov_b32 vcc_lo, 0
	s_and_saveexec_b32 s55, s0
.LBB47_4015:
	v_add_nc_u32_e32 v37, 0x200, v37
	s_mov_b32 vcc_lo, exec_lo
.LBB47_4016:
	s_or_b32 exec_lo, exec_lo, s55
	s_delay_alu instid0(SALU_CYCLE_1)
	s_and_not1_b32 s0, s53, exec_lo
	s_and_b32 s55, s57, exec_lo
	s_or_not1_b32 s57, vcc_lo, exec_lo
	s_or_b32 s55, s0, s55
.LBB47_4017:
	s_or_b32 exec_lo, exec_lo, s56
	s_mov_b32 s0, 0
	s_mov_b32 vcc_lo, 0
	s_mov_b32 s58, 0
                                        ; implicit-def: $vgpr4
                                        ; implicit-def: $vgpr2_vgpr3
	s_and_saveexec_b32 s56, s57
	s_cbranch_execz .LBB47_4141
; %bb.4018:
	s_mov_b32 s59, -1
	s_mov_b32 s57, s55
	s_mov_b32 s58, exec_lo
	v_cmpx_lt_i32_e64 v37, v6
	s_cbranch_execz .LBB47_4024
; %bb.4019:
	v_add_nc_u32_e32 v1, s11, v37
	v_and_b32_e32 v3, 0xff, v11
	s_mov_b32 s59, s55
	s_mov_b32 s57, exec_lo
	s_delay_alu instid0(VALU_DEP_2) | instskip(NEXT) | instid1(VALU_DEP_1)
	v_mul_lo_u32 v1, v1, v12
	v_add_co_u32 v1, vcc_lo, v52, v1
	v_add_co_ci_u32_e32 v2, vcc_lo, 0, v51, vcc_lo
	v_cmpx_lt_i16_e32 10, v3
	s_xor_b32 s57, exec_lo, s57
	s_cbranch_execnz .LBB47_7362
; %bb.4020:
	s_and_not1_saveexec_b32 s57, s57
	s_cbranch_execnz .LBB47_7443
.LBB47_4021:
	s_or_b32 exec_lo, exec_lo, s57
	s_mov_b32 vcc_lo, 0
	s_and_saveexec_b32 s57, s0
.LBB47_4022:
	v_add_nc_u32_e32 v37, 0x200, v37
	s_mov_b32 vcc_lo, exec_lo
.LBB47_4023:
	s_or_b32 exec_lo, exec_lo, s57
	s_delay_alu instid0(SALU_CYCLE_1)
	s_and_not1_b32 s0, s55, exec_lo
	s_and_b32 s57, s59, exec_lo
	s_or_not1_b32 s59, vcc_lo, exec_lo
	s_or_b32 s57, s0, s57
.LBB47_4024:
	s_or_b32 exec_lo, exec_lo, s58
	s_mov_b32 s0, 0
	s_mov_b32 vcc_lo, 0
	s_mov_b32 s60, 0
                                        ; implicit-def: $vgpr4
                                        ; implicit-def: $vgpr2_vgpr3
	s_and_saveexec_b32 s58, s59
	s_cbranch_execz .LBB47_4140
; %bb.4025:
	s_mov_b32 s61, -1
	s_mov_b32 s59, s57
	s_mov_b32 s60, exec_lo
	v_cmpx_lt_i32_e64 v37, v6
	s_cbranch_execz .LBB47_4031
; %bb.4026:
	v_add_nc_u32_e32 v1, s11, v37
	v_and_b32_e32 v3, 0xff, v11
	s_mov_b32 s61, s57
	s_mov_b32 s59, exec_lo
	s_delay_alu instid0(VALU_DEP_2) | instskip(NEXT) | instid1(VALU_DEP_1)
	v_mul_lo_u32 v1, v1, v12
	v_add_co_u32 v1, vcc_lo, v52, v1
	v_add_co_ci_u32_e32 v2, vcc_lo, 0, v51, vcc_lo
	v_cmpx_lt_i16_e32 10, v3
	s_xor_b32 s59, exec_lo, s59
	s_cbranch_execnz .LBB47_7488
; %bb.4027:
	s_and_not1_saveexec_b32 s59, s59
	s_cbranch_execnz .LBB47_7569
.LBB47_4028:
	s_or_b32 exec_lo, exec_lo, s59
	s_mov_b32 vcc_lo, 0
	s_and_saveexec_b32 s59, s0
.LBB47_4029:
	v_add_nc_u32_e32 v37, 0x200, v37
	s_mov_b32 vcc_lo, exec_lo
.LBB47_4030:
	s_or_b32 exec_lo, exec_lo, s59
	s_delay_alu instid0(SALU_CYCLE_1)
	s_and_not1_b32 s0, s57, exec_lo
	s_and_b32 s59, s61, exec_lo
	s_or_not1_b32 s61, vcc_lo, exec_lo
	s_or_b32 s59, s0, s59
.LBB47_4031:
	s_or_b32 exec_lo, exec_lo, s60
	s_mov_b32 s0, 0
	s_mov_b32 vcc_lo, 0
	s_mov_b32 s62, 0
                                        ; implicit-def: $vgpr4
                                        ; implicit-def: $vgpr2_vgpr3
	s_and_saveexec_b32 s60, s61
	s_cbranch_execz .LBB47_4139
; %bb.4032:
	s_mov_b32 s63, -1
	s_mov_b32 s61, s59
	s_mov_b32 s62, exec_lo
	v_cmpx_lt_i32_e64 v37, v6
	s_cbranch_execz .LBB47_4038
; %bb.4033:
	v_add_nc_u32_e32 v1, s11, v37
	v_and_b32_e32 v3, 0xff, v11
	s_mov_b32 s63, s59
	s_mov_b32 s61, exec_lo
	s_delay_alu instid0(VALU_DEP_2) | instskip(NEXT) | instid1(VALU_DEP_1)
	v_mul_lo_u32 v1, v1, v12
	v_add_co_u32 v1, vcc_lo, v52, v1
	v_add_co_ci_u32_e32 v2, vcc_lo, 0, v51, vcc_lo
	v_cmpx_lt_i16_e32 10, v3
	s_xor_b32 s61, exec_lo, s61
	s_cbranch_execnz .LBB47_7614
; %bb.4034:
	s_and_not1_saveexec_b32 s61, s61
	s_cbranch_execnz .LBB47_7695
.LBB47_4035:
	s_or_b32 exec_lo, exec_lo, s61
	s_mov_b32 vcc_lo, 0
	s_and_saveexec_b32 s61, s0
.LBB47_4036:
	v_add_nc_u32_e32 v37, 0x200, v37
	s_mov_b32 vcc_lo, exec_lo
.LBB47_4037:
	s_or_b32 exec_lo, exec_lo, s61
	s_delay_alu instid0(SALU_CYCLE_1)
	s_and_not1_b32 s0, s59, exec_lo
	s_and_b32 s61, s63, exec_lo
	s_or_not1_b32 s63, vcc_lo, exec_lo
	s_or_b32 s61, s0, s61
.LBB47_4038:
	s_or_b32 exec_lo, exec_lo, s62
	s_mov_b32 s0, 0
	s_mov_b32 vcc_lo, 0
	s_mov_b32 s64, 0
                                        ; implicit-def: $vgpr4
                                        ; implicit-def: $vgpr2_vgpr3
	s_and_saveexec_b32 s62, s63
	s_cbranch_execz .LBB47_4138
; %bb.4039:
	s_mov_b32 s66, -1
	s_mov_b32 s63, s61
	s_mov_b32 s64, exec_lo
	v_cmpx_lt_i32_e64 v37, v6
	s_cbranch_execz .LBB47_4045
; %bb.4040:
	v_add_nc_u32_e32 v1, s11, v37
	v_and_b32_e32 v3, 0xff, v11
	s_mov_b32 s65, s61
	s_mov_b32 s63, exec_lo
	s_delay_alu instid0(VALU_DEP_2) | instskip(NEXT) | instid1(VALU_DEP_1)
	v_mul_lo_u32 v1, v1, v12
	v_add_co_u32 v1, vcc_lo, v52, v1
	v_add_co_ci_u32_e32 v2, vcc_lo, 0, v51, vcc_lo
	v_cmpx_lt_i16_e32 10, v3
	s_xor_b32 s63, exec_lo, s63
	s_cbranch_execnz .LBB47_7740
; %bb.4041:
	s_and_not1_saveexec_b32 s63, s63
	s_cbranch_execnz .LBB47_7821
.LBB47_4042:
	s_or_b32 exec_lo, exec_lo, s63
	s_mov_b32 vcc_lo, 0
	s_and_saveexec_b32 s63, s0
.LBB47_4043:
	v_add_nc_u32_e32 v37, 0x200, v37
	s_mov_b32 vcc_lo, exec_lo
.LBB47_4044:
	s_or_b32 exec_lo, exec_lo, s63
	s_delay_alu instid0(SALU_CYCLE_1)
	s_and_not1_b32 s0, s61, exec_lo
	s_and_b32 s63, s65, exec_lo
	s_or_not1_b32 s66, vcc_lo, exec_lo
	s_or_b32 s63, s0, s63
.LBB47_4045:
	s_or_b32 exec_lo, exec_lo, s64
	s_mov_b32 s0, 0
	s_mov_b32 vcc_lo, 0
	s_mov_b32 s65, 0
                                        ; implicit-def: $vgpr4
                                        ; implicit-def: $vgpr2_vgpr3
	s_and_saveexec_b32 s64, s66
	s_cbranch_execz .LBB47_4137
; %bb.4046:
	s_mov_b32 s68, -1
	s_mov_b32 s66, s63
	s_mov_b32 s65, exec_lo
	v_cmpx_lt_i32_e64 v37, v6
	s_cbranch_execz .LBB47_4052
; %bb.4047:
	v_add_nc_u32_e32 v1, s11, v37
	v_and_b32_e32 v3, 0xff, v11
	s_mov_b32 s67, s63
	s_mov_b32 s66, exec_lo
	s_delay_alu instid0(VALU_DEP_2) | instskip(NEXT) | instid1(VALU_DEP_1)
	v_mul_lo_u32 v1, v1, v12
	v_add_co_u32 v1, vcc_lo, v52, v1
	v_add_co_ci_u32_e32 v2, vcc_lo, 0, v51, vcc_lo
	v_cmpx_lt_i16_e32 10, v3
	s_xor_b32 s66, exec_lo, s66
	s_cbranch_execnz .LBB47_7866
; %bb.4048:
	s_and_not1_saveexec_b32 s66, s66
	s_cbranch_execnz .LBB47_7947
.LBB47_4049:
	s_or_b32 exec_lo, exec_lo, s66
	s_mov_b32 vcc_lo, 0
	s_and_saveexec_b32 s66, s0
.LBB47_4050:
	v_add_nc_u32_e32 v37, 0x200, v37
	s_mov_b32 vcc_lo, exec_lo
.LBB47_4051:
	s_or_b32 exec_lo, exec_lo, s66
	s_delay_alu instid0(SALU_CYCLE_1)
	s_and_not1_b32 s0, s63, exec_lo
	s_and_b32 s66, s67, exec_lo
	s_or_not1_b32 s68, vcc_lo, exec_lo
	s_or_b32 s66, s0, s66
.LBB47_4052:
	s_or_b32 exec_lo, exec_lo, s65
	s_mov_b32 s0, 0
	s_mov_b32 vcc_lo, 0
	s_mov_b32 s67, 0
                                        ; implicit-def: $vgpr4
                                        ; implicit-def: $vgpr2_vgpr3
	s_and_saveexec_b32 s65, s68
	s_cbranch_execz .LBB47_4136
; %bb.4053:
	s_mov_b32 s68, -1
	s_mov_b32 s69, s66
	s_mov_b32 s70, 0
	s_mov_b32 s67, exec_lo
                                        ; implicit-def: $vgpr4
                                        ; implicit-def: $vgpr2_vgpr3
	v_cmpx_lt_i32_e64 v37, v6
	s_cbranch_execz .LBB47_4135
; %bb.4054:
	v_add_nc_u32_e32 v1, s11, v37
	v_and_b32_e32 v4, 0xff, v11
	s_mov_b32 s70, -1
	s_mov_b32 s69, s66
	s_mov_b32 s68, 0
	v_mul_lo_u32 v1, v1, v12
	s_mov_b32 s11, exec_lo
	s_delay_alu instid0(VALU_DEP_1)
	v_add_co_u32 v2, vcc_lo, v52, v1
	v_add_co_ci_u32_e32 v3, vcc_lo, 0, v51, vcc_lo
	v_cmpx_lt_i16_e32 10, v4
	s_cbranch_execz .LBB47_4134
; %bb.4055:
	s_mov_b32 s69, 0
	s_mov_b32 s0, s66
	s_mov_b32 s70, exec_lo
	v_cmpx_lt_i16_e32 25, v4
	s_xor_b32 s70, exec_lo, s70
	s_cbranch_execz .LBB47_4091
; %bb.4056:
	s_mov_b32 s0, 0
	s_mov_b32 s71, s66
	s_mov_b32 s68, exec_lo
	v_cmpx_lt_i16_e32 28, v4
	s_xor_b32 s68, exec_lo, s68
	s_cbranch_execz .LBB47_4074
; %bb.4057:
	s_mov_b32 s72, s66
	s_mov_b32 s71, exec_lo
	v_cmpx_lt_i16_e32 43, v4
	s_xor_b32 s71, exec_lo, s71
	s_cbranch_execz .LBB47_4069
; %bb.4058:
	s_mov_b32 s72, 0
	s_mov_b32 s73, s66
	s_mov_b32 s0, exec_lo
	v_cmpx_lt_i16_e32 45, v4
	s_xor_b32 s0, exec_lo, s0
	s_cbranch_execz .LBB47_4062
; %bb.4059:
	s_mov_b32 s73, -1
	s_mov_b32 s74, exec_lo
	v_cmpx_eq_u16_e32 46, v4
	s_cbranch_execz .LBB47_4061
; %bb.4060:
	v_bfe_u32 v1, v0, 16, 1
	v_cmp_o_f32_e32 vcc_lo, v0, v0
	s_mov_b32 s72, exec_lo
	s_xor_b32 s73, exec_lo, -1
	s_delay_alu instid0(VALU_DEP_2) | instskip(NEXT) | instid1(VALU_DEP_1)
	v_add3_u32 v1, v0, v1, 0x7fff
	v_lshrrev_b32_e32 v1, 16, v1
	s_delay_alu instid0(VALU_DEP_1)
	v_cndmask_b32_e32 v1, 0x7fc0, v1, vcc_lo
	flat_store_b32 v[2:3], v1
.LBB47_4061:
	s_or_b32 exec_lo, exec_lo, s74
	s_delay_alu instid0(SALU_CYCLE_1)
	s_and_not1_b32 vcc_lo, s66, exec_lo
	s_and_b32 s73, s73, exec_lo
	s_and_b32 s72, s72, exec_lo
	s_or_b32 s73, vcc_lo, s73
.LBB47_4062:
	s_and_not1_saveexec_b32 s74, s0
	s_cbranch_execz .LBB47_4068
; %bb.4063:
	s_mov_b32 s0, -1
	s_mov_b32 s76, s72
	s_mov_b32 s75, exec_lo
	v_cmpx_eq_u16_e32 44, v4
	s_cbranch_execz .LBB47_4067
; %bb.4064:
	v_bfe_u32 v5, v0, 23, 8
	v_mov_b32_e32 v1, 0xff
	s_mov_b32 s76, exec_lo
	s_delay_alu instid0(VALU_DEP_2)
	v_cmpx_ne_u32_e32 0xff, v5
; %bb.4065:
	v_and_b32_e32 v1, 0x400000, v0
	v_and_or_b32 v5, 0x3fffff, v0, v5
	s_delay_alu instid0(VALU_DEP_2) | instskip(NEXT) | instid1(VALU_DEP_2)
	v_cmp_ne_u32_e32 vcc_lo, 0, v1
	v_cmp_ne_u32_e64 s0, 0, v5
	v_lshrrev_b32_e32 v1, 23, v0
	s_delay_alu instid0(VALU_DEP_2) | instskip(NEXT) | instid1(SALU_CYCLE_1)
	s_and_b32 s0, vcc_lo, s0
	v_cndmask_b32_e64 v5, 0, 1, s0
	s_delay_alu instid0(VALU_DEP_1)
	v_add_nc_u32_e32 v1, v1, v5
; %bb.4066:
	s_or_b32 exec_lo, exec_lo, s76
	s_delay_alu instid0(SALU_CYCLE_1)
	s_or_b32 s76, s72, exec_lo
	s_xor_b32 s0, exec_lo, -1
	flat_store_b8 v[2:3], v1
.LBB47_4067:
	s_or_b32 exec_lo, exec_lo, s75
	s_delay_alu instid0(SALU_CYCLE_1)
	s_and_not1_b32 vcc_lo, s72, exec_lo
	s_and_b32 s72, s76, exec_lo
	s_and_not1_b32 s73, s73, exec_lo
	s_and_b32 s0, s0, exec_lo
	s_or_b32 s72, vcc_lo, s72
	s_or_b32 s73, s73, s0
.LBB47_4068:
	s_or_b32 exec_lo, exec_lo, s74
	s_delay_alu instid0(SALU_CYCLE_1)
	s_and_not1_b32 vcc_lo, s66, exec_lo
	s_and_b32 s73, s73, exec_lo
	s_and_b32 s0, s72, exec_lo
	s_or_b32 s72, vcc_lo, s73
.LBB47_4069:
	s_and_not1_saveexec_b32 s71, s71
	s_cbranch_execz .LBB47_4073
; %bb.4070:
	s_mov_b32 s74, -1
	s_mov_b32 s75, s0
	s_mov_b32 s73, exec_lo
	v_cmpx_eq_u16_e32 29, v4
	s_cbranch_execz .LBB47_4072
; %bb.4071:
	v_trunc_f32_e32 v1, v0
	s_or_b32 s75, s0, exec_lo
	s_xor_b32 s74, exec_lo, -1
	s_delay_alu instid0(VALU_DEP_1) | instskip(NEXT) | instid1(VALU_DEP_1)
	v_mul_f32_e32 v5, 0x2f800000, v1
	v_floor_f32_e32 v5, v5
	s_delay_alu instid0(VALU_DEP_1) | instskip(SKIP_1) | instid1(VALU_DEP_2)
	v_fmamk_f32 v1, v5, 0xcf800000, v1
	v_cvt_u32_f32_e32 v6, v5
	v_cvt_u32_f32_e32 v5, v1
	flat_store_b64 v[2:3], v[5:6]
.LBB47_4072:
	s_or_b32 exec_lo, exec_lo, s73
	s_delay_alu instid0(SALU_CYCLE_1)
	s_and_not1_b32 s0, s0, exec_lo
	s_and_b32 vcc_lo, s75, exec_lo
	s_and_not1_b32 s72, s72, exec_lo
	s_and_b32 s73, s74, exec_lo
	s_or_b32 s0, s0, vcc_lo
	s_or_b32 s72, s72, s73
.LBB47_4073:
	s_or_b32 exec_lo, exec_lo, s71
	s_delay_alu instid0(SALU_CYCLE_1)
	s_and_not1_b32 vcc_lo, s66, exec_lo
	s_and_b32 s71, s72, exec_lo
	s_and_b32 s0, s0, exec_lo
	s_or_b32 s71, vcc_lo, s71
.LBB47_4074:
	s_and_not1_saveexec_b32 s68, s68
	s_cbranch_execz .LBB47_4090
; %bb.4075:
	s_mov_b32 s72, exec_lo
	v_cmpx_lt_i16_e32 26, v4
	s_xor_b32 s72, exec_lo, s72
	s_cbranch_execz .LBB47_4081
; %bb.4076:
	v_cmp_lt_i16_e32 vcc_lo, 27, v4
	v_cvt_u32_f32_e32 v1, v0
	s_and_saveexec_b32 s73, vcc_lo
	s_delay_alu instid0(SALU_CYCLE_1)
	s_xor_b32 vcc_lo, exec_lo, s73
	s_cbranch_execz .LBB47_4078
; %bb.4077:
	flat_store_b32 v[2:3], v1
                                        ; implicit-def: $vgpr1
.LBB47_4078:
	s_and_not1_saveexec_b32 vcc_lo, vcc_lo
	s_cbranch_execz .LBB47_4080
; %bb.4079:
	flat_store_b16 v[2:3], v1
.LBB47_4080:
	s_or_b32 exec_lo, exec_lo, vcc_lo
.LBB47_4081:
	s_and_not1_saveexec_b32 s72, s72
	s_cbranch_execz .LBB47_4089
; %bb.4082:
	v_and_b32_e32 v1, 0x7fffffff, v0
	v_mov_b32_e32 v5, 0x80
	s_mov_b32 s73, exec_lo
	s_delay_alu instid0(VALU_DEP_2)
	v_cmpx_gt_u32_e32 0x43800000, v1
	s_cbranch_execz .LBB47_4088
; %bb.4083:
	v_cmp_lt_u32_e32 vcc_lo, 0x3bffffff, v1
	s_mov_b32 s74, 0
                                        ; implicit-def: $vgpr1
	s_and_saveexec_b32 s75, vcc_lo
	s_delay_alu instid0(SALU_CYCLE_1)
	s_xor_b32 vcc_lo, exec_lo, s75
	s_cbranch_execnz .LBB47_8012
; %bb.4084:
	s_or_saveexec_b32 s75, vcc_lo
                                        ; implicit-def: $vcc_lo
	s_delay_alu instid0(SALU_CYCLE_1)
	s_xor_b32 exec_lo, exec_lo, s75
	s_cbranch_execnz .LBB47_8013
.LBB47_4085:
	s_or_b32 exec_lo, exec_lo, s75
	v_mov_b32_e32 v5, vcc_lo
	s_and_saveexec_b32 vcc_lo, s74
.LBB47_4086:
	v_lshrrev_b32_e32 v5, 24, v0
	s_delay_alu instid0(VALU_DEP_1)
	v_and_or_b32 v5, 0x80, v5, v1
.LBB47_4087:
	s_or_b32 exec_lo, exec_lo, vcc_lo
.LBB47_4088:
	s_delay_alu instid0(SALU_CYCLE_1)
	s_or_b32 exec_lo, exec_lo, s73
	flat_store_b8 v[2:3], v5
.LBB47_4089:
	s_or_b32 exec_lo, exec_lo, s72
	s_delay_alu instid0(SALU_CYCLE_1)
	s_or_b32 s0, s0, exec_lo
.LBB47_4090:
	s_or_b32 exec_lo, exec_lo, s68
	s_delay_alu instid0(SALU_CYCLE_1)
	s_and_not1_b32 vcc_lo, s66, exec_lo
	s_and_b32 s71, s71, exec_lo
	s_and_b32 s68, s0, exec_lo
	s_or_b32 s0, vcc_lo, s71
.LBB47_4091:
	s_and_not1_saveexec_b32 s70, s70
	s_cbranch_execz .LBB47_4133
; %bb.4092:
	s_mov_b32 s71, s68
	s_mov_b32 s69, exec_lo
	v_cmpx_lt_i16_e32 22, v4
	s_xor_b32 s69, exec_lo, s69
	s_cbranch_execz .LBB47_4124
; %bb.4093:
	s_mov_b32 s71, exec_lo
	v_cmpx_lt_i16_e32 23, v4
	s_xor_b32 s71, exec_lo, s71
	s_cbranch_execz .LBB47_4113
; %bb.4094:
	;; [unrolled: 5-line block ×3, first 2 shown]
	v_and_b32_e32 v1, 0x7fffffff, v0
	v_mov_b32_e32 v5, 0x80
	s_mov_b32 s73, exec_lo
	s_delay_alu instid0(VALU_DEP_2)
	v_cmpx_gt_u32_e32 0x47800000, v1
	s_cbranch_execz .LBB47_4101
; %bb.4096:
	v_cmp_lt_u32_e32 vcc_lo, 0x37ffffff, v1
	s_mov_b32 s74, 0
                                        ; implicit-def: $vgpr1
	s_and_saveexec_b32 s75, vcc_lo
	s_delay_alu instid0(SALU_CYCLE_1)
	s_xor_b32 vcc_lo, exec_lo, s75
	s_cbranch_execnz .LBB47_8016
; %bb.4097:
	s_or_saveexec_b32 s75, vcc_lo
                                        ; implicit-def: $vcc_lo
	s_delay_alu instid0(SALU_CYCLE_1)
	s_xor_b32 exec_lo, exec_lo, s75
	s_cbranch_execnz .LBB47_8017
.LBB47_4098:
	s_or_b32 exec_lo, exec_lo, s75
	v_mov_b32_e32 v5, vcc_lo
	s_and_saveexec_b32 vcc_lo, s74
.LBB47_4099:
	v_lshrrev_b32_e32 v5, 24, v0
	s_delay_alu instid0(VALU_DEP_1)
	v_and_or_b32 v5, 0x80, v5, v1
.LBB47_4100:
	s_or_b32 exec_lo, exec_lo, vcc_lo
.LBB47_4101:
	s_delay_alu instid0(SALU_CYCLE_1)
	s_or_b32 exec_lo, exec_lo, s73
	flat_store_b8 v[2:3], v5
.LBB47_4102:
	s_and_not1_saveexec_b32 s72, s72
	s_cbranch_execz .LBB47_4112
; %bb.4103:
	v_and_b32_e32 v5, 0x7fffffff, v0
	s_mov_b32 s73, exec_lo
                                        ; implicit-def: $vgpr1
	s_delay_alu instid0(VALU_DEP_1)
	v_cmpx_gt_u32_e32 0x43f00000, v5
	s_xor_b32 s73, exec_lo, s73
	s_cbranch_execz .LBB47_4109
; %bb.4104:
	s_mov_b32 s74, exec_lo
                                        ; implicit-def: $vgpr1
	v_cmpx_lt_u32_e32 0x3c7fffff, v5
	s_xor_b32 s74, exec_lo, s74
; %bb.4105:
	v_bfe_u32 v1, v0, 20, 1
	s_delay_alu instid0(VALU_DEP_1) | instskip(NEXT) | instid1(VALU_DEP_1)
	v_add3_u32 v1, v0, v1, 0x407ffff
	v_and_b32_e32 v5, 0xff00000, v1
	v_lshrrev_b32_e32 v1, 20, v1
	s_delay_alu instid0(VALU_DEP_2) | instskip(NEXT) | instid1(VALU_DEP_2)
	v_cmp_ne_u32_e32 vcc_lo, 0x7f00000, v5
	v_cndmask_b32_e32 v1, 0x7e, v1, vcc_lo
; %bb.4106:
	s_and_not1_saveexec_b32 vcc_lo, s74
; %bb.4107:
	v_add_f32_e64 v1, 0x46800000, |v0|
; %bb.4108:
	s_or_b32 exec_lo, exec_lo, vcc_lo
                                        ; implicit-def: $vgpr5
.LBB47_4109:
	s_and_not1_saveexec_b32 s73, s73
; %bb.4110:
	v_mov_b32_e32 v1, 0x7f
	v_cmp_lt_u32_e32 vcc_lo, 0x7f800000, v5
	s_delay_alu instid0(VALU_DEP_2)
	v_cndmask_b32_e32 v1, 0x7e, v1, vcc_lo
; %bb.4111:
	s_or_b32 exec_lo, exec_lo, s73
	v_lshrrev_b32_e32 v5, 24, v0
	s_delay_alu instid0(VALU_DEP_1)
	v_and_or_b32 v1, 0x80, v5, v1
	flat_store_b8 v[2:3], v1
.LBB47_4112:
	s_or_b32 exec_lo, exec_lo, s72
.LBB47_4113:
	s_and_not1_saveexec_b32 s71, s71
	s_cbranch_execz .LBB47_4123
; %bb.4114:
	v_and_b32_e32 v5, 0x7fffffff, v0
	s_mov_b32 s72, exec_lo
                                        ; implicit-def: $vgpr1
	s_delay_alu instid0(VALU_DEP_1)
	v_cmpx_gt_u32_e32 0x47800000, v5
	s_xor_b32 s72, exec_lo, s72
	s_cbranch_execz .LBB47_4120
; %bb.4115:
	v_cmp_lt_u32_e32 vcc_lo, 0x387fffff, v5
                                        ; implicit-def: $vgpr1
	s_and_saveexec_b32 s73, vcc_lo
	s_delay_alu instid0(SALU_CYCLE_1)
	s_xor_b32 vcc_lo, exec_lo, s73
; %bb.4116:
	v_bfe_u32 v1, v0, 21, 1
	s_delay_alu instid0(VALU_DEP_1) | instskip(NEXT) | instid1(VALU_DEP_1)
	v_add3_u32 v1, v0, v1, 0x80fffff
	v_lshrrev_b32_e32 v1, 21, v1
; %bb.4117:
	s_and_not1_saveexec_b32 vcc_lo, vcc_lo
; %bb.4118:
	v_add_f32_e64 v1, 0x43000000, |v0|
; %bb.4119:
	s_or_b32 exec_lo, exec_lo, vcc_lo
                                        ; implicit-def: $vgpr5
.LBB47_4120:
	s_and_not1_saveexec_b32 s72, s72
; %bb.4121:
	v_mov_b32_e32 v1, 0x7f
	v_cmp_lt_u32_e32 vcc_lo, 0x7f800000, v5
	s_delay_alu instid0(VALU_DEP_2)
	v_cndmask_b32_e32 v1, 0x7c, v1, vcc_lo
; %bb.4122:
	s_or_b32 exec_lo, exec_lo, s72
	v_lshrrev_b32_e32 v5, 24, v0
	s_delay_alu instid0(VALU_DEP_1)
	v_and_or_b32 v1, 0x80, v5, v1
	flat_store_b8 v[2:3], v1
.LBB47_4123:
	s_or_b32 exec_lo, exec_lo, s71
	s_delay_alu instid0(SALU_CYCLE_1)
	s_or_b32 s71, s68, exec_lo
.LBB47_4124:
	s_or_saveexec_b32 s69, s69
	s_mov_b32 vcc_lo, 0
	s_mov_b32 s72, s0
	s_xor_b32 exec_lo, exec_lo, s69
	s_cbranch_execz .LBB47_4132
; %bb.4125:
	s_mov_b32 s73, s0
	s_mov_b32 s74, s71
	s_mov_b32 s72, exec_lo
	v_cmpx_lt_i16_e32 14, v4
	s_xor_b32 s72, exec_lo, s72
	s_cbranch_execz .LBB47_4129
; %bb.4126:
	s_mov_b32 s73, -1
	s_mov_b32 s75, s71
	s_mov_b32 s74, exec_lo
	v_cmpx_eq_u16_e32 15, v4
	s_cbranch_execz .LBB47_4128
; %bb.4127:
	v_bfe_u32 v1, v0, 16, 1
	v_cmp_o_f32_e32 vcc_lo, v0, v0
	s_or_b32 s75, s71, exec_lo
	s_xor_b32 s73, exec_lo, -1
	s_delay_alu instid0(VALU_DEP_2) | instskip(NEXT) | instid1(VALU_DEP_1)
	v_add3_u32 v1, v0, v1, 0x7fff
	v_lshrrev_b32_e32 v1, 16, v1
	s_delay_alu instid0(VALU_DEP_1)
	v_cndmask_b32_e32 v1, 0x7fc0, v1, vcc_lo
	flat_store_b16 v[2:3], v1
.LBB47_4128:
	s_or_b32 exec_lo, exec_lo, s74
	s_delay_alu instid0(SALU_CYCLE_1)
	s_and_not1_b32 vcc_lo, s71, exec_lo
	s_and_b32 s74, s75, exec_lo
	s_and_not1_b32 s75, s0, exec_lo
	s_and_b32 s73, s73, exec_lo
	s_or_b32 s74, vcc_lo, s74
	s_or_b32 s73, s75, s73
.LBB47_4129:
	s_or_saveexec_b32 s75, s72
	s_mov_b32 s72, 0
	s_xor_b32 exec_lo, exec_lo, s75
; %bb.4130:
	v_cmp_ne_u16_e32 vcc_lo, 11, v4
	s_and_not1_b32 s73, s73, exec_lo
	s_mov_b32 s72, exec_lo
	s_and_b32 vcc_lo, vcc_lo, exec_lo
	s_delay_alu instid0(SALU_CYCLE_1)
	s_or_b32 s73, s73, vcc_lo
; %bb.4131:
	s_or_b32 exec_lo, exec_lo, s75
	s_delay_alu instid0(SALU_CYCLE_1)
	s_and_not1_b32 vcc_lo, s71, exec_lo
	s_and_b32 s71, s74, exec_lo
	s_and_not1_b32 s74, s0, exec_lo
	s_and_b32 s73, s73, exec_lo
	s_or_b32 s71, vcc_lo, s71
	s_and_b32 vcc_lo, s72, exec_lo
	s_or_b32 s72, s74, s73
.LBB47_4132:
	s_or_b32 exec_lo, exec_lo, s69
	s_delay_alu instid0(SALU_CYCLE_1)
	s_and_not1_b32 s68, s68, exec_lo
	s_and_b32 s69, s71, exec_lo
	s_and_not1_b32 s0, s0, exec_lo
	s_and_b32 s71, s72, exec_lo
	s_or_b32 s68, s68, s69
	s_and_b32 s69, vcc_lo, exec_lo
	s_or_b32 s0, s0, s71
.LBB47_4133:
	s_or_b32 exec_lo, exec_lo, s70
	s_delay_alu instid0(SALU_CYCLE_1)
	s_and_not1_b32 vcc_lo, s66, exec_lo
	s_and_b32 s71, s0, exec_lo
	s_and_b32 s68, s68, exec_lo
	s_xor_b32 s70, exec_lo, -1
	s_and_b32 s0, s69, exec_lo
	s_or_b32 s69, vcc_lo, s71
.LBB47_4134:
	s_or_b32 exec_lo, exec_lo, s11
	s_delay_alu instid0(SALU_CYCLE_1)
	s_and_not1_b32 s11, s66, exec_lo
	s_and_b32 vcc_lo, s69, exec_lo
	s_or_not1_b32 s68, s68, exec_lo
	s_and_b32 s70, s70, exec_lo
	s_and_b32 s0, s0, exec_lo
	s_or_b32 s69, s11, vcc_lo
.LBB47_4135:
	s_or_b32 exec_lo, exec_lo, s67
	s_delay_alu instid0(SALU_CYCLE_1)
	s_and_not1_b32 s11, s66, exec_lo
	s_and_b32 s66, s69, exec_lo
	s_and_b32 s67, s68, exec_lo
	s_and_b32 vcc_lo, s70, exec_lo
	s_and_b32 s0, s0, exec_lo
	s_or_b32 s66, s11, s66
.LBB47_4136:
	s_or_b32 exec_lo, exec_lo, s65
	s_delay_alu instid0(SALU_CYCLE_1)
	s_and_not1_b32 s11, s63, exec_lo
	s_and_b32 s63, s66, exec_lo
	s_and_b32 s65, s67, exec_lo
	s_and_b32 vcc_lo, vcc_lo, exec_lo
	s_and_b32 s0, s0, exec_lo
	s_or_b32 s63, s11, s63
.LBB47_4137:
	s_or_b32 exec_lo, exec_lo, s64
	s_delay_alu instid0(SALU_CYCLE_1)
	s_and_not1_b32 s11, s61, exec_lo
	s_and_b32 s61, s63, exec_lo
	s_and_b32 s64, s65, exec_lo
	s_and_b32 vcc_lo, vcc_lo, exec_lo
	s_and_b32 s0, s0, exec_lo
	s_or_b32 s61, s11, s61
.LBB47_4138:
	s_or_b32 exec_lo, exec_lo, s62
	s_delay_alu instid0(SALU_CYCLE_1)
	s_and_not1_b32 s11, s59, exec_lo
	s_and_b32 s59, s61, exec_lo
	s_and_b32 s62, s64, exec_lo
	s_and_b32 vcc_lo, vcc_lo, exec_lo
	s_and_b32 s0, s0, exec_lo
	s_or_b32 s59, s11, s59
.LBB47_4139:
	s_or_b32 exec_lo, exec_lo, s60
	s_delay_alu instid0(SALU_CYCLE_1)
	s_and_not1_b32 s11, s57, exec_lo
	s_and_b32 s57, s59, exec_lo
	s_and_b32 s60, s62, exec_lo
	s_and_b32 vcc_lo, vcc_lo, exec_lo
	s_and_b32 s0, s0, exec_lo
	s_or_b32 s57, s11, s57
.LBB47_4140:
	s_or_b32 exec_lo, exec_lo, s58
	s_delay_alu instid0(SALU_CYCLE_1)
	s_and_not1_b32 s11, s55, exec_lo
	s_and_b32 s55, s57, exec_lo
	s_and_b32 s58, s60, exec_lo
	s_and_b32 vcc_lo, vcc_lo, exec_lo
	s_and_b32 s0, s0, exec_lo
	s_or_b32 s55, s11, s55
.LBB47_4141:
	s_or_b32 exec_lo, exec_lo, s56
	s_delay_alu instid0(SALU_CYCLE_1)
	s_and_not1_b32 s11, s53, exec_lo
	s_and_b32 s53, s55, exec_lo
	s_and_b32 s56, s58, exec_lo
	s_and_b32 vcc_lo, vcc_lo, exec_lo
	s_and_b32 s0, s0, exec_lo
	s_or_b32 s53, s11, s53
.LBB47_4142:
	s_or_b32 exec_lo, exec_lo, s54
	s_delay_alu instid0(SALU_CYCLE_1)
	s_and_not1_b32 s11, s51, exec_lo
	s_and_b32 s51, s53, exec_lo
	s_and_b32 s54, s56, exec_lo
	s_and_b32 vcc_lo, vcc_lo, exec_lo
	s_and_b32 s0, s0, exec_lo
	s_or_b32 s51, s11, s51
.LBB47_4143:
	s_or_b32 exec_lo, exec_lo, s52
	s_delay_alu instid0(SALU_CYCLE_1)
	s_and_not1_b32 s11, s49, exec_lo
	s_and_b32 s49, s51, exec_lo
	s_and_b32 s52, s54, exec_lo
	s_and_b32 vcc_lo, vcc_lo, exec_lo
	s_and_b32 s0, s0, exec_lo
	s_or_b32 s49, s11, s49
.LBB47_4144:
	s_or_b32 exec_lo, exec_lo, s50
	s_delay_alu instid0(SALU_CYCLE_1)
	s_and_not1_b32 s11, s47, exec_lo
	s_and_b32 s47, s49, exec_lo
	s_and_b32 s50, s52, exec_lo
	s_and_b32 vcc_lo, vcc_lo, exec_lo
	s_and_b32 s0, s0, exec_lo
	s_or_b32 s47, s11, s47
.LBB47_4145:
	s_or_b32 exec_lo, exec_lo, s48
	s_delay_alu instid0(SALU_CYCLE_1)
	s_and_not1_b32 s11, s45, exec_lo
	s_and_b32 s45, s47, exec_lo
	s_and_b32 s48, s50, exec_lo
	s_and_b32 vcc_lo, vcc_lo, exec_lo
	s_and_b32 s0, s0, exec_lo
	s_or_b32 s45, s11, s45
.LBB47_4146:
	s_or_b32 exec_lo, exec_lo, s46
	s_delay_alu instid0(SALU_CYCLE_1)
	s_and_not1_b32 s11, s43, exec_lo
	s_and_b32 s43, s45, exec_lo
	s_and_b32 s46, s48, exec_lo
	s_and_b32 vcc_lo, vcc_lo, exec_lo
	s_and_b32 s0, s0, exec_lo
	s_or_b32 s43, s11, s43
.LBB47_4147:
	s_or_b32 exec_lo, exec_lo, s44
	s_delay_alu instid0(SALU_CYCLE_1)
	s_and_not1_b32 s11, s41, exec_lo
	s_and_b32 s41, s43, exec_lo
	s_and_b32 s44, s46, exec_lo
	s_and_b32 vcc_lo, vcc_lo, exec_lo
	s_and_b32 s0, s0, exec_lo
	s_or_b32 s41, s11, s41
.LBB47_4148:
	s_or_b32 exec_lo, exec_lo, s42
	s_delay_alu instid0(SALU_CYCLE_1)
	s_and_not1_b32 s11, s39, exec_lo
	s_and_b32 s39, s41, exec_lo
	s_and_b32 s42, s44, exec_lo
	s_and_b32 vcc_lo, vcc_lo, exec_lo
	s_and_b32 s0, s0, exec_lo
	s_or_b32 s39, s11, s39
.LBB47_4149:
	s_or_b32 exec_lo, exec_lo, s40
	s_delay_alu instid0(SALU_CYCLE_1)
	s_and_not1_b32 s11, s37, exec_lo
	s_and_b32 s37, s39, exec_lo
	s_and_b32 s40, s42, exec_lo
	s_and_b32 vcc_lo, vcc_lo, exec_lo
	s_and_b32 s0, s0, exec_lo
	s_or_b32 s37, s11, s37
.LBB47_4150:
	s_or_b32 exec_lo, exec_lo, s38
	s_delay_alu instid0(SALU_CYCLE_1)
	s_and_not1_b32 s11, s35, exec_lo
	s_and_b32 s35, s37, exec_lo
	s_and_b32 s38, s40, exec_lo
	s_and_b32 vcc_lo, vcc_lo, exec_lo
	s_and_b32 s0, s0, exec_lo
	s_or_b32 s35, s11, s35
.LBB47_4151:
	s_or_b32 exec_lo, exec_lo, s36
	s_delay_alu instid0(SALU_CYCLE_1)
	s_and_not1_b32 s11, s31, exec_lo
	s_and_b32 s31, s35, exec_lo
	s_and_b32 s36, s38, exec_lo
	s_and_b32 vcc_lo, vcc_lo, exec_lo
	s_and_b32 s0, s0, exec_lo
	s_or_b32 s31, s11, s31
.LBB47_4152:
	s_or_b32 exec_lo, exec_lo, s34
	s_delay_alu instid0(SALU_CYCLE_1)
	s_and_not1_b32 s11, vcc_hi, exec_lo
	s_and_b32 vcc_hi, s31, exec_lo
	s_and_b32 s34, s36, exec_lo
	s_and_b32 vcc_lo, vcc_lo, exec_lo
	s_and_b32 s0, s0, exec_lo
	s_or_b32 vcc_hi, s11, vcc_hi
.LBB47_4153:
	s_or_b32 exec_lo, exec_lo, s30
	s_delay_alu instid0(SALU_CYCLE_1)
	s_and_not1_b32 s11, s28, exec_lo
	s_and_b32 s28, vcc_hi, exec_lo
	s_and_b32 s30, s34, exec_lo
	s_and_b32 vcc_lo, vcc_lo, exec_lo
	s_and_b32 s0, s0, exec_lo
	s_or_b32 s28, s11, s28
.LBB47_4154:
	s_or_b32 exec_lo, exec_lo, s29
	s_delay_alu instid0(SALU_CYCLE_1)
	s_and_not1_b32 s11, s26, exec_lo
	s_and_b32 s26, s28, exec_lo
	s_and_b32 vcc_hi, s30, exec_lo
	s_and_b32 s29, vcc_lo, exec_lo
	s_and_b32 s0, s0, exec_lo
	s_or_b32 s26, s11, s26
.LBB47_4155:
	s_or_b32 exec_lo, exec_lo, s27
	s_delay_alu instid0(SALU_CYCLE_1)
	s_and_not1_b32 s11, s24, exec_lo
	s_and_b32 s24, s26, exec_lo
	s_and_b32 s28, vcc_hi, exec_lo
	s_and_b32 s27, s29, exec_lo
	s_and_b32 s0, s0, exec_lo
	s_or_b32 s24, s11, s24
.LBB47_4156:
	s_or_b32 exec_lo, exec_lo, s25
	s_delay_alu instid0(SALU_CYCLE_1)
	s_and_not1_b32 s11, s22, exec_lo
	s_and_b32 s22, s24, exec_lo
	s_and_b32 s26, s28, exec_lo
	;; [unrolled: 1-line block ×4, first 2 shown]
	s_or_b32 s22, s11, s22
.LBB47_4157:
	s_or_b32 exec_lo, exec_lo, s23
	s_delay_alu instid0(SALU_CYCLE_1)
	s_and_not1_b32 s11, s20, exec_lo
	s_and_b32 s20, s22, exec_lo
	s_and_b32 s24, s26, exec_lo
	;; [unrolled: 1-line block ×4, first 2 shown]
	s_or_b32 s20, s11, s20
.LBB47_4158:
	s_or_b32 exec_lo, exec_lo, s21
	s_delay_alu instid0(SALU_CYCLE_1)
	s_and_not1_b32 s11, s18, exec_lo
	s_and_b32 s18, s20, exec_lo
	s_and_b32 s22, s24, exec_lo
	s_and_b32 s21, s23, exec_lo
	s_and_b32 s0, s0, exec_lo
	s_or_b32 s18, s11, s18
.LBB47_4159:
	s_or_b32 exec_lo, exec_lo, s19
	s_delay_alu instid0(SALU_CYCLE_1)
	s_and_not1_b32 s11, s16, exec_lo
	s_and_b32 s16, s18, exec_lo
	s_and_b32 s20, s22, exec_lo
	;; [unrolled: 1-line block ×4, first 2 shown]
	s_or_b32 s16, s11, s16
.LBB47_4160:
	s_or_b32 exec_lo, exec_lo, s17
	s_delay_alu instid0(SALU_CYCLE_1)
	s_and_not1_b32 s11, s14, exec_lo
	s_and_b32 s14, s16, exec_lo
	s_and_b32 s18, s20, exec_lo
	;; [unrolled: 1-line block ×4, first 2 shown]
	s_or_b32 s14, s11, s14
.LBB47_4161:
	s_or_b32 exec_lo, exec_lo, s15
	s_delay_alu instid0(SALU_CYCLE_1)
	s_and_not1_b32 s9, s9, exec_lo
	s_and_b32 s11, s14, exec_lo
	s_and_b32 s16, s18, exec_lo
	;; [unrolled: 1-line block ×4, first 2 shown]
	s_or_b32 s9, s9, s11
.LBB47_4162:
	s_or_b32 exec_lo, exec_lo, s10
	s_delay_alu instid0(SALU_CYCLE_1)
	s_and_not1_b32 s7, s7, exec_lo
	s_and_b32 s9, s9, exec_lo
	s_and_b32 s14, s16, exec_lo
	;; [unrolled: 1-line block ×4, first 2 shown]
	s_or_b32 s7, s7, s9
.LBB47_4163:
	s_or_b32 exec_lo, exec_lo, s8
	s_delay_alu instid0(SALU_CYCLE_1)
	s_and_not1_b32 s5, s5, exec_lo
	s_and_b32 s7, s7, exec_lo
	s_and_b32 s9, s14, exec_lo
	;; [unrolled: 1-line block ×4, first 2 shown]
	s_or_b32 s5, s5, s7
.LBB47_4164:
	s_or_b32 exec_lo, exec_lo, s6
	s_delay_alu instid0(SALU_CYCLE_1)
	s_and_b32 s6, s8, exec_lo
	s_and_not1_b32 s3, s3, exec_lo
	s_and_b32 s8, s5, exec_lo
	s_and_b32 s7, s9, exec_lo
	;; [unrolled: 1-line block ×3, first 2 shown]
	s_or_b32 s3, s3, s8
.LBB47_4165:
	s_or_b32 exec_lo, exec_lo, s4
	s_delay_alu instid0(SALU_CYCLE_1)
	s_and_b32 s4, s6, exec_lo
	s_and_not1_b32 s1, s1, exec_lo
	s_and_b32 s6, s3, exec_lo
	s_and_b32 s0, s7, exec_lo
	;; [unrolled: 1-line block ×3, first 2 shown]
	s_or_b32 s1, s1, s6
.LBB47_4166:
	s_or_b32 exec_lo, exec_lo, s2
	s_mov_b32 s2, 0
	s_and_saveexec_b32 s5, s1
	s_cbranch_execnz .LBB47_4468
; %bb.4167:
	s_or_b32 exec_lo, exec_lo, s5
	s_and_saveexec_b32 s1, s3
	s_delay_alu instid0(SALU_CYCLE_1)
	s_xor_b32 s1, exec_lo, s1
	s_cbranch_execz .LBB47_4169
.LBB47_4168:
	v_cmp_neq_f32_e32 vcc_lo, 0, v0
	s_or_b32 s0, s0, exec_lo
	v_cndmask_b32_e64 v1, 0, 1, vcc_lo
	flat_store_b8 v[2:3], v1
.LBB47_4169:
	s_or_b32 exec_lo, exec_lo, s1
	s_and_saveexec_b32 s1, s4
	s_cbranch_execz .LBB47_4211
; %bb.4170:
	s_mov_b32 s3, exec_lo
	v_cmpx_lt_i16_e32 4, v4
	s_xor_b32 s3, exec_lo, s3
	s_cbranch_execz .LBB47_4192
; %bb.4171:
	s_mov_b32 s4, exec_lo
	v_cmpx_lt_i16_e32 7, v4
	s_xor_b32 s4, exec_lo, s4
	;; [unrolled: 5-line block ×4, first 2 shown]
	s_cbranch_execz .LBB47_4175
; %bb.4174:
	v_cvt_f64_f32_e32 v[5:6], v0
	v_mov_b32_e32 v7, 0
                                        ; implicit-def: $vgpr0
	s_delay_alu instid0(VALU_DEP_1)
	v_mov_b32_e32 v8, v7
	flat_store_b128 v[2:3], v[5:8]
.LBB47_4175:
	s_and_not1_saveexec_b32 s6, s6
	s_cbranch_execz .LBB47_4177
; %bb.4176:
	v_mov_b32_e32 v1, 0
	flat_store_b64 v[2:3], v[0:1]
.LBB47_4177:
	s_or_b32 exec_lo, exec_lo, s6
                                        ; implicit-def: $vgpr0
.LBB47_4178:
	s_and_not1_saveexec_b32 s5, s5
	s_cbranch_execz .LBB47_4180
; %bb.4179:
	v_cvt_f16_f32_e32 v0, v0
	s_delay_alu instid0(VALU_DEP_1)
	v_and_b32_e32 v0, 0xffff, v0
	flat_store_b32 v[2:3], v0
.LBB47_4180:
	s_or_b32 exec_lo, exec_lo, s5
                                        ; implicit-def: $vgpr0
.LBB47_4181:
	s_and_not1_saveexec_b32 s4, s4
	s_cbranch_execz .LBB47_4191
; %bb.4182:
	s_mov_b32 s5, exec_lo
	v_cmpx_lt_i16_e32 5, v4
	s_xor_b32 s5, exec_lo, s5
	s_cbranch_execz .LBB47_4188
; %bb.4183:
	s_mov_b32 s6, exec_lo
	v_cmpx_lt_i16_e32 6, v4
	s_xor_b32 s6, exec_lo, s6
	s_cbranch_execz .LBB47_4185
; %bb.4184:
	v_cvt_f64_f32_e32 v[0:1], v0
	flat_store_b64 v[2:3], v[0:1]
                                        ; implicit-def: $vgpr0
.LBB47_4185:
	s_and_not1_saveexec_b32 s6, s6
	s_cbranch_execz .LBB47_4187
; %bb.4186:
	flat_store_b32 v[2:3], v0
.LBB47_4187:
	s_or_b32 exec_lo, exec_lo, s6
                                        ; implicit-def: $vgpr0
.LBB47_4188:
	s_and_not1_saveexec_b32 s5, s5
	s_cbranch_execz .LBB47_4190
; %bb.4189:
	v_cvt_f16_f32_e32 v0, v0
	flat_store_b16 v[2:3], v0
.LBB47_4190:
	s_or_b32 exec_lo, exec_lo, s5
.LBB47_4191:
	s_delay_alu instid0(SALU_CYCLE_1)
	s_or_b32 exec_lo, exec_lo, s4
                                        ; implicit-def: $vgpr0
.LBB47_4192:
	s_and_not1_saveexec_b32 s3, s3
	s_cbranch_execz .LBB47_4210
; %bb.4193:
	s_mov_b32 s4, exec_lo
	v_cmpx_lt_i16_e32 1, v4
	s_xor_b32 s4, exec_lo, s4
	s_cbranch_execz .LBB47_4203
; %bb.4194:
	s_mov_b32 s5, exec_lo
	v_cmpx_lt_i16_e32 2, v4
	s_xor_b32 s5, exec_lo, s5
	;; [unrolled: 5-line block ×3, first 2 shown]
	s_cbranch_execz .LBB47_4197
; %bb.4196:
	v_trunc_f32_e32 v0, v0
	s_delay_alu instid0(VALU_DEP_1) | instskip(SKIP_1) | instid1(VALU_DEP_2)
	v_mul_f32_e64 v1, 0x2f800000, |v0|
	v_ashrrev_i32_e32 v6, 31, v0
	v_floor_f32_e32 v1, v1
	s_delay_alu instid0(VALU_DEP_1) | instskip(SKIP_1) | instid1(VALU_DEP_2)
	v_fma_f32 v5, 0xcf800000, v1, |v0|
	v_cvt_u32_f32_e32 v1, v1
	v_cvt_u32_f32_e32 v0, v5
	s_delay_alu instid0(VALU_DEP_2) | instskip(NEXT) | instid1(VALU_DEP_2)
	v_xor_b32_e32 v1, v1, v6
	v_xor_b32_e32 v0, v0, v6
	s_delay_alu instid0(VALU_DEP_1) | instskip(NEXT) | instid1(VALU_DEP_3)
	v_sub_co_u32 v0, vcc_lo, v0, v6
	v_sub_co_ci_u32_e32 v1, vcc_lo, v1, v6, vcc_lo
	flat_store_b64 v[2:3], v[0:1]
                                        ; implicit-def: $vgpr0
                                        ; implicit-def: $vgpr2_vgpr3
.LBB47_4197:
	s_and_not1_saveexec_b32 s6, s6
	s_cbranch_execz .LBB47_4199
; %bb.4198:
	v_cvt_i32_f32_e32 v0, v0
	flat_store_b32 v[2:3], v0
.LBB47_4199:
	s_or_b32 exec_lo, exec_lo, s6
                                        ; implicit-def: $vgpr0
                                        ; implicit-def: $vgpr2_vgpr3
.LBB47_4200:
	s_and_not1_saveexec_b32 s5, s5
	s_cbranch_execz .LBB47_4202
; %bb.4201:
	v_cvt_i32_f32_e32 v0, v0
	flat_store_b16 v[2:3], v0
.LBB47_4202:
	s_or_b32 exec_lo, exec_lo, s5
                                        ; implicit-def: $vgpr0
                                        ; implicit-def: $vgpr2_vgpr3
.LBB47_4203:
	s_and_not1_saveexec_b32 s4, s4
	s_cbranch_execz .LBB47_4209
; %bb.4204:
	s_mov_b32 s5, exec_lo
	v_cmpx_lt_i16_e32 0, v4
	s_xor_b32 s5, exec_lo, s5
	s_cbranch_execz .LBB47_4206
; %bb.4205:
	v_cvt_i32_f32_e32 v0, v0
	flat_store_b8 v[2:3], v0
                                        ; implicit-def: $vgpr0
                                        ; implicit-def: $vgpr2_vgpr3
.LBB47_4206:
	s_and_not1_saveexec_b32 s5, s5
	s_cbranch_execz .LBB47_4208
; %bb.4207:
	v_trunc_f32_e32 v0, v0
	s_delay_alu instid0(VALU_DEP_1) | instskip(NEXT) | instid1(VALU_DEP_1)
	v_mul_f32_e64 v1, 0x2f800000, |v0|
	v_floor_f32_e32 v1, v1
	s_delay_alu instid0(VALU_DEP_1) | instskip(SKIP_1) | instid1(VALU_DEP_2)
	v_fma_f32 v1, 0xcf800000, v1, |v0|
	v_ashrrev_i32_e32 v0, 31, v0
	v_cvt_u32_f32_e32 v1, v1
	s_delay_alu instid0(VALU_DEP_1) | instskip(NEXT) | instid1(VALU_DEP_1)
	v_xor_b32_e32 v1, v1, v0
	v_sub_nc_u32_e32 v0, v1, v0
	flat_store_b8 v[2:3], v0
.LBB47_4208:
	s_or_b32 exec_lo, exec_lo, s5
.LBB47_4209:
	s_delay_alu instid0(SALU_CYCLE_1)
	s_or_b32 exec_lo, exec_lo, s4
.LBB47_4210:
	s_delay_alu instid0(SALU_CYCLE_1) | instskip(NEXT) | instid1(SALU_CYCLE_1)
	s_or_b32 exec_lo, exec_lo, s3
	s_or_b32 s0, s0, exec_lo
.LBB47_4211:
	s_or_b32 exec_lo, exec_lo, s1
	s_and_saveexec_b32 s1, s0
	s_delay_alu instid0(SALU_CYCLE_1) | instskip(NEXT) | instid1(SALU_CYCLE_1)
	s_xor_b32 s0, exec_lo, s1
	s_or_b32 exec_lo, exec_lo, s0
	s_delay_alu instid0(SALU_CYCLE_1)
	s_and_b32 s0, s2, exec_lo
.LBB47_4212:
	s_and_not1_saveexec_b32 s1, s13
	s_cbranch_execnz .LBB47_4342
.LBB47_4213:
	s_or_b32 exec_lo, exec_lo, s1
	s_delay_alu instid0(SALU_CYCLE_1)
	s_and_b32 s0, s0, exec_lo
.LBB47_4214:
	s_and_not1_saveexec_b32 s1, s12
	s_cbranch_execnz .LBB47_4218
; %bb.4215:
	s_or_b32 exec_lo, exec_lo, s1
	s_and_saveexec_b32 s1, s0
.LBB47_4216:
	; divergent unreachable
.LBB47_4217:
	s_delay_alu instid0(SALU_CYCLE_1)
	s_or_b32 exec_lo, exec_lo, s1
	v_readlane_b32 s30, v41, 11
	v_readlane_b32 s31, v41, 12
	;; [unrolled: 1-line block ×46, first 2 shown]
	s_or_saveexec_b32 s1, -1
	s_clause 0x1
	scratch_load_b32 v40, off, s33 offset:256
	scratch_load_b32 v41, off, s33 offset:260
	s_mov_b32 exec_lo, s1
	s_addk_i32 s32, 0xfef0
	s_mov_b32 s33, s0
	s_waitcnt vmcnt(0) lgkmcnt(0)
	s_setpc_b64 s[30:31]
.LBB47_4218:
	s_cbranch_execnz .LBB47_4344
; %bb.4219:
	s_or_b32 s0, s0, exec_lo
	s_or_b32 exec_lo, exec_lo, s1
	s_and_saveexec_b32 s1, s0
	s_cbranch_execnz .LBB47_4216
	s_branch .LBB47_4217
.LBB47_4220:
	s_mov_b32 s5, s1
	s_mov_b32 s6, exec_lo
	v_cmpx_lt_i16_e32 25, v3
	s_xor_b32 s6, exec_lo, s6
	s_cbranch_execz .LBB47_4256
; %bb.4221:
	s_mov_b32 s7, s1
	s_mov_b32 s5, exec_lo
	v_cmpx_lt_i16_e32 28, v3
	s_xor_b32 s5, exec_lo, s5
	s_cbranch_execz .LBB47_4239
; %bb.4222:
	;; [unrolled: 6-line block ×3, first 2 shown]
	s_mov_b32 s8, 0
	s_mov_b32 s9, s1
	s_mov_b32 s0, exec_lo
	v_cmpx_lt_i16_e32 45, v3
	s_xor_b32 s0, exec_lo, s0
	s_cbranch_execz .LBB47_4227
; %bb.4224:
	s_mov_b32 s10, -1
	s_mov_b32 s9, exec_lo
	v_cmpx_eq_u16_e32 46, v3
	s_cbranch_execz .LBB47_4226
; %bb.4225:
	v_bfe_u32 v3, v35, 16, 1
	v_cmp_o_f32_e32 vcc_lo, v35, v35
	s_mov_b32 s8, exec_lo
	s_xor_b32 s10, exec_lo, -1
	s_delay_alu instid0(VALU_DEP_2) | instskip(NEXT) | instid1(VALU_DEP_1)
	v_add3_u32 v3, v35, v3, 0x7fff
	v_lshrrev_b32_e32 v3, 16, v3
	s_delay_alu instid0(VALU_DEP_1)
	v_cndmask_b32_e32 v3, 0x7fc0, v3, vcc_lo
	flat_store_b32 v[1:2], v3
.LBB47_4226:
	s_or_b32 exec_lo, exec_lo, s9
	s_delay_alu instid0(SALU_CYCLE_1)
	s_and_not1_b32 s9, s1, exec_lo
	s_and_b32 s10, s10, exec_lo
	s_and_b32 s8, s8, exec_lo
	s_or_b32 s9, s9, s10
                                        ; implicit-def: $vgpr3
                                        ; implicit-def: $vgpr1_vgpr2
                                        ; implicit-def: $vgpr35
.LBB47_4227:
	s_and_not1_saveexec_b32 s10, s0
	s_cbranch_execz .LBB47_4233
; %bb.4228:
	s_mov_b32 s15, -1
	s_mov_b32 s0, s8
	s_mov_b32 s14, exec_lo
	v_cmpx_eq_u16_e32 44, v3
	s_cbranch_execz .LBB47_4232
; %bb.4229:
	v_bfe_u32 v4, v35, 23, 8
	v_mov_b32_e32 v3, 0xff
	s_mov_b32 s15, exec_lo
	s_delay_alu instid0(VALU_DEP_2)
	v_cmpx_ne_u32_e32 0xff, v4
; %bb.4230:
	v_and_b32_e32 v3, 0x400000, v35
	v_and_or_b32 v4, 0x3fffff, v35, v4
	s_delay_alu instid0(VALU_DEP_2) | instskip(NEXT) | instid1(VALU_DEP_2)
	v_cmp_ne_u32_e32 vcc_lo, 0, v3
	v_cmp_ne_u32_e64 s0, 0, v4
	v_lshrrev_b32_e32 v3, 23, v35
	s_delay_alu instid0(VALU_DEP_2) | instskip(NEXT) | instid1(SALU_CYCLE_1)
	s_and_b32 s0, vcc_lo, s0
	v_cndmask_b32_e64 v4, 0, 1, s0
	s_delay_alu instid0(VALU_DEP_1)
	v_add_nc_u32_e32 v3, v3, v4
; %bb.4231:
	s_or_b32 exec_lo, exec_lo, s15
	s_delay_alu instid0(SALU_CYCLE_1)
	s_xor_b32 s15, exec_lo, -1
	s_or_b32 s0, s8, exec_lo
	flat_store_b8 v[1:2], v3
.LBB47_4232:
	s_or_b32 exec_lo, exec_lo, s14
	s_delay_alu instid0(SALU_CYCLE_1)
	s_and_not1_b32 s9, s9, exec_lo
	s_and_b32 s14, s15, exec_lo
	s_and_not1_b32 s8, s8, exec_lo
	s_and_b32 s0, s0, exec_lo
	s_or_b32 s9, s9, s14
	s_or_b32 s8, s8, s0
.LBB47_4233:
	s_or_b32 exec_lo, exec_lo, s10
	s_delay_alu instid0(SALU_CYCLE_1) | instskip(SKIP_1) | instid1(SALU_CYCLE_1)
	s_and_not1_b32 s0, s1, exec_lo
	s_and_b32 s9, s9, exec_lo
                                        ; implicit-def: $vgpr3
                                        ; implicit-def: $vgpr35
                                        ; implicit-def: $vgpr1_vgpr2
	s_or_b32 s9, s0, s9
	s_and_b32 s0, s8, exec_lo
.LBB47_4234:
	s_and_not1_saveexec_b32 s7, s7
	s_cbranch_execz .LBB47_4238
; %bb.4235:
	s_mov_b32 s14, -1
	s_mov_b32 s10, s0
	s_mov_b32 s8, exec_lo
	v_cmpx_eq_u16_e32 29, v3
	s_cbranch_execz .LBB47_4237
; %bb.4236:
	v_trunc_f32_e32 v3, v35
	s_xor_b32 s14, exec_lo, -1
	s_or_b32 s10, s0, exec_lo
	s_delay_alu instid0(VALU_DEP_1) | instskip(NEXT) | instid1(VALU_DEP_1)
	v_mul_f32_e32 v4, 0x2f800000, v3
	v_floor_f32_e32 v4, v4
	s_delay_alu instid0(VALU_DEP_1) | instskip(SKIP_1) | instid1(VALU_DEP_2)
	v_fmamk_f32 v3, v4, 0xcf800000, v3
	v_cvt_u32_f32_e32 v4, v4
	v_cvt_u32_f32_e32 v3, v3
	flat_store_b64 v[1:2], v[3:4]
.LBB47_4237:
	s_or_b32 exec_lo, exec_lo, s8
	s_delay_alu instid0(SALU_CYCLE_1)
	s_and_not1_b32 s8, s9, exec_lo
	s_and_b32 s9, s14, exec_lo
	s_and_not1_b32 s0, s0, exec_lo
	s_and_b32 s10, s10, exec_lo
	s_or_b32 s9, s8, s9
	s_or_b32 s0, s0, s10
.LBB47_4238:
	s_or_b32 exec_lo, exec_lo, s7
	s_delay_alu instid0(SALU_CYCLE_1)
	s_and_not1_b32 s7, s1, exec_lo
	s_and_b32 s8, s9, exec_lo
	s_and_b32 s0, s0, exec_lo
	s_or_b32 s7, s7, s8
                                        ; implicit-def: $vgpr1_vgpr2
                                        ; implicit-def: $vgpr3
                                        ; implicit-def: $vgpr35
.LBB47_4239:
	s_and_not1_saveexec_b32 s5, s5
	s_cbranch_execz .LBB47_4255
; %bb.4240:
	s_mov_b32 s8, exec_lo
	v_cmpx_lt_i16_e32 26, v3
	s_xor_b32 s8, exec_lo, s8
	s_cbranch_execz .LBB47_4246
; %bb.4241:
	v_cmp_lt_i16_e32 vcc_lo, 27, v3
	v_cvt_u32_f32_e32 v3, v35
	s_and_saveexec_b32 s9, vcc_lo
	s_delay_alu instid0(SALU_CYCLE_1)
	s_xor_b32 s9, exec_lo, s9
	s_cbranch_execz .LBB47_4243
; %bb.4242:
	flat_store_b32 v[1:2], v3
                                        ; implicit-def: $vgpr1_vgpr2
                                        ; implicit-def: $vgpr3
.LBB47_4243:
	s_and_not1_saveexec_b32 s9, s9
	s_cbranch_execz .LBB47_4245
; %bb.4244:
	flat_store_b16 v[1:2], v3
.LBB47_4245:
	s_or_b32 exec_lo, exec_lo, s9
                                        ; implicit-def: $vgpr1_vgpr2
                                        ; implicit-def: $vgpr35
.LBB47_4246:
	s_and_not1_saveexec_b32 s8, s8
	s_cbranch_execz .LBB47_4254
; %bb.4247:
	v_and_b32_e32 v3, 0x7fffffff, v35
	v_mov_b32_e32 v4, 0x80
	s_mov_b32 s9, exec_lo
	s_delay_alu instid0(VALU_DEP_2)
	v_cmpx_gt_u32_e32 0x43800000, v3
	s_cbranch_execz .LBB47_4253
; %bb.4248:
	v_cmp_lt_u32_e32 vcc_lo, 0x3bffffff, v3
	s_mov_b32 s10, 0
                                        ; implicit-def: $vgpr3
	s_and_saveexec_b32 s14, vcc_lo
	s_delay_alu instid0(SALU_CYCLE_1)
	s_xor_b32 s14, exec_lo, s14
	s_cbranch_execnz .LBB47_4966
; %bb.4249:
	s_or_saveexec_b32 s14, s14
                                        ; implicit-def: $sgpr15
	s_delay_alu instid0(SALU_CYCLE_1)
	s_xor_b32 exec_lo, exec_lo, s14
	s_cbranch_execnz .LBB47_4967
.LBB47_4250:
	s_or_b32 exec_lo, exec_lo, s14
	v_mov_b32_e32 v4, s15
	s_and_saveexec_b32 s14, s10
.LBB47_4251:
	v_lshrrev_b32_e32 v4, 24, v35
	s_delay_alu instid0(VALU_DEP_1)
	v_and_or_b32 v4, 0x80, v4, v3
.LBB47_4252:
	s_or_b32 exec_lo, exec_lo, s14
.LBB47_4253:
	s_delay_alu instid0(SALU_CYCLE_1)
	s_or_b32 exec_lo, exec_lo, s9
	flat_store_b8 v[1:2], v4
.LBB47_4254:
	s_or_b32 exec_lo, exec_lo, s8
	s_delay_alu instid0(SALU_CYCLE_1)
	s_or_b32 s0, s0, exec_lo
.LBB47_4255:
	s_or_b32 exec_lo, exec_lo, s5
	s_delay_alu instid0(SALU_CYCLE_1)
	s_and_not1_b32 s5, s1, exec_lo
	s_and_b32 s7, s7, exec_lo
	s_and_b32 s0, s0, exec_lo
	s_or_b32 s5, s5, s7
                                        ; implicit-def: $vgpr3
                                        ; implicit-def: $vgpr35
                                        ; implicit-def: $vgpr1_vgpr2
.LBB47_4256:
	s_and_not1_saveexec_b32 s6, s6
	s_cbranch_execz .LBB47_4300
; %bb.4257:
	s_mov_b32 s8, s0
	s_mov_b32 s7, exec_lo
	v_cmpx_lt_i16_e32 22, v3
	s_xor_b32 s7, exec_lo, s7
	s_cbranch_execz .LBB47_4289
; %bb.4258:
	s_mov_b32 s8, exec_lo
	v_cmpx_lt_i16_e32 23, v3
	s_xor_b32 s8, exec_lo, s8
	s_cbranch_execz .LBB47_4278
; %bb.4259:
	s_mov_b32 s9, exec_lo
	v_cmpx_lt_i16_e32 24, v3
	s_xor_b32 s9, exec_lo, s9
	s_cbranch_execz .LBB47_4267
; %bb.4260:
	v_and_b32_e32 v3, 0x7fffffff, v35
	v_mov_b32_e32 v4, 0x80
	s_mov_b32 s10, exec_lo
	s_delay_alu instid0(VALU_DEP_2)
	v_cmpx_gt_u32_e32 0x47800000, v3
	s_cbranch_execz .LBB47_4266
; %bb.4261:
	v_cmp_lt_u32_e32 vcc_lo, 0x37ffffff, v3
	s_mov_b32 s14, 0
                                        ; implicit-def: $vgpr3
	s_and_saveexec_b32 s15, vcc_lo
	s_delay_alu instid0(SALU_CYCLE_1)
	s_xor_b32 s15, exec_lo, s15
	s_cbranch_execnz .LBB47_5090
; %bb.4262:
	s_or_saveexec_b32 s15, s15
                                        ; implicit-def: $sgpr16
	s_delay_alu instid0(SALU_CYCLE_1)
	s_xor_b32 exec_lo, exec_lo, s15
	s_cbranch_execnz .LBB47_5091
.LBB47_4263:
	s_or_b32 exec_lo, exec_lo, s15
	v_mov_b32_e32 v4, s16
	s_and_saveexec_b32 s15, s14
.LBB47_4264:
	v_lshrrev_b32_e32 v4, 24, v35
	s_delay_alu instid0(VALU_DEP_1)
	v_and_or_b32 v4, 0x80, v4, v3
.LBB47_4265:
	s_or_b32 exec_lo, exec_lo, s15
.LBB47_4266:
	s_delay_alu instid0(SALU_CYCLE_1)
	s_or_b32 exec_lo, exec_lo, s10
	flat_store_b8 v[1:2], v4
                                        ; implicit-def: $vgpr35
                                        ; implicit-def: $vgpr1_vgpr2
.LBB47_4267:
	s_and_not1_saveexec_b32 s9, s9
	s_cbranch_execz .LBB47_4277
; %bb.4268:
	v_and_b32_e32 v4, 0x7fffffff, v35
	s_mov_b32 s10, exec_lo
                                        ; implicit-def: $vgpr3
	s_delay_alu instid0(VALU_DEP_1)
	v_cmpx_gt_u32_e32 0x43f00000, v4
	s_xor_b32 s10, exec_lo, s10
	s_cbranch_execz .LBB47_4274
; %bb.4269:
	s_mov_b32 s14, exec_lo
                                        ; implicit-def: $vgpr3
	v_cmpx_lt_u32_e32 0x3c7fffff, v4
	s_xor_b32 s14, exec_lo, s14
; %bb.4270:
	v_bfe_u32 v3, v35, 20, 1
	s_delay_alu instid0(VALU_DEP_1) | instskip(NEXT) | instid1(VALU_DEP_1)
	v_add3_u32 v3, v35, v3, 0x407ffff
	v_and_b32_e32 v4, 0xff00000, v3
	v_lshrrev_b32_e32 v3, 20, v3
	s_delay_alu instid0(VALU_DEP_2) | instskip(NEXT) | instid1(VALU_DEP_2)
	v_cmp_ne_u32_e32 vcc_lo, 0x7f00000, v4
	v_cndmask_b32_e32 v3, 0x7e, v3, vcc_lo
; %bb.4271:
	s_and_not1_saveexec_b32 s14, s14
; %bb.4272:
	v_add_f32_e64 v3, 0x46800000, |v35|
; %bb.4273:
	s_or_b32 exec_lo, exec_lo, s14
                                        ; implicit-def: $vgpr4
.LBB47_4274:
	s_and_not1_saveexec_b32 s10, s10
; %bb.4275:
	v_mov_b32_e32 v3, 0x7f
	v_cmp_lt_u32_e32 vcc_lo, 0x7f800000, v4
	s_delay_alu instid0(VALU_DEP_2)
	v_cndmask_b32_e32 v3, 0x7e, v3, vcc_lo
; %bb.4276:
	s_or_b32 exec_lo, exec_lo, s10
	v_lshrrev_b32_e32 v4, 24, v35
	s_delay_alu instid0(VALU_DEP_1)
	v_and_or_b32 v3, 0x80, v4, v3
	flat_store_b8 v[1:2], v3
.LBB47_4277:
	s_or_b32 exec_lo, exec_lo, s9
                                        ; implicit-def: $vgpr35
                                        ; implicit-def: $vgpr1_vgpr2
.LBB47_4278:
	s_and_not1_saveexec_b32 s8, s8
	s_cbranch_execz .LBB47_4288
; %bb.4279:
	v_and_b32_e32 v4, 0x7fffffff, v35
	s_mov_b32 s9, exec_lo
                                        ; implicit-def: $vgpr3
	s_delay_alu instid0(VALU_DEP_1)
	v_cmpx_gt_u32_e32 0x47800000, v4
	s_xor_b32 s9, exec_lo, s9
	s_cbranch_execz .LBB47_4285
; %bb.4280:
	s_mov_b32 s10, exec_lo
                                        ; implicit-def: $vgpr3
	v_cmpx_lt_u32_e32 0x387fffff, v4
	s_xor_b32 s10, exec_lo, s10
; %bb.4281:
	v_bfe_u32 v3, v35, 21, 1
	s_delay_alu instid0(VALU_DEP_1) | instskip(NEXT) | instid1(VALU_DEP_1)
	v_add3_u32 v3, v35, v3, 0x80fffff
	v_lshrrev_b32_e32 v3, 21, v3
; %bb.4282:
	s_and_not1_saveexec_b32 s10, s10
; %bb.4283:
	v_add_f32_e64 v3, 0x43000000, |v35|
; %bb.4284:
	s_or_b32 exec_lo, exec_lo, s10
                                        ; implicit-def: $vgpr4
.LBB47_4285:
	s_and_not1_saveexec_b32 s9, s9
; %bb.4286:
	v_mov_b32_e32 v3, 0x7f
	v_cmp_lt_u32_e32 vcc_lo, 0x7f800000, v4
	s_delay_alu instid0(VALU_DEP_2)
	v_cndmask_b32_e32 v3, 0x7c, v3, vcc_lo
; %bb.4287:
	s_or_b32 exec_lo, exec_lo, s9
	v_lshrrev_b32_e32 v4, 24, v35
	s_delay_alu instid0(VALU_DEP_1)
	v_and_or_b32 v3, 0x80, v4, v3
	flat_store_b8 v[1:2], v3
.LBB47_4288:
	s_or_b32 exec_lo, exec_lo, s8
	s_delay_alu instid0(SALU_CYCLE_1)
	s_or_b32 s8, s0, exec_lo
                                        ; implicit-def: $vgpr3
                                        ; implicit-def: $vgpr35
                                        ; implicit-def: $vgpr1_vgpr2
.LBB47_4289:
	s_or_saveexec_b32 s7, s7
	s_mov_b32 s9, s5
	s_xor_b32 exec_lo, exec_lo, s7
	s_cbranch_execz .LBB47_4299
; %bb.4290:
	s_mov_b32 s9, s8
	s_mov_b32 s10, s5
	s_mov_b32 s14, exec_lo
	v_cmpx_lt_i16_e32 14, v3
	s_xor_b32 s14, exec_lo, s14
	s_cbranch_execz .LBB47_4294
; %bb.4291:
	s_mov_b32 s15, -1
	s_mov_b32 s9, s8
	s_mov_b32 s10, exec_lo
	v_cmpx_eq_u16_e32 15, v3
	s_cbranch_execz .LBB47_4293
; %bb.4292:
	v_bfe_u32 v3, v35, 16, 1
	v_cmp_o_f32_e32 vcc_lo, v35, v35
	s_xor_b32 s15, exec_lo, -1
	s_or_b32 s9, s8, exec_lo
	s_delay_alu instid0(VALU_DEP_2) | instskip(NEXT) | instid1(VALU_DEP_1)
	v_add3_u32 v3, v35, v3, 0x7fff
	v_lshrrev_b32_e32 v3, 16, v3
	s_delay_alu instid0(VALU_DEP_1)
	v_cndmask_b32_e32 v3, 0x7fc0, v3, vcc_lo
	flat_store_b16 v[1:2], v3
.LBB47_4293:
	s_or_b32 exec_lo, exec_lo, s10
	s_delay_alu instid0(SALU_CYCLE_1)
	s_and_not1_b32 s10, s5, exec_lo
	s_and_b32 s15, s15, exec_lo
	s_and_not1_b32 s16, s8, exec_lo
	s_and_b32 s9, s9, exec_lo
	s_or_b32 s10, s10, s15
	s_or_b32 s9, s16, s9
                                        ; implicit-def: $vgpr3
                                        ; implicit-def: $vgpr35
                                        ; implicit-def: $vgpr1_vgpr2
.LBB47_4294:
	s_and_not1_saveexec_b32 s14, s14
	s_cbranch_execz .LBB47_4298
; %bb.4295:
	s_mov_b32 s16, -1
	s_mov_b32 s15, s9
	s_mov_b32 s17, exec_lo
	v_cmpx_eq_u16_e32 11, v3
	s_cbranch_execz .LBB47_4297
; %bb.4296:
	v_cmp_neq_f32_e32 vcc_lo, 0, v35
	s_xor_b32 s16, exec_lo, -1
	s_or_b32 s15, s9, exec_lo
	v_cndmask_b32_e64 v3, 0, 1, vcc_lo
	flat_store_b8 v[1:2], v3
.LBB47_4297:
	s_or_b32 exec_lo, exec_lo, s17
	s_delay_alu instid0(SALU_CYCLE_1)
	s_and_not1_b32 s10, s10, exec_lo
	s_and_b32 s16, s16, exec_lo
	s_and_not1_b32 s9, s9, exec_lo
	s_and_b32 s15, s15, exec_lo
	s_or_b32 s10, s10, s16
	s_or_b32 s9, s9, s15
.LBB47_4298:
	s_or_b32 exec_lo, exec_lo, s14
	s_delay_alu instid0(SALU_CYCLE_1)
	s_and_not1_b32 s14, s5, exec_lo
	s_and_b32 s10, s10, exec_lo
	s_and_not1_b32 s8, s8, exec_lo
	s_and_b32 s15, s9, exec_lo
	s_or_b32 s9, s14, s10
	s_or_b32 s8, s8, s15
.LBB47_4299:
	s_or_b32 exec_lo, exec_lo, s7
	s_delay_alu instid0(SALU_CYCLE_1)
	s_and_not1_b32 s5, s5, exec_lo
	s_and_b32 s7, s9, exec_lo
	s_and_not1_b32 s0, s0, exec_lo
	s_and_b32 s8, s8, exec_lo
	s_or_b32 s5, s5, s7
	s_or_b32 s0, s0, s8
.LBB47_4300:
	s_or_b32 exec_lo, exec_lo, s6
	s_delay_alu instid0(SALU_CYCLE_1)
	s_and_not1_b32 s6, s1, exec_lo
	s_and_b32 s5, s5, exec_lo
	s_and_b32 s0, s0, exec_lo
	s_or_b32 s5, s6, s5
                                        ; implicit-def: $vgpr3
                                        ; implicit-def: $vgpr35
                                        ; implicit-def: $vgpr1_vgpr2
	s_and_not1_saveexec_b32 s3, s3
	s_cbranch_execz .LBB47_3846
.LBB47_4301:
	s_mov_b32 s6, exec_lo
	v_cmpx_lt_i16_e32 4, v3
	s_xor_b32 s6, exec_lo, s6
	s_cbranch_execz .LBB47_4323
; %bb.4302:
	s_mov_b32 s7, exec_lo
	v_cmpx_lt_i16_e32 7, v3
	s_xor_b32 s7, exec_lo, s7
	s_cbranch_execz .LBB47_4312
; %bb.4303:
	;; [unrolled: 5-line block ×4, first 2 shown]
	v_cvt_f64_f32_e32 v[64:65], v35
	v_mov_b32_e32 v66, 0
                                        ; implicit-def: $vgpr35
	s_delay_alu instid0(VALU_DEP_1)
	v_mov_b32_e32 v67, v66
	flat_store_b128 v[1:2], v[64:67]
                                        ; implicit-def: $vgpr1_vgpr2
.LBB47_4306:
	s_and_not1_saveexec_b32 s9, s9
	s_cbranch_execz .LBB47_4308
; %bb.4307:
	v_mov_b32_e32 v36, 0
	flat_store_b64 v[1:2], v[35:36]
.LBB47_4308:
	s_or_b32 exec_lo, exec_lo, s9
                                        ; implicit-def: $vgpr35
                                        ; implicit-def: $vgpr1_vgpr2
.LBB47_4309:
	s_and_not1_saveexec_b32 s8, s8
	s_cbranch_execz .LBB47_4311
; %bb.4310:
	v_cvt_f16_f32_e32 v3, v35
	s_delay_alu instid0(VALU_DEP_1)
	v_and_b32_e32 v3, 0xffff, v3
	flat_store_b32 v[1:2], v3
.LBB47_4311:
	s_or_b32 exec_lo, exec_lo, s8
                                        ; implicit-def: $vgpr35
                                        ; implicit-def: $vgpr1_vgpr2
                                        ; implicit-def: $vgpr3
.LBB47_4312:
	s_and_not1_saveexec_b32 s7, s7
	s_cbranch_execz .LBB47_4322
; %bb.4313:
	s_mov_b32 s8, exec_lo
	v_cmpx_lt_i16_e32 5, v3
	s_xor_b32 s8, exec_lo, s8
	s_cbranch_execz .LBB47_4319
; %bb.4314:
	s_mov_b32 s9, exec_lo
	v_cmpx_lt_i16_e32 6, v3
	s_xor_b32 s9, exec_lo, s9
	s_cbranch_execz .LBB47_4316
; %bb.4315:
	v_cvt_f64_f32_e32 v[3:4], v35
                                        ; implicit-def: $vgpr35
	flat_store_b64 v[1:2], v[3:4]
                                        ; implicit-def: $vgpr1_vgpr2
.LBB47_4316:
	s_and_not1_saveexec_b32 s9, s9
	s_cbranch_execz .LBB47_4318
; %bb.4317:
	flat_store_b32 v[1:2], v35
.LBB47_4318:
	s_or_b32 exec_lo, exec_lo, s9
                                        ; implicit-def: $vgpr35
                                        ; implicit-def: $vgpr1_vgpr2
.LBB47_4319:
	s_and_not1_saveexec_b32 s8, s8
	s_cbranch_execz .LBB47_4321
; %bb.4320:
	v_cvt_f16_f32_e32 v3, v35
	flat_store_b16 v[1:2], v3
.LBB47_4321:
	s_or_b32 exec_lo, exec_lo, s8
.LBB47_4322:
	s_delay_alu instid0(SALU_CYCLE_1)
	s_or_b32 exec_lo, exec_lo, s7
                                        ; implicit-def: $vgpr3
                                        ; implicit-def: $vgpr35
                                        ; implicit-def: $vgpr1_vgpr2
.LBB47_4323:
	s_and_not1_saveexec_b32 s6, s6
	s_cbranch_execz .LBB47_4341
; %bb.4324:
	s_mov_b32 s7, exec_lo
	v_cmpx_lt_i16_e32 1, v3
	s_xor_b32 s7, exec_lo, s7
	s_cbranch_execz .LBB47_4334
; %bb.4325:
	s_mov_b32 s8, exec_lo
	v_cmpx_lt_i16_e32 2, v3
	s_xor_b32 s8, exec_lo, s8
	s_cbranch_execz .LBB47_4331
; %bb.4326:
	s_mov_b32 s9, exec_lo
	v_cmpx_lt_i16_e32 3, v3
	s_xor_b32 s9, exec_lo, s9
	s_cbranch_execz .LBB47_4328
; %bb.4327:
	v_trunc_f32_e32 v3, v35
                                        ; implicit-def: $vgpr35
	s_delay_alu instid0(VALU_DEP_1) | instskip(SKIP_1) | instid1(VALU_DEP_2)
	v_mul_f32_e64 v4, 0x2f800000, |v3|
	v_ashrrev_i32_e32 v10, 31, v3
	v_floor_f32_e32 v4, v4
	s_delay_alu instid0(VALU_DEP_1) | instskip(SKIP_1) | instid1(VALU_DEP_2)
	v_fma_f32 v5, 0xcf800000, v4, |v3|
	v_cvt_u32_f32_e32 v4, v4
	v_cvt_u32_f32_e32 v3, v5
	s_delay_alu instid0(VALU_DEP_2) | instskip(NEXT) | instid1(VALU_DEP_2)
	v_xor_b32_e32 v4, v4, v10
	v_xor_b32_e32 v3, v3, v10
	s_delay_alu instid0(VALU_DEP_1) | instskip(NEXT) | instid1(VALU_DEP_3)
	v_sub_co_u32 v3, vcc_lo, v3, v10
	v_sub_co_ci_u32_e32 v4, vcc_lo, v4, v10, vcc_lo
	flat_store_b64 v[1:2], v[3:4]
                                        ; implicit-def: $vgpr1_vgpr2
.LBB47_4328:
	s_and_not1_saveexec_b32 s9, s9
	s_cbranch_execz .LBB47_4330
; %bb.4329:
	v_cvt_i32_f32_e32 v3, v35
	flat_store_b32 v[1:2], v3
.LBB47_4330:
	s_or_b32 exec_lo, exec_lo, s9
                                        ; implicit-def: $vgpr35
                                        ; implicit-def: $vgpr1_vgpr2
.LBB47_4331:
	s_and_not1_saveexec_b32 s8, s8
	s_cbranch_execz .LBB47_4333
; %bb.4332:
	v_cvt_i32_f32_e32 v3, v35
	flat_store_b16 v[1:2], v3
.LBB47_4333:
	s_or_b32 exec_lo, exec_lo, s8
                                        ; implicit-def: $vgpr35
                                        ; implicit-def: $vgpr1_vgpr2
                                        ; implicit-def: $vgpr3
.LBB47_4334:
	s_and_not1_saveexec_b32 s7, s7
	s_cbranch_execz .LBB47_4340
; %bb.4335:
	s_mov_b32 s8, exec_lo
	v_cmpx_lt_i16_e32 0, v3
	s_xor_b32 s8, exec_lo, s8
	s_cbranch_execz .LBB47_4337
; %bb.4336:
	v_cvt_i32_f32_e32 v3, v35
                                        ; implicit-def: $vgpr35
	flat_store_b8 v[1:2], v3
                                        ; implicit-def: $vgpr1_vgpr2
.LBB47_4337:
	s_and_not1_saveexec_b32 s8, s8
	s_cbranch_execz .LBB47_4339
; %bb.4338:
	v_trunc_f32_e32 v3, v35
	s_delay_alu instid0(VALU_DEP_1) | instskip(NEXT) | instid1(VALU_DEP_1)
	v_mul_f32_e64 v4, 0x2f800000, |v3|
	v_floor_f32_e32 v4, v4
	s_delay_alu instid0(VALU_DEP_1) | instskip(SKIP_1) | instid1(VALU_DEP_2)
	v_fma_f32 v4, 0xcf800000, v4, |v3|
	v_ashrrev_i32_e32 v3, 31, v3
	v_cvt_u32_f32_e32 v4, v4
	s_delay_alu instid0(VALU_DEP_1) | instskip(NEXT) | instid1(VALU_DEP_1)
	v_xor_b32_e32 v4, v4, v3
	v_sub_nc_u32_e32 v3, v4, v3
	flat_store_b8 v[1:2], v3
.LBB47_4339:
	s_or_b32 exec_lo, exec_lo, s8
.LBB47_4340:
	s_delay_alu instid0(SALU_CYCLE_1)
	s_or_b32 exec_lo, exec_lo, s7
.LBB47_4341:
	s_delay_alu instid0(SALU_CYCLE_1) | instskip(NEXT) | instid1(SALU_CYCLE_1)
	s_or_b32 exec_lo, exec_lo, s6
	s_or_b32 s0, s0, exec_lo
	s_or_b32 exec_lo, exec_lo, s3
	s_mov_b32 s6, 0
	s_and_saveexec_b32 s3, s0
	s_cbranch_execnz .LBB47_3847
	s_branch .LBB47_3848
.LBB47_4342:
	s_cbranch_execnz .LBB47_4470
; %bb.4343:
	s_or_b32 s0, s0, exec_lo
	s_branch .LBB47_4213
.LBB47_4344:
	s_trap 2
	s_sendmsg_rtn_b32 s0, sendmsg(MSG_RTN_GET_DOORBELL)
	s_mov_b32 ttmp2, m0
	s_waitcnt lgkmcnt(0)
	s_and_b32 s0, s0, 0x3ff
	s_delay_alu instid0(SALU_CYCLE_1) | instskip(NEXT) | instid1(SALU_CYCLE_1)
	s_bitset1_b32 s0, 10
	s_mov_b32 m0, s0
	s_sendmsg sendmsg(MSG_INTERRUPT)
	s_mov_b32 m0, ttmp2
.LBB47_4345:                            ; =>This Inner Loop Header: Depth=1
	s_sethalt 5
	s_branch .LBB47_4345
.LBB47_4346:
	s_mov_b32 s7, s3
	s_mov_b32 s8, exec_lo
	v_cmpx_lt_i16_e32 25, v3
	s_xor_b32 s8, exec_lo, s8
	s_cbranch_execz .LBB47_4382
; %bb.4347:
	s_mov_b32 s9, s3
	s_mov_b32 s7, exec_lo
	v_cmpx_lt_i16_e32 28, v3
	s_xor_b32 s7, exec_lo, s7
	s_cbranch_execz .LBB47_4365
; %bb.4348:
	;; [unrolled: 6-line block ×3, first 2 shown]
	s_mov_b32 s10, 0
	s_mov_b32 s14, s3
	s_mov_b32 s0, exec_lo
	v_cmpx_lt_i16_e32 45, v3
	s_xor_b32 s0, exec_lo, s0
	s_cbranch_execz .LBB47_4353
; %bb.4350:
	s_mov_b32 s15, -1
	s_mov_b32 s14, exec_lo
	v_cmpx_eq_u16_e32 46, v3
	s_cbranch_execz .LBB47_4352
; %bb.4351:
	v_bfe_u32 v3, v34, 16, 1
	v_cmp_o_f32_e32 vcc_lo, v34, v34
	s_mov_b32 s10, exec_lo
	s_xor_b32 s15, exec_lo, -1
	s_delay_alu instid0(VALU_DEP_2) | instskip(NEXT) | instid1(VALU_DEP_1)
	v_add3_u32 v3, v34, v3, 0x7fff
	v_lshrrev_b32_e32 v3, 16, v3
	s_delay_alu instid0(VALU_DEP_1)
	v_cndmask_b32_e32 v3, 0x7fc0, v3, vcc_lo
	flat_store_b32 v[1:2], v3
.LBB47_4352:
	s_or_b32 exec_lo, exec_lo, s14
	s_delay_alu instid0(SALU_CYCLE_1)
	s_and_not1_b32 s14, s3, exec_lo
	s_and_b32 s15, s15, exec_lo
	s_and_b32 s10, s10, exec_lo
	s_or_b32 s14, s14, s15
                                        ; implicit-def: $vgpr3
                                        ; implicit-def: $vgpr1_vgpr2
                                        ; implicit-def: $vgpr34
.LBB47_4353:
	s_and_not1_saveexec_b32 s15, s0
	s_cbranch_execz .LBB47_4359
; %bb.4354:
	s_mov_b32 s17, -1
	s_mov_b32 s0, s10
	s_mov_b32 s16, exec_lo
	v_cmpx_eq_u16_e32 44, v3
	s_cbranch_execz .LBB47_4358
; %bb.4355:
	v_bfe_u32 v4, v34, 23, 8
	v_mov_b32_e32 v3, 0xff
	s_mov_b32 s17, exec_lo
	s_delay_alu instid0(VALU_DEP_2)
	v_cmpx_ne_u32_e32 0xff, v4
; %bb.4356:
	v_and_b32_e32 v3, 0x400000, v34
	v_and_or_b32 v4, 0x3fffff, v34, v4
	s_delay_alu instid0(VALU_DEP_2) | instskip(NEXT) | instid1(VALU_DEP_2)
	v_cmp_ne_u32_e32 vcc_lo, 0, v3
	v_cmp_ne_u32_e64 s0, 0, v4
	v_lshrrev_b32_e32 v3, 23, v34
	s_delay_alu instid0(VALU_DEP_2) | instskip(NEXT) | instid1(SALU_CYCLE_1)
	s_and_b32 s0, vcc_lo, s0
	v_cndmask_b32_e64 v4, 0, 1, s0
	s_delay_alu instid0(VALU_DEP_1)
	v_add_nc_u32_e32 v3, v3, v4
; %bb.4357:
	s_or_b32 exec_lo, exec_lo, s17
	s_delay_alu instid0(SALU_CYCLE_1)
	s_xor_b32 s17, exec_lo, -1
	s_or_b32 s0, s10, exec_lo
	flat_store_b8 v[1:2], v3
.LBB47_4358:
	s_or_b32 exec_lo, exec_lo, s16
	s_delay_alu instid0(SALU_CYCLE_1)
	s_and_not1_b32 s14, s14, exec_lo
	s_and_b32 s16, s17, exec_lo
	s_and_not1_b32 s10, s10, exec_lo
	s_and_b32 s0, s0, exec_lo
	s_or_b32 s14, s14, s16
	s_or_b32 s10, s10, s0
.LBB47_4359:
	s_or_b32 exec_lo, exec_lo, s15
	s_delay_alu instid0(SALU_CYCLE_1) | instskip(SKIP_1) | instid1(SALU_CYCLE_1)
	s_and_not1_b32 s0, s3, exec_lo
	s_and_b32 s14, s14, exec_lo
                                        ; implicit-def: $vgpr3
                                        ; implicit-def: $vgpr34
                                        ; implicit-def: $vgpr1_vgpr2
	s_or_b32 s14, s0, s14
	s_and_b32 s0, s10, exec_lo
.LBB47_4360:
	s_and_not1_saveexec_b32 s9, s9
	s_cbranch_execz .LBB47_4364
; %bb.4361:
	s_mov_b32 s16, -1
	s_mov_b32 s15, s0
	s_mov_b32 s10, exec_lo
	v_cmpx_eq_u16_e32 29, v3
	s_cbranch_execz .LBB47_4363
; %bb.4362:
	v_trunc_f32_e32 v3, v34
	s_xor_b32 s16, exec_lo, -1
	s_or_b32 s15, s0, exec_lo
	s_delay_alu instid0(VALU_DEP_1) | instskip(NEXT) | instid1(VALU_DEP_1)
	v_mul_f32_e32 v4, 0x2f800000, v3
	v_floor_f32_e32 v4, v4
	s_delay_alu instid0(VALU_DEP_1) | instskip(SKIP_1) | instid1(VALU_DEP_2)
	v_fmamk_f32 v3, v4, 0xcf800000, v3
	v_cvt_u32_f32_e32 v4, v4
	v_cvt_u32_f32_e32 v3, v3
	flat_store_b64 v[1:2], v[3:4]
.LBB47_4363:
	s_or_b32 exec_lo, exec_lo, s10
	s_delay_alu instid0(SALU_CYCLE_1)
	s_and_not1_b32 s10, s14, exec_lo
	s_and_b32 s14, s16, exec_lo
	s_and_not1_b32 s0, s0, exec_lo
	s_and_b32 s15, s15, exec_lo
	s_or_b32 s14, s10, s14
	s_or_b32 s0, s0, s15
.LBB47_4364:
	s_or_b32 exec_lo, exec_lo, s9
	s_delay_alu instid0(SALU_CYCLE_1)
	s_and_not1_b32 s9, s3, exec_lo
	s_and_b32 s10, s14, exec_lo
	s_and_b32 s0, s0, exec_lo
	s_or_b32 s9, s9, s10
                                        ; implicit-def: $vgpr1_vgpr2
                                        ; implicit-def: $vgpr3
                                        ; implicit-def: $vgpr34
.LBB47_4365:
	s_and_not1_saveexec_b32 s7, s7
	s_cbranch_execz .LBB47_4381
; %bb.4366:
	s_mov_b32 s10, exec_lo
	v_cmpx_lt_i16_e32 26, v3
	s_xor_b32 s10, exec_lo, s10
	s_cbranch_execz .LBB47_4372
; %bb.4367:
	v_cmp_lt_i16_e32 vcc_lo, 27, v3
	v_cvt_u32_f32_e32 v3, v34
	s_and_saveexec_b32 s14, vcc_lo
	s_delay_alu instid0(SALU_CYCLE_1)
	s_xor_b32 s14, exec_lo, s14
	s_cbranch_execz .LBB47_4369
; %bb.4368:
	flat_store_b32 v[1:2], v3
                                        ; implicit-def: $vgpr1_vgpr2
                                        ; implicit-def: $vgpr3
.LBB47_4369:
	s_and_not1_saveexec_b32 s14, s14
	s_cbranch_execz .LBB47_4371
; %bb.4370:
	flat_store_b16 v[1:2], v3
.LBB47_4371:
	s_or_b32 exec_lo, exec_lo, s14
                                        ; implicit-def: $vgpr1_vgpr2
                                        ; implicit-def: $vgpr34
.LBB47_4372:
	s_and_not1_saveexec_b32 s10, s10
	s_cbranch_execz .LBB47_4380
; %bb.4373:
	v_and_b32_e32 v3, 0x7fffffff, v34
	v_mov_b32_e32 v4, 0x80
	s_mov_b32 s14, exec_lo
	s_delay_alu instid0(VALU_DEP_2)
	v_cmpx_gt_u32_e32 0x43800000, v3
	s_cbranch_execz .LBB47_4379
; %bb.4374:
	v_cmp_lt_u32_e32 vcc_lo, 0x3bffffff, v3
	s_mov_b32 s15, 0
                                        ; implicit-def: $vgpr3
	s_and_saveexec_b32 s16, vcc_lo
	s_delay_alu instid0(SALU_CYCLE_1)
	s_xor_b32 s16, exec_lo, s16
	s_cbranch_execnz .LBB47_5092
; %bb.4375:
	s_or_saveexec_b32 s16, s16
                                        ; implicit-def: $sgpr17
	s_delay_alu instid0(SALU_CYCLE_1)
	s_xor_b32 exec_lo, exec_lo, s16
	s_cbranch_execnz .LBB47_5093
.LBB47_4376:
	s_or_b32 exec_lo, exec_lo, s16
	v_mov_b32_e32 v4, s17
	s_and_saveexec_b32 s16, s15
.LBB47_4377:
	v_lshrrev_b32_e32 v4, 24, v34
	s_delay_alu instid0(VALU_DEP_1)
	v_and_or_b32 v4, 0x80, v4, v3
.LBB47_4378:
	s_or_b32 exec_lo, exec_lo, s16
.LBB47_4379:
	s_delay_alu instid0(SALU_CYCLE_1)
	s_or_b32 exec_lo, exec_lo, s14
	flat_store_b8 v[1:2], v4
.LBB47_4380:
	s_or_b32 exec_lo, exec_lo, s10
	s_delay_alu instid0(SALU_CYCLE_1)
	s_or_b32 s0, s0, exec_lo
.LBB47_4381:
	s_or_b32 exec_lo, exec_lo, s7
	s_delay_alu instid0(SALU_CYCLE_1)
	s_and_not1_b32 s7, s3, exec_lo
	s_and_b32 s9, s9, exec_lo
	s_and_b32 s0, s0, exec_lo
	s_or_b32 s7, s7, s9
                                        ; implicit-def: $vgpr3
                                        ; implicit-def: $vgpr34
                                        ; implicit-def: $vgpr1_vgpr2
.LBB47_4382:
	s_and_not1_saveexec_b32 s8, s8
	s_cbranch_execz .LBB47_4426
; %bb.4383:
	s_mov_b32 s10, s0
	s_mov_b32 s9, exec_lo
	v_cmpx_lt_i16_e32 22, v3
	s_xor_b32 s9, exec_lo, s9
	s_cbranch_execz .LBB47_4415
; %bb.4384:
	s_mov_b32 s10, exec_lo
	v_cmpx_lt_i16_e32 23, v3
	s_xor_b32 s10, exec_lo, s10
	s_cbranch_execz .LBB47_4404
; %bb.4385:
	;; [unrolled: 5-line block ×3, first 2 shown]
	v_and_b32_e32 v3, 0x7fffffff, v34
	v_mov_b32_e32 v4, 0x80
	s_mov_b32 s15, exec_lo
	s_delay_alu instid0(VALU_DEP_2)
	v_cmpx_gt_u32_e32 0x47800000, v3
	s_cbranch_execz .LBB47_4392
; %bb.4387:
	v_cmp_lt_u32_e32 vcc_lo, 0x37ffffff, v3
	s_mov_b32 s16, 0
                                        ; implicit-def: $vgpr3
	s_and_saveexec_b32 s17, vcc_lo
	s_delay_alu instid0(SALU_CYCLE_1)
	s_xor_b32 s17, exec_lo, s17
	s_cbranch_execnz .LBB47_5216
; %bb.4388:
	s_or_saveexec_b32 s17, s17
                                        ; implicit-def: $sgpr18
	s_delay_alu instid0(SALU_CYCLE_1)
	s_xor_b32 exec_lo, exec_lo, s17
	s_cbranch_execnz .LBB47_5217
.LBB47_4389:
	s_or_b32 exec_lo, exec_lo, s17
	v_mov_b32_e32 v4, s18
	s_and_saveexec_b32 s17, s16
.LBB47_4390:
	v_lshrrev_b32_e32 v4, 24, v34
	s_delay_alu instid0(VALU_DEP_1)
	v_and_or_b32 v4, 0x80, v4, v3
.LBB47_4391:
	s_or_b32 exec_lo, exec_lo, s17
.LBB47_4392:
	s_delay_alu instid0(SALU_CYCLE_1)
	s_or_b32 exec_lo, exec_lo, s15
	flat_store_b8 v[1:2], v4
                                        ; implicit-def: $vgpr34
                                        ; implicit-def: $vgpr1_vgpr2
.LBB47_4393:
	s_and_not1_saveexec_b32 s14, s14
	s_cbranch_execz .LBB47_4403
; %bb.4394:
	v_and_b32_e32 v4, 0x7fffffff, v34
	s_mov_b32 s15, exec_lo
                                        ; implicit-def: $vgpr3
	s_delay_alu instid0(VALU_DEP_1)
	v_cmpx_gt_u32_e32 0x43f00000, v4
	s_xor_b32 s15, exec_lo, s15
	s_cbranch_execz .LBB47_4400
; %bb.4395:
	s_mov_b32 s16, exec_lo
                                        ; implicit-def: $vgpr3
	v_cmpx_lt_u32_e32 0x3c7fffff, v4
	s_xor_b32 s16, exec_lo, s16
; %bb.4396:
	v_bfe_u32 v3, v34, 20, 1
	s_delay_alu instid0(VALU_DEP_1) | instskip(NEXT) | instid1(VALU_DEP_1)
	v_add3_u32 v3, v34, v3, 0x407ffff
	v_and_b32_e32 v4, 0xff00000, v3
	v_lshrrev_b32_e32 v3, 20, v3
	s_delay_alu instid0(VALU_DEP_2) | instskip(NEXT) | instid1(VALU_DEP_2)
	v_cmp_ne_u32_e32 vcc_lo, 0x7f00000, v4
	v_cndmask_b32_e32 v3, 0x7e, v3, vcc_lo
; %bb.4397:
	s_and_not1_saveexec_b32 s16, s16
; %bb.4398:
	v_add_f32_e64 v3, 0x46800000, |v34|
; %bb.4399:
	s_or_b32 exec_lo, exec_lo, s16
                                        ; implicit-def: $vgpr4
.LBB47_4400:
	s_and_not1_saveexec_b32 s15, s15
; %bb.4401:
	v_mov_b32_e32 v3, 0x7f
	v_cmp_lt_u32_e32 vcc_lo, 0x7f800000, v4
	s_delay_alu instid0(VALU_DEP_2)
	v_cndmask_b32_e32 v3, 0x7e, v3, vcc_lo
; %bb.4402:
	s_or_b32 exec_lo, exec_lo, s15
	v_lshrrev_b32_e32 v4, 24, v34
	s_delay_alu instid0(VALU_DEP_1)
	v_and_or_b32 v3, 0x80, v4, v3
	flat_store_b8 v[1:2], v3
.LBB47_4403:
	s_or_b32 exec_lo, exec_lo, s14
                                        ; implicit-def: $vgpr34
                                        ; implicit-def: $vgpr1_vgpr2
.LBB47_4404:
	s_and_not1_saveexec_b32 s10, s10
	s_cbranch_execz .LBB47_4414
; %bb.4405:
	v_and_b32_e32 v4, 0x7fffffff, v34
	s_mov_b32 s14, exec_lo
                                        ; implicit-def: $vgpr3
	s_delay_alu instid0(VALU_DEP_1)
	v_cmpx_gt_u32_e32 0x47800000, v4
	s_xor_b32 s14, exec_lo, s14
	s_cbranch_execz .LBB47_4411
; %bb.4406:
	s_mov_b32 s15, exec_lo
                                        ; implicit-def: $vgpr3
	v_cmpx_lt_u32_e32 0x387fffff, v4
	s_xor_b32 s15, exec_lo, s15
; %bb.4407:
	v_bfe_u32 v3, v34, 21, 1
	s_delay_alu instid0(VALU_DEP_1) | instskip(NEXT) | instid1(VALU_DEP_1)
	v_add3_u32 v3, v34, v3, 0x80fffff
	v_lshrrev_b32_e32 v3, 21, v3
; %bb.4408:
	s_and_not1_saveexec_b32 s15, s15
; %bb.4409:
	v_add_f32_e64 v3, 0x43000000, |v34|
; %bb.4410:
	s_or_b32 exec_lo, exec_lo, s15
                                        ; implicit-def: $vgpr4
.LBB47_4411:
	s_and_not1_saveexec_b32 s14, s14
; %bb.4412:
	v_mov_b32_e32 v3, 0x7f
	v_cmp_lt_u32_e32 vcc_lo, 0x7f800000, v4
	s_delay_alu instid0(VALU_DEP_2)
	v_cndmask_b32_e32 v3, 0x7c, v3, vcc_lo
; %bb.4413:
	s_or_b32 exec_lo, exec_lo, s14
	v_lshrrev_b32_e32 v4, 24, v34
	s_delay_alu instid0(VALU_DEP_1)
	v_and_or_b32 v3, 0x80, v4, v3
	flat_store_b8 v[1:2], v3
.LBB47_4414:
	s_or_b32 exec_lo, exec_lo, s10
	s_delay_alu instid0(SALU_CYCLE_1)
	s_or_b32 s10, s0, exec_lo
                                        ; implicit-def: $vgpr3
                                        ; implicit-def: $vgpr34
                                        ; implicit-def: $vgpr1_vgpr2
.LBB47_4415:
	s_or_saveexec_b32 s9, s9
	s_mov_b32 s14, s7
	s_xor_b32 exec_lo, exec_lo, s9
	s_cbranch_execz .LBB47_4425
; %bb.4416:
	s_mov_b32 s14, s10
	s_mov_b32 s15, s7
	s_mov_b32 s16, exec_lo
	v_cmpx_lt_i16_e32 14, v3
	s_xor_b32 s16, exec_lo, s16
	s_cbranch_execz .LBB47_4420
; %bb.4417:
	s_mov_b32 s17, -1
	s_mov_b32 s14, s10
	s_mov_b32 s15, exec_lo
	v_cmpx_eq_u16_e32 15, v3
	s_cbranch_execz .LBB47_4419
; %bb.4418:
	v_bfe_u32 v3, v34, 16, 1
	v_cmp_o_f32_e32 vcc_lo, v34, v34
	s_xor_b32 s17, exec_lo, -1
	s_or_b32 s14, s10, exec_lo
	s_delay_alu instid0(VALU_DEP_2) | instskip(NEXT) | instid1(VALU_DEP_1)
	v_add3_u32 v3, v34, v3, 0x7fff
	v_lshrrev_b32_e32 v3, 16, v3
	s_delay_alu instid0(VALU_DEP_1)
	v_cndmask_b32_e32 v3, 0x7fc0, v3, vcc_lo
	flat_store_b16 v[1:2], v3
.LBB47_4419:
	s_or_b32 exec_lo, exec_lo, s15
	s_delay_alu instid0(SALU_CYCLE_1)
	s_and_not1_b32 s15, s7, exec_lo
	s_and_b32 s17, s17, exec_lo
	s_and_not1_b32 s18, s10, exec_lo
	s_and_b32 s14, s14, exec_lo
	s_or_b32 s15, s15, s17
	s_or_b32 s14, s18, s14
                                        ; implicit-def: $vgpr3
                                        ; implicit-def: $vgpr34
                                        ; implicit-def: $vgpr1_vgpr2
.LBB47_4420:
	s_and_not1_saveexec_b32 s16, s16
	s_cbranch_execz .LBB47_4424
; %bb.4421:
	s_mov_b32 s18, -1
	s_mov_b32 s17, s14
	s_mov_b32 s19, exec_lo
	v_cmpx_eq_u16_e32 11, v3
	s_cbranch_execz .LBB47_4423
; %bb.4422:
	v_cmp_neq_f32_e32 vcc_lo, 0, v34
	s_xor_b32 s18, exec_lo, -1
	s_or_b32 s17, s14, exec_lo
	v_cndmask_b32_e64 v3, 0, 1, vcc_lo
	flat_store_b8 v[1:2], v3
.LBB47_4423:
	s_or_b32 exec_lo, exec_lo, s19
	s_delay_alu instid0(SALU_CYCLE_1)
	s_and_not1_b32 s15, s15, exec_lo
	s_and_b32 s18, s18, exec_lo
	s_and_not1_b32 s14, s14, exec_lo
	s_and_b32 s17, s17, exec_lo
	s_or_b32 s15, s15, s18
	s_or_b32 s14, s14, s17
.LBB47_4424:
	s_or_b32 exec_lo, exec_lo, s16
	s_delay_alu instid0(SALU_CYCLE_1)
	s_and_not1_b32 s16, s7, exec_lo
	s_and_b32 s15, s15, exec_lo
	s_and_not1_b32 s10, s10, exec_lo
	s_and_b32 s17, s14, exec_lo
	s_or_b32 s14, s16, s15
	s_or_b32 s10, s10, s17
.LBB47_4425:
	s_or_b32 exec_lo, exec_lo, s9
	s_delay_alu instid0(SALU_CYCLE_1)
	s_and_not1_b32 s7, s7, exec_lo
	s_and_b32 s9, s14, exec_lo
	s_and_not1_b32 s0, s0, exec_lo
	s_and_b32 s10, s10, exec_lo
	s_or_b32 s7, s7, s9
	s_or_b32 s0, s0, s10
.LBB47_4426:
	s_or_b32 exec_lo, exec_lo, s8
	s_delay_alu instid0(SALU_CYCLE_1)
	s_and_not1_b32 s8, s3, exec_lo
	s_and_b32 s7, s7, exec_lo
	s_and_b32 s0, s0, exec_lo
	s_or_b32 s7, s8, s7
                                        ; implicit-def: $vgpr3
                                        ; implicit-def: $vgpr34
                                        ; implicit-def: $vgpr1_vgpr2
	s_and_not1_saveexec_b32 s5, s5
	s_cbranch_execz .LBB47_3853
.LBB47_4427:
	s_mov_b32 s8, exec_lo
	v_cmpx_lt_i16_e32 4, v3
	s_xor_b32 s8, exec_lo, s8
	s_cbranch_execz .LBB47_4449
; %bb.4428:
	s_mov_b32 s9, exec_lo
	v_cmpx_lt_i16_e32 7, v3
	s_xor_b32 s9, exec_lo, s9
	s_cbranch_execz .LBB47_4438
; %bb.4429:
	;; [unrolled: 5-line block ×4, first 2 shown]
	v_cvt_f64_f32_e32 v[64:65], v34
	v_mov_b32_e32 v66, 0
                                        ; implicit-def: $vgpr34
	s_delay_alu instid0(VALU_DEP_1)
	v_mov_b32_e32 v67, v66
	flat_store_b128 v[1:2], v[64:67]
                                        ; implicit-def: $vgpr1_vgpr2
.LBB47_4432:
	s_and_not1_saveexec_b32 s14, s14
	s_cbranch_execz .LBB47_4434
; %bb.4433:
	v_mov_b32_e32 v35, 0
	flat_store_b64 v[1:2], v[34:35]
.LBB47_4434:
	s_or_b32 exec_lo, exec_lo, s14
                                        ; implicit-def: $vgpr34
                                        ; implicit-def: $vgpr1_vgpr2
.LBB47_4435:
	s_and_not1_saveexec_b32 s10, s10
	s_cbranch_execz .LBB47_4437
; %bb.4436:
	v_cvt_f16_f32_e32 v3, v34
	s_delay_alu instid0(VALU_DEP_1)
	v_and_b32_e32 v3, 0xffff, v3
	flat_store_b32 v[1:2], v3
.LBB47_4437:
	s_or_b32 exec_lo, exec_lo, s10
                                        ; implicit-def: $vgpr34
                                        ; implicit-def: $vgpr1_vgpr2
                                        ; implicit-def: $vgpr3
.LBB47_4438:
	s_and_not1_saveexec_b32 s9, s9
	s_cbranch_execz .LBB47_4448
; %bb.4439:
	s_mov_b32 s10, exec_lo
	v_cmpx_lt_i16_e32 5, v3
	s_xor_b32 s10, exec_lo, s10
	s_cbranch_execz .LBB47_4445
; %bb.4440:
	s_mov_b32 s14, exec_lo
	v_cmpx_lt_i16_e32 6, v3
	s_xor_b32 s14, exec_lo, s14
	s_cbranch_execz .LBB47_4442
; %bb.4441:
	v_cvt_f64_f32_e32 v[3:4], v34
                                        ; implicit-def: $vgpr34
	flat_store_b64 v[1:2], v[3:4]
                                        ; implicit-def: $vgpr1_vgpr2
.LBB47_4442:
	s_and_not1_saveexec_b32 s14, s14
	s_cbranch_execz .LBB47_4444
; %bb.4443:
	flat_store_b32 v[1:2], v34
.LBB47_4444:
	s_or_b32 exec_lo, exec_lo, s14
                                        ; implicit-def: $vgpr34
                                        ; implicit-def: $vgpr1_vgpr2
.LBB47_4445:
	s_and_not1_saveexec_b32 s10, s10
	s_cbranch_execz .LBB47_4447
; %bb.4446:
	v_cvt_f16_f32_e32 v3, v34
	flat_store_b16 v[1:2], v3
.LBB47_4447:
	s_or_b32 exec_lo, exec_lo, s10
.LBB47_4448:
	s_delay_alu instid0(SALU_CYCLE_1)
	s_or_b32 exec_lo, exec_lo, s9
                                        ; implicit-def: $vgpr3
                                        ; implicit-def: $vgpr34
                                        ; implicit-def: $vgpr1_vgpr2
.LBB47_4449:
	s_and_not1_saveexec_b32 s8, s8
	s_cbranch_execz .LBB47_4467
; %bb.4450:
	s_mov_b32 s9, exec_lo
	v_cmpx_lt_i16_e32 1, v3
	s_xor_b32 s9, exec_lo, s9
	s_cbranch_execz .LBB47_4460
; %bb.4451:
	s_mov_b32 s10, exec_lo
	v_cmpx_lt_i16_e32 2, v3
	s_xor_b32 s10, exec_lo, s10
	;; [unrolled: 5-line block ×3, first 2 shown]
	s_cbranch_execz .LBB47_4454
; %bb.4453:
	v_trunc_f32_e32 v3, v34
                                        ; implicit-def: $vgpr34
	s_delay_alu instid0(VALU_DEP_1) | instskip(SKIP_1) | instid1(VALU_DEP_2)
	v_mul_f32_e64 v4, 0x2f800000, |v3|
	v_ashrrev_i32_e32 v10, 31, v3
	v_floor_f32_e32 v4, v4
	s_delay_alu instid0(VALU_DEP_1) | instskip(SKIP_1) | instid1(VALU_DEP_2)
	v_fma_f32 v5, 0xcf800000, v4, |v3|
	v_cvt_u32_f32_e32 v4, v4
	v_cvt_u32_f32_e32 v3, v5
	s_delay_alu instid0(VALU_DEP_2) | instskip(NEXT) | instid1(VALU_DEP_2)
	v_xor_b32_e32 v4, v4, v10
	v_xor_b32_e32 v3, v3, v10
	s_delay_alu instid0(VALU_DEP_1) | instskip(NEXT) | instid1(VALU_DEP_3)
	v_sub_co_u32 v3, vcc_lo, v3, v10
	v_sub_co_ci_u32_e32 v4, vcc_lo, v4, v10, vcc_lo
	flat_store_b64 v[1:2], v[3:4]
                                        ; implicit-def: $vgpr1_vgpr2
.LBB47_4454:
	s_and_not1_saveexec_b32 s14, s14
	s_cbranch_execz .LBB47_4456
; %bb.4455:
	v_cvt_i32_f32_e32 v3, v34
	flat_store_b32 v[1:2], v3
.LBB47_4456:
	s_or_b32 exec_lo, exec_lo, s14
                                        ; implicit-def: $vgpr34
                                        ; implicit-def: $vgpr1_vgpr2
.LBB47_4457:
	s_and_not1_saveexec_b32 s10, s10
	s_cbranch_execz .LBB47_4459
; %bb.4458:
	v_cvt_i32_f32_e32 v3, v34
	flat_store_b16 v[1:2], v3
.LBB47_4459:
	s_or_b32 exec_lo, exec_lo, s10
                                        ; implicit-def: $vgpr34
                                        ; implicit-def: $vgpr1_vgpr2
                                        ; implicit-def: $vgpr3
.LBB47_4460:
	s_and_not1_saveexec_b32 s9, s9
	s_cbranch_execz .LBB47_4466
; %bb.4461:
	s_mov_b32 s10, exec_lo
	v_cmpx_lt_i16_e32 0, v3
	s_xor_b32 s10, exec_lo, s10
	s_cbranch_execz .LBB47_4463
; %bb.4462:
	v_cvt_i32_f32_e32 v3, v34
                                        ; implicit-def: $vgpr34
	flat_store_b8 v[1:2], v3
                                        ; implicit-def: $vgpr1_vgpr2
.LBB47_4463:
	s_and_not1_saveexec_b32 s10, s10
	s_cbranch_execz .LBB47_4465
; %bb.4464:
	v_trunc_f32_e32 v3, v34
	s_delay_alu instid0(VALU_DEP_1) | instskip(NEXT) | instid1(VALU_DEP_1)
	v_mul_f32_e64 v4, 0x2f800000, |v3|
	v_floor_f32_e32 v4, v4
	s_delay_alu instid0(VALU_DEP_1) | instskip(SKIP_1) | instid1(VALU_DEP_2)
	v_fma_f32 v4, 0xcf800000, v4, |v3|
	v_ashrrev_i32_e32 v3, 31, v3
	v_cvt_u32_f32_e32 v4, v4
	s_delay_alu instid0(VALU_DEP_1) | instskip(NEXT) | instid1(VALU_DEP_1)
	v_xor_b32_e32 v4, v4, v3
	v_sub_nc_u32_e32 v3, v4, v3
	flat_store_b8 v[1:2], v3
.LBB47_4465:
	s_or_b32 exec_lo, exec_lo, s10
.LBB47_4466:
	s_delay_alu instid0(SALU_CYCLE_1)
	s_or_b32 exec_lo, exec_lo, s9
.LBB47_4467:
	s_delay_alu instid0(SALU_CYCLE_1) | instskip(NEXT) | instid1(SALU_CYCLE_1)
	s_or_b32 exec_lo, exec_lo, s8
	s_or_b32 s0, s0, exec_lo
	s_or_b32 exec_lo, exec_lo, s5
	s_mov_b32 s8, 0
	s_and_saveexec_b32 s5, s0
	s_cbranch_execnz .LBB47_3854
	s_branch .LBB47_3855
.LBB47_4468:
	s_cbranch_execnz .LBB47_4594
; %bb.4469:
	s_mov_b32 s2, exec_lo
	s_and_not1_b32 s3, s3, exec_lo
	s_or_b32 exec_lo, exec_lo, s5
	s_and_saveexec_b32 s1, s3
	s_delay_alu instid0(SALU_CYCLE_1)
	s_xor_b32 s1, exec_lo, s1
	s_cbranch_execnz .LBB47_4168
	s_branch .LBB47_4169
.LBB47_4470:
	s_trap 2
	s_sendmsg_rtn_b32 s0, sendmsg(MSG_RTN_GET_DOORBELL)
	s_mov_b32 ttmp2, m0
	s_waitcnt lgkmcnt(0)
	s_and_b32 s0, s0, 0x3ff
	s_delay_alu instid0(SALU_CYCLE_1) | instskip(NEXT) | instid1(SALU_CYCLE_1)
	s_bitset1_b32 s0, 10
	s_mov_b32 m0, s0
	s_sendmsg sendmsg(MSG_INTERRUPT)
	s_mov_b32 m0, ttmp2
.LBB47_4471:                            ; =>This Inner Loop Header: Depth=1
	s_sethalt 5
	s_branch .LBB47_4471
.LBB47_4472:
	s_mov_b32 s9, s5
	s_mov_b32 s10, exec_lo
	v_cmpx_lt_i16_e32 25, v3
	s_xor_b32 s10, exec_lo, s10
	s_cbranch_execz .LBB47_4508
; %bb.4473:
	s_mov_b32 s14, s5
	s_mov_b32 s9, exec_lo
	v_cmpx_lt_i16_e32 28, v3
	s_xor_b32 s9, exec_lo, s9
	s_cbranch_execz .LBB47_4491
; %bb.4474:
	s_mov_b32 s16, s5
	s_mov_b32 s14, exec_lo
	v_cmpx_lt_i16_e32 43, v3
	s_xor_b32 s14, exec_lo, s14
	s_cbranch_execz .LBB47_4486
; %bb.4475:
	s_mov_b32 s15, 0
	s_mov_b32 s16, s5
	s_mov_b32 s0, exec_lo
	v_cmpx_lt_i16_e32 45, v3
	s_xor_b32 s0, exec_lo, s0
	s_cbranch_execz .LBB47_4479
; %bb.4476:
	s_mov_b32 s17, -1
	s_mov_b32 s16, exec_lo
	v_cmpx_eq_u16_e32 46, v3
	s_cbranch_execz .LBB47_4478
; %bb.4477:
	v_bfe_u32 v3, v33, 16, 1
	v_cmp_o_f32_e32 vcc_lo, v33, v33
	s_mov_b32 s15, exec_lo
	s_xor_b32 s17, exec_lo, -1
	s_delay_alu instid0(VALU_DEP_2) | instskip(NEXT) | instid1(VALU_DEP_1)
	v_add3_u32 v3, v33, v3, 0x7fff
	v_lshrrev_b32_e32 v3, 16, v3
	s_delay_alu instid0(VALU_DEP_1)
	v_cndmask_b32_e32 v3, 0x7fc0, v3, vcc_lo
	flat_store_b32 v[1:2], v3
.LBB47_4478:
	s_or_b32 exec_lo, exec_lo, s16
	s_delay_alu instid0(SALU_CYCLE_1)
	s_and_not1_b32 s16, s5, exec_lo
	s_and_b32 s17, s17, exec_lo
	s_and_b32 s15, s15, exec_lo
	s_or_b32 s16, s16, s17
                                        ; implicit-def: $vgpr3
                                        ; implicit-def: $vgpr1_vgpr2
                                        ; implicit-def: $vgpr33
.LBB47_4479:
	s_and_not1_saveexec_b32 s17, s0
	s_cbranch_execz .LBB47_4485
; %bb.4480:
	s_mov_b32 s19, -1
	s_mov_b32 s0, s15
	s_mov_b32 s18, exec_lo
	v_cmpx_eq_u16_e32 44, v3
	s_cbranch_execz .LBB47_4484
; %bb.4481:
	v_bfe_u32 v4, v33, 23, 8
	v_mov_b32_e32 v3, 0xff
	s_mov_b32 s19, exec_lo
	s_delay_alu instid0(VALU_DEP_2)
	v_cmpx_ne_u32_e32 0xff, v4
; %bb.4482:
	v_and_b32_e32 v3, 0x400000, v33
	v_and_or_b32 v4, 0x3fffff, v33, v4
	s_delay_alu instid0(VALU_DEP_2) | instskip(NEXT) | instid1(VALU_DEP_2)
	v_cmp_ne_u32_e32 vcc_lo, 0, v3
	v_cmp_ne_u32_e64 s0, 0, v4
	v_lshrrev_b32_e32 v3, 23, v33
	s_delay_alu instid0(VALU_DEP_2) | instskip(NEXT) | instid1(SALU_CYCLE_1)
	s_and_b32 s0, vcc_lo, s0
	v_cndmask_b32_e64 v4, 0, 1, s0
	s_delay_alu instid0(VALU_DEP_1)
	v_add_nc_u32_e32 v3, v3, v4
; %bb.4483:
	s_or_b32 exec_lo, exec_lo, s19
	s_delay_alu instid0(SALU_CYCLE_1)
	s_xor_b32 s19, exec_lo, -1
	s_or_b32 s0, s15, exec_lo
	flat_store_b8 v[1:2], v3
.LBB47_4484:
	s_or_b32 exec_lo, exec_lo, s18
	s_delay_alu instid0(SALU_CYCLE_1)
	s_and_not1_b32 s16, s16, exec_lo
	s_and_b32 s18, s19, exec_lo
	s_and_not1_b32 s15, s15, exec_lo
	s_and_b32 s0, s0, exec_lo
	s_or_b32 s16, s16, s18
	s_or_b32 s15, s15, s0
.LBB47_4485:
	s_or_b32 exec_lo, exec_lo, s17
	s_delay_alu instid0(SALU_CYCLE_1) | instskip(SKIP_1) | instid1(SALU_CYCLE_1)
	s_and_not1_b32 s0, s5, exec_lo
	s_and_b32 s16, s16, exec_lo
                                        ; implicit-def: $vgpr3
                                        ; implicit-def: $vgpr33
                                        ; implicit-def: $vgpr1_vgpr2
	s_or_b32 s16, s0, s16
	s_and_b32 s0, s15, exec_lo
.LBB47_4486:
	s_and_not1_saveexec_b32 s14, s14
	s_cbranch_execz .LBB47_4490
; %bb.4487:
	s_mov_b32 s18, -1
	s_mov_b32 s17, s0
	s_mov_b32 s15, exec_lo
	v_cmpx_eq_u16_e32 29, v3
	s_cbranch_execz .LBB47_4489
; %bb.4488:
	v_trunc_f32_e32 v3, v33
	s_xor_b32 s18, exec_lo, -1
	s_or_b32 s17, s0, exec_lo
	s_delay_alu instid0(VALU_DEP_1) | instskip(NEXT) | instid1(VALU_DEP_1)
	v_mul_f32_e32 v4, 0x2f800000, v3
	v_floor_f32_e32 v4, v4
	s_delay_alu instid0(VALU_DEP_1) | instskip(SKIP_1) | instid1(VALU_DEP_2)
	v_fmamk_f32 v3, v4, 0xcf800000, v3
	v_cvt_u32_f32_e32 v4, v4
	v_cvt_u32_f32_e32 v3, v3
	flat_store_b64 v[1:2], v[3:4]
.LBB47_4489:
	s_or_b32 exec_lo, exec_lo, s15
	s_delay_alu instid0(SALU_CYCLE_1)
	s_and_not1_b32 s15, s16, exec_lo
	s_and_b32 s16, s18, exec_lo
	s_and_not1_b32 s0, s0, exec_lo
	s_and_b32 s17, s17, exec_lo
	s_or_b32 s16, s15, s16
	s_or_b32 s0, s0, s17
.LBB47_4490:
	s_or_b32 exec_lo, exec_lo, s14
	s_delay_alu instid0(SALU_CYCLE_1)
	s_and_not1_b32 s14, s5, exec_lo
	s_and_b32 s15, s16, exec_lo
	s_and_b32 s0, s0, exec_lo
	s_or_b32 s14, s14, s15
                                        ; implicit-def: $vgpr1_vgpr2
                                        ; implicit-def: $vgpr3
                                        ; implicit-def: $vgpr33
.LBB47_4491:
	s_and_not1_saveexec_b32 s9, s9
	s_cbranch_execz .LBB47_4507
; %bb.4492:
	s_mov_b32 s15, exec_lo
	v_cmpx_lt_i16_e32 26, v3
	s_xor_b32 s15, exec_lo, s15
	s_cbranch_execz .LBB47_4498
; %bb.4493:
	v_cmp_lt_i16_e32 vcc_lo, 27, v3
	v_cvt_u32_f32_e32 v3, v33
	s_and_saveexec_b32 s16, vcc_lo
	s_delay_alu instid0(SALU_CYCLE_1)
	s_xor_b32 s16, exec_lo, s16
	s_cbranch_execz .LBB47_4495
; %bb.4494:
	flat_store_b32 v[1:2], v3
                                        ; implicit-def: $vgpr1_vgpr2
                                        ; implicit-def: $vgpr3
.LBB47_4495:
	s_and_not1_saveexec_b32 s16, s16
	s_cbranch_execz .LBB47_4497
; %bb.4496:
	flat_store_b16 v[1:2], v3
.LBB47_4497:
	s_or_b32 exec_lo, exec_lo, s16
                                        ; implicit-def: $vgpr1_vgpr2
                                        ; implicit-def: $vgpr33
.LBB47_4498:
	s_and_not1_saveexec_b32 s15, s15
	s_cbranch_execz .LBB47_4506
; %bb.4499:
	v_and_b32_e32 v3, 0x7fffffff, v33
	v_mov_b32_e32 v4, 0x80
	s_mov_b32 s16, exec_lo
	s_delay_alu instid0(VALU_DEP_2)
	v_cmpx_gt_u32_e32 0x43800000, v3
	s_cbranch_execz .LBB47_4505
; %bb.4500:
	v_cmp_lt_u32_e32 vcc_lo, 0x3bffffff, v3
	s_mov_b32 s17, 0
                                        ; implicit-def: $vgpr3
	s_and_saveexec_b32 s18, vcc_lo
	s_delay_alu instid0(SALU_CYCLE_1)
	s_xor_b32 s18, exec_lo, s18
	s_cbranch_execnz .LBB47_5218
; %bb.4501:
	s_or_saveexec_b32 s18, s18
                                        ; implicit-def: $sgpr19
	s_delay_alu instid0(SALU_CYCLE_1)
	s_xor_b32 exec_lo, exec_lo, s18
	s_cbranch_execnz .LBB47_5219
.LBB47_4502:
	s_or_b32 exec_lo, exec_lo, s18
	v_mov_b32_e32 v4, s19
	s_and_saveexec_b32 s18, s17
.LBB47_4503:
	v_lshrrev_b32_e32 v4, 24, v33
	s_delay_alu instid0(VALU_DEP_1)
	v_and_or_b32 v4, 0x80, v4, v3
.LBB47_4504:
	s_or_b32 exec_lo, exec_lo, s18
.LBB47_4505:
	s_delay_alu instid0(SALU_CYCLE_1)
	s_or_b32 exec_lo, exec_lo, s16
	flat_store_b8 v[1:2], v4
.LBB47_4506:
	s_or_b32 exec_lo, exec_lo, s15
	s_delay_alu instid0(SALU_CYCLE_1)
	s_or_b32 s0, s0, exec_lo
.LBB47_4507:
	s_or_b32 exec_lo, exec_lo, s9
	s_delay_alu instid0(SALU_CYCLE_1)
	s_and_not1_b32 s9, s5, exec_lo
	s_and_b32 s14, s14, exec_lo
	s_and_b32 s0, s0, exec_lo
	s_or_b32 s9, s9, s14
                                        ; implicit-def: $vgpr3
                                        ; implicit-def: $vgpr33
                                        ; implicit-def: $vgpr1_vgpr2
.LBB47_4508:
	s_and_not1_saveexec_b32 s10, s10
	s_cbranch_execz .LBB47_4552
; %bb.4509:
	s_mov_b32 s15, s0
	s_mov_b32 s14, exec_lo
	v_cmpx_lt_i16_e32 22, v3
	s_xor_b32 s14, exec_lo, s14
	s_cbranch_execz .LBB47_4541
; %bb.4510:
	s_mov_b32 s15, exec_lo
	v_cmpx_lt_i16_e32 23, v3
	s_xor_b32 s15, exec_lo, s15
	s_cbranch_execz .LBB47_4530
; %bb.4511:
	;; [unrolled: 5-line block ×3, first 2 shown]
	v_and_b32_e32 v3, 0x7fffffff, v33
	v_mov_b32_e32 v4, 0x80
	s_mov_b32 s17, exec_lo
	s_delay_alu instid0(VALU_DEP_2)
	v_cmpx_gt_u32_e32 0x47800000, v3
	s_cbranch_execz .LBB47_4518
; %bb.4513:
	v_cmp_lt_u32_e32 vcc_lo, 0x37ffffff, v3
	s_mov_b32 s18, 0
                                        ; implicit-def: $vgpr3
	s_and_saveexec_b32 s19, vcc_lo
	s_delay_alu instid0(SALU_CYCLE_1)
	s_xor_b32 s19, exec_lo, s19
	s_cbranch_execnz .LBB47_5342
; %bb.4514:
	s_or_saveexec_b32 s19, s19
                                        ; implicit-def: $sgpr20
	s_delay_alu instid0(SALU_CYCLE_1)
	s_xor_b32 exec_lo, exec_lo, s19
	s_cbranch_execnz .LBB47_5343
.LBB47_4515:
	s_or_b32 exec_lo, exec_lo, s19
	v_mov_b32_e32 v4, s20
	s_and_saveexec_b32 s19, s18
.LBB47_4516:
	v_lshrrev_b32_e32 v4, 24, v33
	s_delay_alu instid0(VALU_DEP_1)
	v_and_or_b32 v4, 0x80, v4, v3
.LBB47_4517:
	s_or_b32 exec_lo, exec_lo, s19
.LBB47_4518:
	s_delay_alu instid0(SALU_CYCLE_1)
	s_or_b32 exec_lo, exec_lo, s17
	flat_store_b8 v[1:2], v4
                                        ; implicit-def: $vgpr33
                                        ; implicit-def: $vgpr1_vgpr2
.LBB47_4519:
	s_and_not1_saveexec_b32 s16, s16
	s_cbranch_execz .LBB47_4529
; %bb.4520:
	v_and_b32_e32 v4, 0x7fffffff, v33
	s_mov_b32 s17, exec_lo
                                        ; implicit-def: $vgpr3
	s_delay_alu instid0(VALU_DEP_1)
	v_cmpx_gt_u32_e32 0x43f00000, v4
	s_xor_b32 s17, exec_lo, s17
	s_cbranch_execz .LBB47_4526
; %bb.4521:
	s_mov_b32 s18, exec_lo
                                        ; implicit-def: $vgpr3
	v_cmpx_lt_u32_e32 0x3c7fffff, v4
	s_xor_b32 s18, exec_lo, s18
; %bb.4522:
	v_bfe_u32 v3, v33, 20, 1
	s_delay_alu instid0(VALU_DEP_1) | instskip(NEXT) | instid1(VALU_DEP_1)
	v_add3_u32 v3, v33, v3, 0x407ffff
	v_and_b32_e32 v4, 0xff00000, v3
	v_lshrrev_b32_e32 v3, 20, v3
	s_delay_alu instid0(VALU_DEP_2) | instskip(NEXT) | instid1(VALU_DEP_2)
	v_cmp_ne_u32_e32 vcc_lo, 0x7f00000, v4
	v_cndmask_b32_e32 v3, 0x7e, v3, vcc_lo
; %bb.4523:
	s_and_not1_saveexec_b32 s18, s18
; %bb.4524:
	v_add_f32_e64 v3, 0x46800000, |v33|
; %bb.4525:
	s_or_b32 exec_lo, exec_lo, s18
                                        ; implicit-def: $vgpr4
.LBB47_4526:
	s_and_not1_saveexec_b32 s17, s17
; %bb.4527:
	v_mov_b32_e32 v3, 0x7f
	v_cmp_lt_u32_e32 vcc_lo, 0x7f800000, v4
	s_delay_alu instid0(VALU_DEP_2)
	v_cndmask_b32_e32 v3, 0x7e, v3, vcc_lo
; %bb.4528:
	s_or_b32 exec_lo, exec_lo, s17
	v_lshrrev_b32_e32 v4, 24, v33
	s_delay_alu instid0(VALU_DEP_1)
	v_and_or_b32 v3, 0x80, v4, v3
	flat_store_b8 v[1:2], v3
.LBB47_4529:
	s_or_b32 exec_lo, exec_lo, s16
                                        ; implicit-def: $vgpr33
                                        ; implicit-def: $vgpr1_vgpr2
.LBB47_4530:
	s_and_not1_saveexec_b32 s15, s15
	s_cbranch_execz .LBB47_4540
; %bb.4531:
	v_and_b32_e32 v4, 0x7fffffff, v33
	s_mov_b32 s16, exec_lo
                                        ; implicit-def: $vgpr3
	s_delay_alu instid0(VALU_DEP_1)
	v_cmpx_gt_u32_e32 0x47800000, v4
	s_xor_b32 s16, exec_lo, s16
	s_cbranch_execz .LBB47_4537
; %bb.4532:
	s_mov_b32 s17, exec_lo
                                        ; implicit-def: $vgpr3
	v_cmpx_lt_u32_e32 0x387fffff, v4
	s_xor_b32 s17, exec_lo, s17
; %bb.4533:
	v_bfe_u32 v3, v33, 21, 1
	s_delay_alu instid0(VALU_DEP_1) | instskip(NEXT) | instid1(VALU_DEP_1)
	v_add3_u32 v3, v33, v3, 0x80fffff
	v_lshrrev_b32_e32 v3, 21, v3
; %bb.4534:
	s_and_not1_saveexec_b32 s17, s17
; %bb.4535:
	v_add_f32_e64 v3, 0x43000000, |v33|
; %bb.4536:
	s_or_b32 exec_lo, exec_lo, s17
                                        ; implicit-def: $vgpr4
.LBB47_4537:
	s_and_not1_saveexec_b32 s16, s16
; %bb.4538:
	v_mov_b32_e32 v3, 0x7f
	v_cmp_lt_u32_e32 vcc_lo, 0x7f800000, v4
	s_delay_alu instid0(VALU_DEP_2)
	v_cndmask_b32_e32 v3, 0x7c, v3, vcc_lo
; %bb.4539:
	s_or_b32 exec_lo, exec_lo, s16
	v_lshrrev_b32_e32 v4, 24, v33
	s_delay_alu instid0(VALU_DEP_1)
	v_and_or_b32 v3, 0x80, v4, v3
	flat_store_b8 v[1:2], v3
.LBB47_4540:
	s_or_b32 exec_lo, exec_lo, s15
	s_delay_alu instid0(SALU_CYCLE_1)
	s_or_b32 s15, s0, exec_lo
                                        ; implicit-def: $vgpr3
                                        ; implicit-def: $vgpr33
                                        ; implicit-def: $vgpr1_vgpr2
.LBB47_4541:
	s_or_saveexec_b32 s14, s14
	s_mov_b32 s16, s9
	s_xor_b32 exec_lo, exec_lo, s14
	s_cbranch_execz .LBB47_4551
; %bb.4542:
	s_mov_b32 s16, s15
	s_mov_b32 s17, s9
	s_mov_b32 s18, exec_lo
	v_cmpx_lt_i16_e32 14, v3
	s_xor_b32 s18, exec_lo, s18
	s_cbranch_execz .LBB47_4546
; %bb.4543:
	s_mov_b32 s19, -1
	s_mov_b32 s16, s15
	s_mov_b32 s17, exec_lo
	v_cmpx_eq_u16_e32 15, v3
	s_cbranch_execz .LBB47_4545
; %bb.4544:
	v_bfe_u32 v3, v33, 16, 1
	v_cmp_o_f32_e32 vcc_lo, v33, v33
	s_xor_b32 s19, exec_lo, -1
	s_or_b32 s16, s15, exec_lo
	s_delay_alu instid0(VALU_DEP_2) | instskip(NEXT) | instid1(VALU_DEP_1)
	v_add3_u32 v3, v33, v3, 0x7fff
	v_lshrrev_b32_e32 v3, 16, v3
	s_delay_alu instid0(VALU_DEP_1)
	v_cndmask_b32_e32 v3, 0x7fc0, v3, vcc_lo
	flat_store_b16 v[1:2], v3
.LBB47_4545:
	s_or_b32 exec_lo, exec_lo, s17
	s_delay_alu instid0(SALU_CYCLE_1)
	s_and_not1_b32 s17, s9, exec_lo
	s_and_b32 s19, s19, exec_lo
	s_and_not1_b32 s20, s15, exec_lo
	s_and_b32 s16, s16, exec_lo
	s_or_b32 s17, s17, s19
	s_or_b32 s16, s20, s16
                                        ; implicit-def: $vgpr3
                                        ; implicit-def: $vgpr33
                                        ; implicit-def: $vgpr1_vgpr2
.LBB47_4546:
	s_and_not1_saveexec_b32 s18, s18
	s_cbranch_execz .LBB47_4550
; %bb.4547:
	s_mov_b32 s20, -1
	s_mov_b32 s19, s16
	s_mov_b32 s21, exec_lo
	v_cmpx_eq_u16_e32 11, v3
	s_cbranch_execz .LBB47_4549
; %bb.4548:
	v_cmp_neq_f32_e32 vcc_lo, 0, v33
	s_xor_b32 s20, exec_lo, -1
	s_or_b32 s19, s16, exec_lo
	v_cndmask_b32_e64 v3, 0, 1, vcc_lo
	flat_store_b8 v[1:2], v3
.LBB47_4549:
	s_or_b32 exec_lo, exec_lo, s21
	s_delay_alu instid0(SALU_CYCLE_1)
	s_and_not1_b32 s17, s17, exec_lo
	s_and_b32 s20, s20, exec_lo
	s_and_not1_b32 s16, s16, exec_lo
	s_and_b32 s19, s19, exec_lo
	s_or_b32 s17, s17, s20
	s_or_b32 s16, s16, s19
.LBB47_4550:
	s_or_b32 exec_lo, exec_lo, s18
	s_delay_alu instid0(SALU_CYCLE_1)
	s_and_not1_b32 s18, s9, exec_lo
	s_and_b32 s17, s17, exec_lo
	s_and_not1_b32 s15, s15, exec_lo
	s_and_b32 s19, s16, exec_lo
	s_or_b32 s16, s18, s17
	s_or_b32 s15, s15, s19
.LBB47_4551:
	s_or_b32 exec_lo, exec_lo, s14
	s_delay_alu instid0(SALU_CYCLE_1)
	s_and_not1_b32 s9, s9, exec_lo
	s_and_b32 s14, s16, exec_lo
	s_and_not1_b32 s0, s0, exec_lo
	s_and_b32 s15, s15, exec_lo
	s_or_b32 s9, s9, s14
	s_or_b32 s0, s0, s15
.LBB47_4552:
	s_or_b32 exec_lo, exec_lo, s10
	s_delay_alu instid0(SALU_CYCLE_1)
	s_and_not1_b32 s10, s5, exec_lo
	s_and_b32 s9, s9, exec_lo
	s_and_b32 s0, s0, exec_lo
	s_or_b32 s9, s10, s9
                                        ; implicit-def: $vgpr3
                                        ; implicit-def: $vgpr33
                                        ; implicit-def: $vgpr1_vgpr2
	s_and_not1_saveexec_b32 s7, s7
	s_cbranch_execz .LBB47_3860
.LBB47_4553:
	s_mov_b32 s10, exec_lo
	v_cmpx_lt_i16_e32 4, v3
	s_xor_b32 s10, exec_lo, s10
	s_cbranch_execz .LBB47_4575
; %bb.4554:
	s_mov_b32 s14, exec_lo
	v_cmpx_lt_i16_e32 7, v3
	s_xor_b32 s14, exec_lo, s14
	s_cbranch_execz .LBB47_4564
; %bb.4555:
	s_mov_b32 s15, exec_lo
	v_cmpx_lt_i16_e32 8, v3
	s_xor_b32 s15, exec_lo, s15
	s_cbranch_execz .LBB47_4561
; %bb.4556:
	s_mov_b32 s16, exec_lo
	v_cmpx_lt_i16_e32 9, v3
	s_xor_b32 s16, exec_lo, s16
	s_cbranch_execz .LBB47_4558
; %bb.4557:
	v_cvt_f64_f32_e32 v[33:34], v33
	v_mov_b32_e32 v35, 0
	s_delay_alu instid0(VALU_DEP_1)
	v_mov_b32_e32 v36, v35
	flat_store_b128 v[1:2], v[33:36]
                                        ; implicit-def: $vgpr33
                                        ; implicit-def: $vgpr1_vgpr2
.LBB47_4558:
	s_and_not1_saveexec_b32 s16, s16
	s_cbranch_execz .LBB47_4560
; %bb.4559:
	v_mov_b32_e32 v34, 0
	flat_store_b64 v[1:2], v[33:34]
.LBB47_4560:
	s_or_b32 exec_lo, exec_lo, s16
                                        ; implicit-def: $vgpr33
                                        ; implicit-def: $vgpr1_vgpr2
.LBB47_4561:
	s_and_not1_saveexec_b32 s15, s15
	s_cbranch_execz .LBB47_4563
; %bb.4562:
	v_cvt_f16_f32_e32 v3, v33
	s_delay_alu instid0(VALU_DEP_1)
	v_and_b32_e32 v3, 0xffff, v3
	flat_store_b32 v[1:2], v3
.LBB47_4563:
	s_or_b32 exec_lo, exec_lo, s15
                                        ; implicit-def: $vgpr33
                                        ; implicit-def: $vgpr1_vgpr2
                                        ; implicit-def: $vgpr3
.LBB47_4564:
	s_and_not1_saveexec_b32 s14, s14
	s_cbranch_execz .LBB47_4574
; %bb.4565:
	s_mov_b32 s15, exec_lo
	v_cmpx_lt_i16_e32 5, v3
	s_xor_b32 s15, exec_lo, s15
	s_cbranch_execz .LBB47_4571
; %bb.4566:
	s_mov_b32 s16, exec_lo
	v_cmpx_lt_i16_e32 6, v3
	s_xor_b32 s16, exec_lo, s16
	s_cbranch_execz .LBB47_4568
; %bb.4567:
	v_cvt_f64_f32_e32 v[3:4], v33
                                        ; implicit-def: $vgpr33
	flat_store_b64 v[1:2], v[3:4]
                                        ; implicit-def: $vgpr1_vgpr2
.LBB47_4568:
	s_and_not1_saveexec_b32 s16, s16
	s_cbranch_execz .LBB47_4570
; %bb.4569:
	flat_store_b32 v[1:2], v33
.LBB47_4570:
	s_or_b32 exec_lo, exec_lo, s16
                                        ; implicit-def: $vgpr33
                                        ; implicit-def: $vgpr1_vgpr2
.LBB47_4571:
	s_and_not1_saveexec_b32 s15, s15
	s_cbranch_execz .LBB47_4573
; %bb.4572:
	v_cvt_f16_f32_e32 v3, v33
	flat_store_b16 v[1:2], v3
.LBB47_4573:
	s_or_b32 exec_lo, exec_lo, s15
.LBB47_4574:
	s_delay_alu instid0(SALU_CYCLE_1)
	s_or_b32 exec_lo, exec_lo, s14
                                        ; implicit-def: $vgpr3
                                        ; implicit-def: $vgpr33
                                        ; implicit-def: $vgpr1_vgpr2
.LBB47_4575:
	s_and_not1_saveexec_b32 s10, s10
	s_cbranch_execz .LBB47_4593
; %bb.4576:
	s_mov_b32 s14, exec_lo
	v_cmpx_lt_i16_e32 1, v3
	s_xor_b32 s14, exec_lo, s14
	s_cbranch_execz .LBB47_4586
; %bb.4577:
	s_mov_b32 s15, exec_lo
	v_cmpx_lt_i16_e32 2, v3
	s_xor_b32 s15, exec_lo, s15
	;; [unrolled: 5-line block ×3, first 2 shown]
	s_cbranch_execz .LBB47_4580
; %bb.4579:
	v_trunc_f32_e32 v3, v33
                                        ; implicit-def: $vgpr33
	s_delay_alu instid0(VALU_DEP_1) | instskip(SKIP_1) | instid1(VALU_DEP_2)
	v_mul_f32_e64 v4, 0x2f800000, |v3|
	v_ashrrev_i32_e32 v10, 31, v3
	v_floor_f32_e32 v4, v4
	s_delay_alu instid0(VALU_DEP_1) | instskip(SKIP_1) | instid1(VALU_DEP_2)
	v_fma_f32 v5, 0xcf800000, v4, |v3|
	v_cvt_u32_f32_e32 v4, v4
	v_cvt_u32_f32_e32 v3, v5
	s_delay_alu instid0(VALU_DEP_2) | instskip(NEXT) | instid1(VALU_DEP_2)
	v_xor_b32_e32 v4, v4, v10
	v_xor_b32_e32 v3, v3, v10
	s_delay_alu instid0(VALU_DEP_1) | instskip(NEXT) | instid1(VALU_DEP_3)
	v_sub_co_u32 v3, vcc_lo, v3, v10
	v_sub_co_ci_u32_e32 v4, vcc_lo, v4, v10, vcc_lo
	flat_store_b64 v[1:2], v[3:4]
                                        ; implicit-def: $vgpr1_vgpr2
.LBB47_4580:
	s_and_not1_saveexec_b32 s16, s16
	s_cbranch_execz .LBB47_4582
; %bb.4581:
	v_cvt_i32_f32_e32 v3, v33
	flat_store_b32 v[1:2], v3
.LBB47_4582:
	s_or_b32 exec_lo, exec_lo, s16
                                        ; implicit-def: $vgpr33
                                        ; implicit-def: $vgpr1_vgpr2
.LBB47_4583:
	s_and_not1_saveexec_b32 s15, s15
	s_cbranch_execz .LBB47_4585
; %bb.4584:
	v_cvt_i32_f32_e32 v3, v33
	flat_store_b16 v[1:2], v3
.LBB47_4585:
	s_or_b32 exec_lo, exec_lo, s15
                                        ; implicit-def: $vgpr33
                                        ; implicit-def: $vgpr1_vgpr2
                                        ; implicit-def: $vgpr3
.LBB47_4586:
	s_and_not1_saveexec_b32 s14, s14
	s_cbranch_execz .LBB47_4592
; %bb.4587:
	s_mov_b32 s15, exec_lo
	v_cmpx_lt_i16_e32 0, v3
	s_xor_b32 s15, exec_lo, s15
	s_cbranch_execz .LBB47_4589
; %bb.4588:
	v_cvt_i32_f32_e32 v3, v33
                                        ; implicit-def: $vgpr33
	flat_store_b8 v[1:2], v3
                                        ; implicit-def: $vgpr1_vgpr2
.LBB47_4589:
	s_and_not1_saveexec_b32 s15, s15
	s_cbranch_execz .LBB47_4591
; %bb.4590:
	v_trunc_f32_e32 v3, v33
	s_delay_alu instid0(VALU_DEP_1) | instskip(NEXT) | instid1(VALU_DEP_1)
	v_mul_f32_e64 v4, 0x2f800000, |v3|
	v_floor_f32_e32 v4, v4
	s_delay_alu instid0(VALU_DEP_1) | instskip(SKIP_1) | instid1(VALU_DEP_2)
	v_fma_f32 v4, 0xcf800000, v4, |v3|
	v_ashrrev_i32_e32 v3, 31, v3
	v_cvt_u32_f32_e32 v4, v4
	s_delay_alu instid0(VALU_DEP_1) | instskip(NEXT) | instid1(VALU_DEP_1)
	v_xor_b32_e32 v4, v4, v3
	v_sub_nc_u32_e32 v3, v4, v3
	flat_store_b8 v[1:2], v3
.LBB47_4591:
	s_or_b32 exec_lo, exec_lo, s15
.LBB47_4592:
	s_delay_alu instid0(SALU_CYCLE_1)
	s_or_b32 exec_lo, exec_lo, s14
.LBB47_4593:
	s_delay_alu instid0(SALU_CYCLE_1) | instskip(NEXT) | instid1(SALU_CYCLE_1)
	s_or_b32 exec_lo, exec_lo, s10
	s_or_b32 s0, s0, exec_lo
	s_or_b32 exec_lo, exec_lo, s7
	s_mov_b32 s10, 0
	s_and_saveexec_b32 s7, s0
	s_cbranch_execnz .LBB47_3861
	s_branch .LBB47_3862
.LBB47_4594:
	s_trap 2
	s_sendmsg_rtn_b32 s0, sendmsg(MSG_RTN_GET_DOORBELL)
	s_mov_b32 ttmp2, m0
	s_waitcnt lgkmcnt(0)
	s_and_b32 s0, s0, 0x3ff
	s_delay_alu instid0(SALU_CYCLE_1) | instskip(NEXT) | instid1(SALU_CYCLE_1)
	s_bitset1_b32 s0, 10
	s_mov_b32 m0, s0
	s_sendmsg sendmsg(MSG_INTERRUPT)
	s_mov_b32 m0, ttmp2
.LBB47_4595:                            ; =>This Inner Loop Header: Depth=1
	s_sethalt 5
	s_branch .LBB47_4595
.LBB47_4596:
	s_mov_b32 s14, s7
	s_mov_b32 s15, exec_lo
	v_cmpx_lt_i16_e32 25, v3
	s_xor_b32 s15, exec_lo, s15
	s_cbranch_execz .LBB47_4632
; %bb.4597:
	s_mov_b32 s16, s7
	s_mov_b32 s14, exec_lo
	v_cmpx_lt_i16_e32 28, v3
	s_xor_b32 s14, exec_lo, s14
	s_cbranch_execz .LBB47_4615
; %bb.4598:
	;; [unrolled: 6-line block ×3, first 2 shown]
	s_mov_b32 s17, 0
	s_mov_b32 s18, s7
	s_mov_b32 s0, exec_lo
	v_cmpx_lt_i16_e32 45, v3
	s_xor_b32 s0, exec_lo, s0
	s_cbranch_execz .LBB47_4603
; %bb.4600:
	s_mov_b32 s19, -1
	s_mov_b32 s18, exec_lo
	v_cmpx_eq_u16_e32 46, v3
	s_cbranch_execz .LBB47_4602
; %bb.4601:
	v_bfe_u32 v3, v32, 16, 1
	v_cmp_o_f32_e32 vcc_lo, v32, v32
	s_mov_b32 s17, exec_lo
	s_xor_b32 s19, exec_lo, -1
	s_delay_alu instid0(VALU_DEP_2) | instskip(NEXT) | instid1(VALU_DEP_1)
	v_add3_u32 v3, v32, v3, 0x7fff
	v_lshrrev_b32_e32 v3, 16, v3
	s_delay_alu instid0(VALU_DEP_1)
	v_cndmask_b32_e32 v3, 0x7fc0, v3, vcc_lo
	flat_store_b32 v[1:2], v3
.LBB47_4602:
	s_or_b32 exec_lo, exec_lo, s18
	s_delay_alu instid0(SALU_CYCLE_1)
	s_and_not1_b32 s18, s7, exec_lo
	s_and_b32 s19, s19, exec_lo
	s_and_b32 s17, s17, exec_lo
	s_or_b32 s18, s18, s19
                                        ; implicit-def: $vgpr3
                                        ; implicit-def: $vgpr1_vgpr2
                                        ; implicit-def: $vgpr32
.LBB47_4603:
	s_and_not1_saveexec_b32 s19, s0
	s_cbranch_execz .LBB47_4609
; %bb.4604:
	s_mov_b32 s21, -1
	s_mov_b32 s0, s17
	s_mov_b32 s20, exec_lo
	v_cmpx_eq_u16_e32 44, v3
	s_cbranch_execz .LBB47_4608
; %bb.4605:
	v_bfe_u32 v4, v32, 23, 8
	v_mov_b32_e32 v3, 0xff
	s_mov_b32 s21, exec_lo
	s_delay_alu instid0(VALU_DEP_2)
	v_cmpx_ne_u32_e32 0xff, v4
; %bb.4606:
	v_and_b32_e32 v3, 0x400000, v32
	v_and_or_b32 v4, 0x3fffff, v32, v4
	s_delay_alu instid0(VALU_DEP_2) | instskip(NEXT) | instid1(VALU_DEP_2)
	v_cmp_ne_u32_e32 vcc_lo, 0, v3
	v_cmp_ne_u32_e64 s0, 0, v4
	v_lshrrev_b32_e32 v3, 23, v32
	s_delay_alu instid0(VALU_DEP_2) | instskip(NEXT) | instid1(SALU_CYCLE_1)
	s_and_b32 s0, vcc_lo, s0
	v_cndmask_b32_e64 v4, 0, 1, s0
	s_delay_alu instid0(VALU_DEP_1)
	v_add_nc_u32_e32 v3, v3, v4
; %bb.4607:
	s_or_b32 exec_lo, exec_lo, s21
	s_delay_alu instid0(SALU_CYCLE_1)
	s_xor_b32 s21, exec_lo, -1
	s_or_b32 s0, s17, exec_lo
	flat_store_b8 v[1:2], v3
.LBB47_4608:
	s_or_b32 exec_lo, exec_lo, s20
	s_delay_alu instid0(SALU_CYCLE_1)
	s_and_not1_b32 s18, s18, exec_lo
	s_and_b32 s20, s21, exec_lo
	s_and_not1_b32 s17, s17, exec_lo
	s_and_b32 s0, s0, exec_lo
	s_or_b32 s18, s18, s20
	s_or_b32 s17, s17, s0
.LBB47_4609:
	s_or_b32 exec_lo, exec_lo, s19
	s_delay_alu instid0(SALU_CYCLE_1) | instskip(SKIP_1) | instid1(SALU_CYCLE_1)
	s_and_not1_b32 s0, s7, exec_lo
	s_and_b32 s18, s18, exec_lo
                                        ; implicit-def: $vgpr3
                                        ; implicit-def: $vgpr32
                                        ; implicit-def: $vgpr1_vgpr2
	s_or_b32 s18, s0, s18
	s_and_b32 s0, s17, exec_lo
.LBB47_4610:
	s_and_not1_saveexec_b32 s16, s16
	s_cbranch_execz .LBB47_4614
; %bb.4611:
	s_mov_b32 s20, -1
	s_mov_b32 s19, s0
	s_mov_b32 s17, exec_lo
	v_cmpx_eq_u16_e32 29, v3
	s_cbranch_execz .LBB47_4613
; %bb.4612:
	v_trunc_f32_e32 v3, v32
	s_xor_b32 s20, exec_lo, -1
	s_or_b32 s19, s0, exec_lo
	s_delay_alu instid0(VALU_DEP_1) | instskip(NEXT) | instid1(VALU_DEP_1)
	v_mul_f32_e32 v4, 0x2f800000, v3
	v_floor_f32_e32 v4, v4
	s_delay_alu instid0(VALU_DEP_1) | instskip(SKIP_1) | instid1(VALU_DEP_2)
	v_fmamk_f32 v3, v4, 0xcf800000, v3
	v_cvt_u32_f32_e32 v4, v4
	v_cvt_u32_f32_e32 v3, v3
	flat_store_b64 v[1:2], v[3:4]
.LBB47_4613:
	s_or_b32 exec_lo, exec_lo, s17
	s_delay_alu instid0(SALU_CYCLE_1)
	s_and_not1_b32 s17, s18, exec_lo
	s_and_b32 s18, s20, exec_lo
	s_and_not1_b32 s0, s0, exec_lo
	s_and_b32 s19, s19, exec_lo
	s_or_b32 s18, s17, s18
	s_or_b32 s0, s0, s19
.LBB47_4614:
	s_or_b32 exec_lo, exec_lo, s16
	s_delay_alu instid0(SALU_CYCLE_1)
	s_and_not1_b32 s16, s7, exec_lo
	s_and_b32 s17, s18, exec_lo
	s_and_b32 s0, s0, exec_lo
	s_or_b32 s16, s16, s17
                                        ; implicit-def: $vgpr1_vgpr2
                                        ; implicit-def: $vgpr3
                                        ; implicit-def: $vgpr32
.LBB47_4615:
	s_and_not1_saveexec_b32 s14, s14
	s_cbranch_execz .LBB47_4631
; %bb.4616:
	s_mov_b32 s17, exec_lo
	v_cmpx_lt_i16_e32 26, v3
	s_xor_b32 s17, exec_lo, s17
	s_cbranch_execz .LBB47_4622
; %bb.4617:
	v_cmp_lt_i16_e32 vcc_lo, 27, v3
	v_cvt_u32_f32_e32 v3, v32
	s_and_saveexec_b32 s18, vcc_lo
	s_delay_alu instid0(SALU_CYCLE_1)
	s_xor_b32 s18, exec_lo, s18
	s_cbranch_execz .LBB47_4619
; %bb.4618:
	flat_store_b32 v[1:2], v3
                                        ; implicit-def: $vgpr1_vgpr2
                                        ; implicit-def: $vgpr3
.LBB47_4619:
	s_and_not1_saveexec_b32 s18, s18
	s_cbranch_execz .LBB47_4621
; %bb.4620:
	flat_store_b16 v[1:2], v3
.LBB47_4621:
	s_or_b32 exec_lo, exec_lo, s18
                                        ; implicit-def: $vgpr1_vgpr2
                                        ; implicit-def: $vgpr32
.LBB47_4622:
	s_and_not1_saveexec_b32 s17, s17
	s_cbranch_execz .LBB47_4630
; %bb.4623:
	v_and_b32_e32 v3, 0x7fffffff, v32
	v_mov_b32_e32 v4, 0x80
	s_mov_b32 s18, exec_lo
	s_delay_alu instid0(VALU_DEP_2)
	v_cmpx_gt_u32_e32 0x43800000, v3
	s_cbranch_execz .LBB47_4629
; %bb.4624:
	v_cmp_lt_u32_e32 vcc_lo, 0x3bffffff, v3
	s_mov_b32 s19, 0
                                        ; implicit-def: $vgpr3
	s_and_saveexec_b32 s20, vcc_lo
	s_delay_alu instid0(SALU_CYCLE_1)
	s_xor_b32 s20, exec_lo, s20
	s_cbranch_execnz .LBB47_5344
; %bb.4625:
	s_or_saveexec_b32 s20, s20
                                        ; implicit-def: $sgpr21
	s_delay_alu instid0(SALU_CYCLE_1)
	s_xor_b32 exec_lo, exec_lo, s20
	s_cbranch_execnz .LBB47_5345
.LBB47_4626:
	s_or_b32 exec_lo, exec_lo, s20
	v_mov_b32_e32 v4, s21
	s_and_saveexec_b32 s20, s19
.LBB47_4627:
	v_lshrrev_b32_e32 v4, 24, v32
	s_delay_alu instid0(VALU_DEP_1)
	v_and_or_b32 v4, 0x80, v4, v3
.LBB47_4628:
	s_or_b32 exec_lo, exec_lo, s20
.LBB47_4629:
	s_delay_alu instid0(SALU_CYCLE_1)
	s_or_b32 exec_lo, exec_lo, s18
	flat_store_b8 v[1:2], v4
.LBB47_4630:
	s_or_b32 exec_lo, exec_lo, s17
	s_delay_alu instid0(SALU_CYCLE_1)
	s_or_b32 s0, s0, exec_lo
.LBB47_4631:
	s_or_b32 exec_lo, exec_lo, s14
	s_delay_alu instid0(SALU_CYCLE_1)
	s_and_not1_b32 s14, s7, exec_lo
	s_and_b32 s16, s16, exec_lo
	s_and_b32 s0, s0, exec_lo
	s_or_b32 s14, s14, s16
                                        ; implicit-def: $vgpr3
                                        ; implicit-def: $vgpr32
                                        ; implicit-def: $vgpr1_vgpr2
.LBB47_4632:
	s_and_not1_saveexec_b32 s15, s15
	s_cbranch_execz .LBB47_4676
; %bb.4633:
	s_mov_b32 s17, s0
	s_mov_b32 s16, exec_lo
	v_cmpx_lt_i16_e32 22, v3
	s_xor_b32 s16, exec_lo, s16
	s_cbranch_execz .LBB47_4665
; %bb.4634:
	s_mov_b32 s17, exec_lo
	v_cmpx_lt_i16_e32 23, v3
	s_xor_b32 s17, exec_lo, s17
	s_cbranch_execz .LBB47_4654
; %bb.4635:
	;; [unrolled: 5-line block ×3, first 2 shown]
	v_and_b32_e32 v3, 0x7fffffff, v32
	v_mov_b32_e32 v4, 0x80
	s_mov_b32 s19, exec_lo
	s_delay_alu instid0(VALU_DEP_2)
	v_cmpx_gt_u32_e32 0x47800000, v3
	s_cbranch_execz .LBB47_4642
; %bb.4637:
	v_cmp_lt_u32_e32 vcc_lo, 0x37ffffff, v3
	s_mov_b32 s20, 0
                                        ; implicit-def: $vgpr3
	s_and_saveexec_b32 s21, vcc_lo
	s_delay_alu instid0(SALU_CYCLE_1)
	s_xor_b32 s21, exec_lo, s21
	s_cbranch_execnz .LBB47_5468
; %bb.4638:
	s_or_saveexec_b32 s21, s21
                                        ; implicit-def: $sgpr22
	s_delay_alu instid0(SALU_CYCLE_1)
	s_xor_b32 exec_lo, exec_lo, s21
	s_cbranch_execnz .LBB47_5469
.LBB47_4639:
	s_or_b32 exec_lo, exec_lo, s21
	v_mov_b32_e32 v4, s22
	s_and_saveexec_b32 s21, s20
.LBB47_4640:
	v_lshrrev_b32_e32 v4, 24, v32
	s_delay_alu instid0(VALU_DEP_1)
	v_and_or_b32 v4, 0x80, v4, v3
.LBB47_4641:
	s_or_b32 exec_lo, exec_lo, s21
.LBB47_4642:
	s_delay_alu instid0(SALU_CYCLE_1)
	s_or_b32 exec_lo, exec_lo, s19
	flat_store_b8 v[1:2], v4
                                        ; implicit-def: $vgpr32
                                        ; implicit-def: $vgpr1_vgpr2
.LBB47_4643:
	s_and_not1_saveexec_b32 s18, s18
	s_cbranch_execz .LBB47_4653
; %bb.4644:
	v_and_b32_e32 v4, 0x7fffffff, v32
	s_mov_b32 s19, exec_lo
                                        ; implicit-def: $vgpr3
	s_delay_alu instid0(VALU_DEP_1)
	v_cmpx_gt_u32_e32 0x43f00000, v4
	s_xor_b32 s19, exec_lo, s19
	s_cbranch_execz .LBB47_4650
; %bb.4645:
	s_mov_b32 s20, exec_lo
                                        ; implicit-def: $vgpr3
	v_cmpx_lt_u32_e32 0x3c7fffff, v4
	s_xor_b32 s20, exec_lo, s20
; %bb.4646:
	v_bfe_u32 v3, v32, 20, 1
	s_delay_alu instid0(VALU_DEP_1) | instskip(NEXT) | instid1(VALU_DEP_1)
	v_add3_u32 v3, v32, v3, 0x407ffff
	v_and_b32_e32 v4, 0xff00000, v3
	v_lshrrev_b32_e32 v3, 20, v3
	s_delay_alu instid0(VALU_DEP_2) | instskip(NEXT) | instid1(VALU_DEP_2)
	v_cmp_ne_u32_e32 vcc_lo, 0x7f00000, v4
	v_cndmask_b32_e32 v3, 0x7e, v3, vcc_lo
; %bb.4647:
	s_and_not1_saveexec_b32 s20, s20
; %bb.4648:
	v_add_f32_e64 v3, 0x46800000, |v32|
; %bb.4649:
	s_or_b32 exec_lo, exec_lo, s20
                                        ; implicit-def: $vgpr4
.LBB47_4650:
	s_and_not1_saveexec_b32 s19, s19
; %bb.4651:
	v_mov_b32_e32 v3, 0x7f
	v_cmp_lt_u32_e32 vcc_lo, 0x7f800000, v4
	s_delay_alu instid0(VALU_DEP_2)
	v_cndmask_b32_e32 v3, 0x7e, v3, vcc_lo
; %bb.4652:
	s_or_b32 exec_lo, exec_lo, s19
	v_lshrrev_b32_e32 v4, 24, v32
	s_delay_alu instid0(VALU_DEP_1)
	v_and_or_b32 v3, 0x80, v4, v3
	flat_store_b8 v[1:2], v3
.LBB47_4653:
	s_or_b32 exec_lo, exec_lo, s18
                                        ; implicit-def: $vgpr32
                                        ; implicit-def: $vgpr1_vgpr2
.LBB47_4654:
	s_and_not1_saveexec_b32 s17, s17
	s_cbranch_execz .LBB47_4664
; %bb.4655:
	v_and_b32_e32 v4, 0x7fffffff, v32
	s_mov_b32 s18, exec_lo
                                        ; implicit-def: $vgpr3
	s_delay_alu instid0(VALU_DEP_1)
	v_cmpx_gt_u32_e32 0x47800000, v4
	s_xor_b32 s18, exec_lo, s18
	s_cbranch_execz .LBB47_4661
; %bb.4656:
	s_mov_b32 s19, exec_lo
                                        ; implicit-def: $vgpr3
	v_cmpx_lt_u32_e32 0x387fffff, v4
	s_xor_b32 s19, exec_lo, s19
; %bb.4657:
	v_bfe_u32 v3, v32, 21, 1
	s_delay_alu instid0(VALU_DEP_1) | instskip(NEXT) | instid1(VALU_DEP_1)
	v_add3_u32 v3, v32, v3, 0x80fffff
	v_lshrrev_b32_e32 v3, 21, v3
; %bb.4658:
	s_and_not1_saveexec_b32 s19, s19
; %bb.4659:
	v_add_f32_e64 v3, 0x43000000, |v32|
; %bb.4660:
	s_or_b32 exec_lo, exec_lo, s19
                                        ; implicit-def: $vgpr4
.LBB47_4661:
	s_and_not1_saveexec_b32 s18, s18
; %bb.4662:
	v_mov_b32_e32 v3, 0x7f
	v_cmp_lt_u32_e32 vcc_lo, 0x7f800000, v4
	s_delay_alu instid0(VALU_DEP_2)
	v_cndmask_b32_e32 v3, 0x7c, v3, vcc_lo
; %bb.4663:
	s_or_b32 exec_lo, exec_lo, s18
	v_lshrrev_b32_e32 v4, 24, v32
	s_delay_alu instid0(VALU_DEP_1)
	v_and_or_b32 v3, 0x80, v4, v3
	flat_store_b8 v[1:2], v3
.LBB47_4664:
	s_or_b32 exec_lo, exec_lo, s17
	s_delay_alu instid0(SALU_CYCLE_1)
	s_or_b32 s17, s0, exec_lo
                                        ; implicit-def: $vgpr3
                                        ; implicit-def: $vgpr32
                                        ; implicit-def: $vgpr1_vgpr2
.LBB47_4665:
	s_or_saveexec_b32 s16, s16
	s_mov_b32 s18, s14
	s_xor_b32 exec_lo, exec_lo, s16
	s_cbranch_execz .LBB47_4675
; %bb.4666:
	s_mov_b32 s18, s17
	s_mov_b32 s19, s14
	s_mov_b32 s20, exec_lo
	v_cmpx_lt_i16_e32 14, v3
	s_xor_b32 s20, exec_lo, s20
	s_cbranch_execz .LBB47_4670
; %bb.4667:
	s_mov_b32 s21, -1
	s_mov_b32 s18, s17
	s_mov_b32 s19, exec_lo
	v_cmpx_eq_u16_e32 15, v3
	s_cbranch_execz .LBB47_4669
; %bb.4668:
	v_bfe_u32 v3, v32, 16, 1
	v_cmp_o_f32_e32 vcc_lo, v32, v32
	s_xor_b32 s21, exec_lo, -1
	s_or_b32 s18, s17, exec_lo
	s_delay_alu instid0(VALU_DEP_2) | instskip(NEXT) | instid1(VALU_DEP_1)
	v_add3_u32 v3, v32, v3, 0x7fff
	v_lshrrev_b32_e32 v3, 16, v3
	s_delay_alu instid0(VALU_DEP_1)
	v_cndmask_b32_e32 v3, 0x7fc0, v3, vcc_lo
	flat_store_b16 v[1:2], v3
.LBB47_4669:
	s_or_b32 exec_lo, exec_lo, s19
	s_delay_alu instid0(SALU_CYCLE_1)
	s_and_not1_b32 s19, s14, exec_lo
	s_and_b32 s21, s21, exec_lo
	s_and_not1_b32 s22, s17, exec_lo
	s_and_b32 s18, s18, exec_lo
	s_or_b32 s19, s19, s21
	s_or_b32 s18, s22, s18
                                        ; implicit-def: $vgpr3
                                        ; implicit-def: $vgpr32
                                        ; implicit-def: $vgpr1_vgpr2
.LBB47_4670:
	s_and_not1_saveexec_b32 s20, s20
	s_cbranch_execz .LBB47_4674
; %bb.4671:
	s_mov_b32 s22, -1
	s_mov_b32 s21, s18
	s_mov_b32 s23, exec_lo
	v_cmpx_eq_u16_e32 11, v3
	s_cbranch_execz .LBB47_4673
; %bb.4672:
	v_cmp_neq_f32_e32 vcc_lo, 0, v32
	s_xor_b32 s22, exec_lo, -1
	s_or_b32 s21, s18, exec_lo
	v_cndmask_b32_e64 v3, 0, 1, vcc_lo
	flat_store_b8 v[1:2], v3
.LBB47_4673:
	s_or_b32 exec_lo, exec_lo, s23
	s_delay_alu instid0(SALU_CYCLE_1)
	s_and_not1_b32 s19, s19, exec_lo
	s_and_b32 s22, s22, exec_lo
	s_and_not1_b32 s18, s18, exec_lo
	s_and_b32 s21, s21, exec_lo
	s_or_b32 s19, s19, s22
	s_or_b32 s18, s18, s21
.LBB47_4674:
	s_or_b32 exec_lo, exec_lo, s20
	s_delay_alu instid0(SALU_CYCLE_1)
	s_and_not1_b32 s20, s14, exec_lo
	s_and_b32 s19, s19, exec_lo
	s_and_not1_b32 s17, s17, exec_lo
	s_and_b32 s21, s18, exec_lo
	s_or_b32 s18, s20, s19
	s_or_b32 s17, s17, s21
.LBB47_4675:
	s_or_b32 exec_lo, exec_lo, s16
	s_delay_alu instid0(SALU_CYCLE_1)
	s_and_not1_b32 s14, s14, exec_lo
	s_and_b32 s16, s18, exec_lo
	s_and_not1_b32 s0, s0, exec_lo
	s_and_b32 s17, s17, exec_lo
	s_or_b32 s14, s14, s16
	s_or_b32 s0, s0, s17
.LBB47_4676:
	s_or_b32 exec_lo, exec_lo, s15
	s_delay_alu instid0(SALU_CYCLE_1)
	s_and_not1_b32 s15, s7, exec_lo
	s_and_b32 s14, s14, exec_lo
	s_and_b32 s0, s0, exec_lo
	s_or_b32 s14, s15, s14
                                        ; implicit-def: $vgpr3
                                        ; implicit-def: $vgpr32
                                        ; implicit-def: $vgpr1_vgpr2
	s_and_not1_saveexec_b32 s9, s9
	s_cbranch_execz .LBB47_3867
.LBB47_4677:
	s_mov_b32 s15, exec_lo
	v_cmpx_lt_i16_e32 4, v3
	s_xor_b32 s15, exec_lo, s15
	s_cbranch_execz .LBB47_4699
; %bb.4678:
	s_mov_b32 s16, exec_lo
	v_cmpx_lt_i16_e32 7, v3
	s_xor_b32 s16, exec_lo, s16
	s_cbranch_execz .LBB47_4688
; %bb.4679:
	;; [unrolled: 5-line block ×4, first 2 shown]
	v_cvt_f64_f32_e32 v[32:33], v32
	v_mov_b32_e32 v34, 0
	s_delay_alu instid0(VALU_DEP_1)
	v_mov_b32_e32 v35, v34
	flat_store_b128 v[1:2], v[32:35]
                                        ; implicit-def: $vgpr32
                                        ; implicit-def: $vgpr1_vgpr2
.LBB47_4682:
	s_and_not1_saveexec_b32 s18, s18
	s_cbranch_execz .LBB47_4684
; %bb.4683:
	v_mov_b32_e32 v33, 0
	flat_store_b64 v[1:2], v[32:33]
.LBB47_4684:
	s_or_b32 exec_lo, exec_lo, s18
                                        ; implicit-def: $vgpr32
                                        ; implicit-def: $vgpr1_vgpr2
.LBB47_4685:
	s_and_not1_saveexec_b32 s17, s17
	s_cbranch_execz .LBB47_4687
; %bb.4686:
	v_cvt_f16_f32_e32 v3, v32
	s_delay_alu instid0(VALU_DEP_1)
	v_and_b32_e32 v3, 0xffff, v3
	flat_store_b32 v[1:2], v3
.LBB47_4687:
	s_or_b32 exec_lo, exec_lo, s17
                                        ; implicit-def: $vgpr32
                                        ; implicit-def: $vgpr1_vgpr2
                                        ; implicit-def: $vgpr3
.LBB47_4688:
	s_and_not1_saveexec_b32 s16, s16
	s_cbranch_execz .LBB47_4698
; %bb.4689:
	s_mov_b32 s17, exec_lo
	v_cmpx_lt_i16_e32 5, v3
	s_xor_b32 s17, exec_lo, s17
	s_cbranch_execz .LBB47_4695
; %bb.4690:
	s_mov_b32 s18, exec_lo
	v_cmpx_lt_i16_e32 6, v3
	s_xor_b32 s18, exec_lo, s18
	s_cbranch_execz .LBB47_4692
; %bb.4691:
	v_cvt_f64_f32_e32 v[3:4], v32
                                        ; implicit-def: $vgpr32
	flat_store_b64 v[1:2], v[3:4]
                                        ; implicit-def: $vgpr1_vgpr2
.LBB47_4692:
	s_and_not1_saveexec_b32 s18, s18
	s_cbranch_execz .LBB47_4694
; %bb.4693:
	flat_store_b32 v[1:2], v32
.LBB47_4694:
	s_or_b32 exec_lo, exec_lo, s18
                                        ; implicit-def: $vgpr32
                                        ; implicit-def: $vgpr1_vgpr2
.LBB47_4695:
	s_and_not1_saveexec_b32 s17, s17
	s_cbranch_execz .LBB47_4697
; %bb.4696:
	v_cvt_f16_f32_e32 v3, v32
	flat_store_b16 v[1:2], v3
.LBB47_4697:
	s_or_b32 exec_lo, exec_lo, s17
.LBB47_4698:
	s_delay_alu instid0(SALU_CYCLE_1)
	s_or_b32 exec_lo, exec_lo, s16
                                        ; implicit-def: $vgpr3
                                        ; implicit-def: $vgpr32
                                        ; implicit-def: $vgpr1_vgpr2
.LBB47_4699:
	s_and_not1_saveexec_b32 s15, s15
	s_cbranch_execz .LBB47_4717
; %bb.4700:
	s_mov_b32 s16, exec_lo
	v_cmpx_lt_i16_e32 1, v3
	s_xor_b32 s16, exec_lo, s16
	s_cbranch_execz .LBB47_4710
; %bb.4701:
	s_mov_b32 s17, exec_lo
	v_cmpx_lt_i16_e32 2, v3
	s_xor_b32 s17, exec_lo, s17
	;; [unrolled: 5-line block ×3, first 2 shown]
	s_cbranch_execz .LBB47_4704
; %bb.4703:
	v_trunc_f32_e32 v3, v32
                                        ; implicit-def: $vgpr32
	s_delay_alu instid0(VALU_DEP_1) | instskip(SKIP_1) | instid1(VALU_DEP_2)
	v_mul_f32_e64 v4, 0x2f800000, |v3|
	v_ashrrev_i32_e32 v10, 31, v3
	v_floor_f32_e32 v4, v4
	s_delay_alu instid0(VALU_DEP_1) | instskip(SKIP_1) | instid1(VALU_DEP_2)
	v_fma_f32 v5, 0xcf800000, v4, |v3|
	v_cvt_u32_f32_e32 v4, v4
	v_cvt_u32_f32_e32 v3, v5
	s_delay_alu instid0(VALU_DEP_2) | instskip(NEXT) | instid1(VALU_DEP_2)
	v_xor_b32_e32 v4, v4, v10
	v_xor_b32_e32 v3, v3, v10
	s_delay_alu instid0(VALU_DEP_1) | instskip(NEXT) | instid1(VALU_DEP_3)
	v_sub_co_u32 v3, vcc_lo, v3, v10
	v_sub_co_ci_u32_e32 v4, vcc_lo, v4, v10, vcc_lo
	flat_store_b64 v[1:2], v[3:4]
                                        ; implicit-def: $vgpr1_vgpr2
.LBB47_4704:
	s_and_not1_saveexec_b32 s18, s18
	s_cbranch_execz .LBB47_4706
; %bb.4705:
	v_cvt_i32_f32_e32 v3, v32
	flat_store_b32 v[1:2], v3
.LBB47_4706:
	s_or_b32 exec_lo, exec_lo, s18
                                        ; implicit-def: $vgpr32
                                        ; implicit-def: $vgpr1_vgpr2
.LBB47_4707:
	s_and_not1_saveexec_b32 s17, s17
	s_cbranch_execz .LBB47_4709
; %bb.4708:
	v_cvt_i32_f32_e32 v3, v32
	flat_store_b16 v[1:2], v3
.LBB47_4709:
	s_or_b32 exec_lo, exec_lo, s17
                                        ; implicit-def: $vgpr32
                                        ; implicit-def: $vgpr1_vgpr2
                                        ; implicit-def: $vgpr3
.LBB47_4710:
	s_and_not1_saveexec_b32 s16, s16
	s_cbranch_execz .LBB47_4716
; %bb.4711:
	s_mov_b32 s17, exec_lo
	v_cmpx_lt_i16_e32 0, v3
	s_xor_b32 s17, exec_lo, s17
	s_cbranch_execz .LBB47_4713
; %bb.4712:
	v_cvt_i32_f32_e32 v3, v32
                                        ; implicit-def: $vgpr32
	flat_store_b8 v[1:2], v3
                                        ; implicit-def: $vgpr1_vgpr2
.LBB47_4713:
	s_and_not1_saveexec_b32 s17, s17
	s_cbranch_execz .LBB47_4715
; %bb.4714:
	v_trunc_f32_e32 v3, v32
	s_delay_alu instid0(VALU_DEP_1) | instskip(NEXT) | instid1(VALU_DEP_1)
	v_mul_f32_e64 v4, 0x2f800000, |v3|
	v_floor_f32_e32 v4, v4
	s_delay_alu instid0(VALU_DEP_1) | instskip(SKIP_1) | instid1(VALU_DEP_2)
	v_fma_f32 v4, 0xcf800000, v4, |v3|
	v_ashrrev_i32_e32 v3, 31, v3
	v_cvt_u32_f32_e32 v4, v4
	s_delay_alu instid0(VALU_DEP_1) | instskip(NEXT) | instid1(VALU_DEP_1)
	v_xor_b32_e32 v4, v4, v3
	v_sub_nc_u32_e32 v3, v4, v3
	flat_store_b8 v[1:2], v3
.LBB47_4715:
	s_or_b32 exec_lo, exec_lo, s17
.LBB47_4716:
	s_delay_alu instid0(SALU_CYCLE_1)
	s_or_b32 exec_lo, exec_lo, s16
.LBB47_4717:
	s_delay_alu instid0(SALU_CYCLE_1) | instskip(NEXT) | instid1(SALU_CYCLE_1)
	s_or_b32 exec_lo, exec_lo, s15
	s_or_b32 s0, s0, exec_lo
	s_or_b32 exec_lo, exec_lo, s9
	s_mov_b32 s15, 0
	s_and_saveexec_b32 s9, s0
	s_cbranch_execnz .LBB47_3868
	s_branch .LBB47_3869
.LBB47_4718:
	v_bfe_u32 v3, v36, 20, 1
	s_mov_b32 s9, exec_lo
	s_delay_alu instid0(VALU_DEP_1) | instskip(NEXT) | instid1(VALU_DEP_1)
	v_add3_u32 v3, v36, v3, 0x487ffff
	v_lshrrev_b32_e32 v3, 20, v3
	s_or_saveexec_b32 s10, s10
                                        ; implicit-def: $sgpr14
	s_delay_alu instid0(SALU_CYCLE_1)
	s_xor_b32 exec_lo, exec_lo, s10
	s_cbranch_execz .LBB47_3748
.LBB47_4719:
	v_add_f32_e64 v3, 0x46000000, |v36|
	s_and_not1_b32 s9, s9, exec_lo
	s_mov_b32 s14, 0
	s_delay_alu instid0(VALU_DEP_1) | instskip(NEXT) | instid1(VALU_DEP_1)
	v_and_b32_e32 v3, 0xff, v3
	v_cmp_ne_u32_e32 vcc_lo, 0, v3
	s_and_b32 s15, vcc_lo, exec_lo
	s_delay_alu instid0(SALU_CYCLE_1)
	s_or_b32 s9, s9, s15
	s_or_b32 exec_lo, exec_lo, s10
	v_mov_b32_e32 v4, s14
	s_and_saveexec_b32 s10, s9
	s_cbranch_execnz .LBB47_3749
	s_branch .LBB47_3750
.LBB47_4720:
	s_mov_b32 s16, s9
	s_mov_b32 s17, exec_lo
	v_cmpx_lt_i16_e32 25, v3
	s_xor_b32 s17, exec_lo, s17
	s_cbranch_execz .LBB47_4756
; %bb.4721:
	s_mov_b32 s18, s9
	s_mov_b32 s16, exec_lo
	v_cmpx_lt_i16_e32 28, v3
	s_xor_b32 s16, exec_lo, s16
	s_cbranch_execz .LBB47_4739
; %bb.4722:
	;; [unrolled: 6-line block ×3, first 2 shown]
	s_mov_b32 s19, 0
	s_mov_b32 s20, s9
	s_mov_b32 s0, exec_lo
	v_cmpx_lt_i16_e32 45, v3
	s_xor_b32 s0, exec_lo, s0
	s_cbranch_execz .LBB47_4727
; %bb.4724:
	s_mov_b32 s21, -1
	s_mov_b32 s20, exec_lo
	v_cmpx_eq_u16_e32 46, v3
	s_cbranch_execz .LBB47_4726
; %bb.4725:
	v_bfe_u32 v3, v31, 16, 1
	v_cmp_o_f32_e32 vcc_lo, v31, v31
	s_mov_b32 s19, exec_lo
	s_xor_b32 s21, exec_lo, -1
	s_delay_alu instid0(VALU_DEP_2) | instskip(NEXT) | instid1(VALU_DEP_1)
	v_add3_u32 v3, v31, v3, 0x7fff
	v_lshrrev_b32_e32 v3, 16, v3
	s_delay_alu instid0(VALU_DEP_1)
	v_cndmask_b32_e32 v3, 0x7fc0, v3, vcc_lo
	flat_store_b32 v[1:2], v3
.LBB47_4726:
	s_or_b32 exec_lo, exec_lo, s20
	s_delay_alu instid0(SALU_CYCLE_1)
	s_and_not1_b32 s20, s9, exec_lo
	s_and_b32 s21, s21, exec_lo
	s_and_b32 s19, s19, exec_lo
	s_or_b32 s20, s20, s21
                                        ; implicit-def: $vgpr3
                                        ; implicit-def: $vgpr1_vgpr2
                                        ; implicit-def: $vgpr31
.LBB47_4727:
	s_and_not1_saveexec_b32 s21, s0
	s_cbranch_execz .LBB47_4733
; %bb.4728:
	s_mov_b32 s23, -1
	s_mov_b32 s0, s19
	s_mov_b32 s22, exec_lo
	v_cmpx_eq_u16_e32 44, v3
	s_cbranch_execz .LBB47_4732
; %bb.4729:
	v_bfe_u32 v4, v31, 23, 8
	v_mov_b32_e32 v3, 0xff
	s_mov_b32 s23, exec_lo
	s_delay_alu instid0(VALU_DEP_2)
	v_cmpx_ne_u32_e32 0xff, v4
; %bb.4730:
	v_and_b32_e32 v3, 0x400000, v31
	v_and_or_b32 v4, 0x3fffff, v31, v4
	s_delay_alu instid0(VALU_DEP_2) | instskip(NEXT) | instid1(VALU_DEP_2)
	v_cmp_ne_u32_e32 vcc_lo, 0, v3
	v_cmp_ne_u32_e64 s0, 0, v4
	v_lshrrev_b32_e32 v3, 23, v31
	s_delay_alu instid0(VALU_DEP_2) | instskip(NEXT) | instid1(SALU_CYCLE_1)
	s_and_b32 s0, vcc_lo, s0
	v_cndmask_b32_e64 v4, 0, 1, s0
	s_delay_alu instid0(VALU_DEP_1)
	v_add_nc_u32_e32 v3, v3, v4
; %bb.4731:
	s_or_b32 exec_lo, exec_lo, s23
	s_delay_alu instid0(SALU_CYCLE_1)
	s_xor_b32 s23, exec_lo, -1
	s_or_b32 s0, s19, exec_lo
	flat_store_b8 v[1:2], v3
.LBB47_4732:
	s_or_b32 exec_lo, exec_lo, s22
	s_delay_alu instid0(SALU_CYCLE_1)
	s_and_not1_b32 s20, s20, exec_lo
	s_and_b32 s22, s23, exec_lo
	s_and_not1_b32 s19, s19, exec_lo
	s_and_b32 s0, s0, exec_lo
	s_or_b32 s20, s20, s22
	s_or_b32 s19, s19, s0
.LBB47_4733:
	s_or_b32 exec_lo, exec_lo, s21
	s_delay_alu instid0(SALU_CYCLE_1) | instskip(SKIP_1) | instid1(SALU_CYCLE_1)
	s_and_not1_b32 s0, s9, exec_lo
	s_and_b32 s20, s20, exec_lo
                                        ; implicit-def: $vgpr3
                                        ; implicit-def: $vgpr31
                                        ; implicit-def: $vgpr1_vgpr2
	s_or_b32 s20, s0, s20
	s_and_b32 s0, s19, exec_lo
.LBB47_4734:
	s_and_not1_saveexec_b32 s18, s18
	s_cbranch_execz .LBB47_4738
; %bb.4735:
	s_mov_b32 s22, -1
	s_mov_b32 s21, s0
	s_mov_b32 s19, exec_lo
	v_cmpx_eq_u16_e32 29, v3
	s_cbranch_execz .LBB47_4737
; %bb.4736:
	v_trunc_f32_e32 v3, v31
	s_xor_b32 s22, exec_lo, -1
	s_or_b32 s21, s0, exec_lo
	s_delay_alu instid0(VALU_DEP_1) | instskip(NEXT) | instid1(VALU_DEP_1)
	v_mul_f32_e32 v4, 0x2f800000, v3
	v_floor_f32_e32 v4, v4
	s_delay_alu instid0(VALU_DEP_1) | instskip(SKIP_1) | instid1(VALU_DEP_2)
	v_fmamk_f32 v3, v4, 0xcf800000, v3
	v_cvt_u32_f32_e32 v4, v4
	v_cvt_u32_f32_e32 v3, v3
	flat_store_b64 v[1:2], v[3:4]
.LBB47_4737:
	s_or_b32 exec_lo, exec_lo, s19
	s_delay_alu instid0(SALU_CYCLE_1)
	s_and_not1_b32 s19, s20, exec_lo
	s_and_b32 s20, s22, exec_lo
	s_and_not1_b32 s0, s0, exec_lo
	s_and_b32 s21, s21, exec_lo
	s_or_b32 s20, s19, s20
	s_or_b32 s0, s0, s21
.LBB47_4738:
	s_or_b32 exec_lo, exec_lo, s18
	s_delay_alu instid0(SALU_CYCLE_1)
	s_and_not1_b32 s18, s9, exec_lo
	s_and_b32 s19, s20, exec_lo
	s_and_b32 s0, s0, exec_lo
	s_or_b32 s18, s18, s19
                                        ; implicit-def: $vgpr1_vgpr2
                                        ; implicit-def: $vgpr3
                                        ; implicit-def: $vgpr31
.LBB47_4739:
	s_and_not1_saveexec_b32 s16, s16
	s_cbranch_execz .LBB47_4755
; %bb.4740:
	s_mov_b32 s19, exec_lo
	v_cmpx_lt_i16_e32 26, v3
	s_xor_b32 s19, exec_lo, s19
	s_cbranch_execz .LBB47_4746
; %bb.4741:
	v_cmp_lt_i16_e32 vcc_lo, 27, v3
	v_cvt_u32_f32_e32 v3, v31
	s_and_saveexec_b32 s20, vcc_lo
	s_delay_alu instid0(SALU_CYCLE_1)
	s_xor_b32 s20, exec_lo, s20
	s_cbranch_execz .LBB47_4743
; %bb.4742:
	flat_store_b32 v[1:2], v3
                                        ; implicit-def: $vgpr1_vgpr2
                                        ; implicit-def: $vgpr3
.LBB47_4743:
	s_and_not1_saveexec_b32 s20, s20
	s_cbranch_execz .LBB47_4745
; %bb.4744:
	flat_store_b16 v[1:2], v3
.LBB47_4745:
	s_or_b32 exec_lo, exec_lo, s20
                                        ; implicit-def: $vgpr1_vgpr2
                                        ; implicit-def: $vgpr31
.LBB47_4746:
	s_and_not1_saveexec_b32 s19, s19
	s_cbranch_execz .LBB47_4754
; %bb.4747:
	v_and_b32_e32 v3, 0x7fffffff, v31
	v_mov_b32_e32 v4, 0x80
	s_mov_b32 s20, exec_lo
	s_delay_alu instid0(VALU_DEP_2)
	v_cmpx_gt_u32_e32 0x43800000, v3
	s_cbranch_execz .LBB47_4753
; %bb.4748:
	v_cmp_lt_u32_e32 vcc_lo, 0x3bffffff, v3
	s_mov_b32 s21, 0
                                        ; implicit-def: $vgpr3
	s_and_saveexec_b32 s22, vcc_lo
	s_delay_alu instid0(SALU_CYCLE_1)
	s_xor_b32 s22, exec_lo, s22
	s_cbranch_execnz .LBB47_5470
; %bb.4749:
	s_or_saveexec_b32 s22, s22
                                        ; implicit-def: $sgpr23
	s_delay_alu instid0(SALU_CYCLE_1)
	s_xor_b32 exec_lo, exec_lo, s22
	s_cbranch_execnz .LBB47_5471
.LBB47_4750:
	s_or_b32 exec_lo, exec_lo, s22
	v_mov_b32_e32 v4, s23
	s_and_saveexec_b32 s22, s21
.LBB47_4751:
	v_lshrrev_b32_e32 v4, 24, v31
	s_delay_alu instid0(VALU_DEP_1)
	v_and_or_b32 v4, 0x80, v4, v3
.LBB47_4752:
	s_or_b32 exec_lo, exec_lo, s22
.LBB47_4753:
	s_delay_alu instid0(SALU_CYCLE_1)
	s_or_b32 exec_lo, exec_lo, s20
	flat_store_b8 v[1:2], v4
.LBB47_4754:
	s_or_b32 exec_lo, exec_lo, s19
	s_delay_alu instid0(SALU_CYCLE_1)
	s_or_b32 s0, s0, exec_lo
.LBB47_4755:
	s_or_b32 exec_lo, exec_lo, s16
	s_delay_alu instid0(SALU_CYCLE_1)
	s_and_not1_b32 s16, s9, exec_lo
	s_and_b32 s18, s18, exec_lo
	s_and_b32 s0, s0, exec_lo
	s_or_b32 s16, s16, s18
                                        ; implicit-def: $vgpr3
                                        ; implicit-def: $vgpr31
                                        ; implicit-def: $vgpr1_vgpr2
.LBB47_4756:
	s_and_not1_saveexec_b32 s17, s17
	s_cbranch_execz .LBB47_4800
; %bb.4757:
	s_mov_b32 s19, s0
	s_mov_b32 s18, exec_lo
	v_cmpx_lt_i16_e32 22, v3
	s_xor_b32 s18, exec_lo, s18
	s_cbranch_execz .LBB47_4789
; %bb.4758:
	s_mov_b32 s19, exec_lo
	v_cmpx_lt_i16_e32 23, v3
	s_xor_b32 s19, exec_lo, s19
	s_cbranch_execz .LBB47_4778
; %bb.4759:
	;; [unrolled: 5-line block ×3, first 2 shown]
	v_and_b32_e32 v3, 0x7fffffff, v31
	v_mov_b32_e32 v4, 0x80
	s_mov_b32 s21, exec_lo
	s_delay_alu instid0(VALU_DEP_2)
	v_cmpx_gt_u32_e32 0x47800000, v3
	s_cbranch_execz .LBB47_4766
; %bb.4761:
	v_cmp_lt_u32_e32 vcc_lo, 0x37ffffff, v3
	s_mov_b32 s22, 0
                                        ; implicit-def: $vgpr3
	s_and_saveexec_b32 s23, vcc_lo
	s_delay_alu instid0(SALU_CYCLE_1)
	s_xor_b32 s23, exec_lo, s23
	s_cbranch_execnz .LBB47_5594
; %bb.4762:
	s_or_saveexec_b32 s23, s23
                                        ; implicit-def: $sgpr24
	s_delay_alu instid0(SALU_CYCLE_1)
	s_xor_b32 exec_lo, exec_lo, s23
	s_cbranch_execnz .LBB47_5595
.LBB47_4763:
	s_or_b32 exec_lo, exec_lo, s23
	v_mov_b32_e32 v4, s24
	s_and_saveexec_b32 s23, s22
.LBB47_4764:
	v_lshrrev_b32_e32 v4, 24, v31
	s_delay_alu instid0(VALU_DEP_1)
	v_and_or_b32 v4, 0x80, v4, v3
.LBB47_4765:
	s_or_b32 exec_lo, exec_lo, s23
.LBB47_4766:
	s_delay_alu instid0(SALU_CYCLE_1)
	s_or_b32 exec_lo, exec_lo, s21
	flat_store_b8 v[1:2], v4
                                        ; implicit-def: $vgpr31
                                        ; implicit-def: $vgpr1_vgpr2
.LBB47_4767:
	s_and_not1_saveexec_b32 s20, s20
	s_cbranch_execz .LBB47_4777
; %bb.4768:
	v_and_b32_e32 v4, 0x7fffffff, v31
	s_mov_b32 s21, exec_lo
                                        ; implicit-def: $vgpr3
	s_delay_alu instid0(VALU_DEP_1)
	v_cmpx_gt_u32_e32 0x43f00000, v4
	s_xor_b32 s21, exec_lo, s21
	s_cbranch_execz .LBB47_4774
; %bb.4769:
	s_mov_b32 s22, exec_lo
                                        ; implicit-def: $vgpr3
	v_cmpx_lt_u32_e32 0x3c7fffff, v4
	s_xor_b32 s22, exec_lo, s22
; %bb.4770:
	v_bfe_u32 v3, v31, 20, 1
	s_delay_alu instid0(VALU_DEP_1) | instskip(NEXT) | instid1(VALU_DEP_1)
	v_add3_u32 v3, v31, v3, 0x407ffff
	v_and_b32_e32 v4, 0xff00000, v3
	v_lshrrev_b32_e32 v3, 20, v3
	s_delay_alu instid0(VALU_DEP_2) | instskip(NEXT) | instid1(VALU_DEP_2)
	v_cmp_ne_u32_e32 vcc_lo, 0x7f00000, v4
	v_cndmask_b32_e32 v3, 0x7e, v3, vcc_lo
; %bb.4771:
	s_and_not1_saveexec_b32 s22, s22
; %bb.4772:
	v_add_f32_e64 v3, 0x46800000, |v31|
; %bb.4773:
	s_or_b32 exec_lo, exec_lo, s22
                                        ; implicit-def: $vgpr4
.LBB47_4774:
	s_and_not1_saveexec_b32 s21, s21
; %bb.4775:
	v_mov_b32_e32 v3, 0x7f
	v_cmp_lt_u32_e32 vcc_lo, 0x7f800000, v4
	s_delay_alu instid0(VALU_DEP_2)
	v_cndmask_b32_e32 v3, 0x7e, v3, vcc_lo
; %bb.4776:
	s_or_b32 exec_lo, exec_lo, s21
	v_lshrrev_b32_e32 v4, 24, v31
	s_delay_alu instid0(VALU_DEP_1)
	v_and_or_b32 v3, 0x80, v4, v3
	flat_store_b8 v[1:2], v3
.LBB47_4777:
	s_or_b32 exec_lo, exec_lo, s20
                                        ; implicit-def: $vgpr31
                                        ; implicit-def: $vgpr1_vgpr2
.LBB47_4778:
	s_and_not1_saveexec_b32 s19, s19
	s_cbranch_execz .LBB47_4788
; %bb.4779:
	v_and_b32_e32 v4, 0x7fffffff, v31
	s_mov_b32 s20, exec_lo
                                        ; implicit-def: $vgpr3
	s_delay_alu instid0(VALU_DEP_1)
	v_cmpx_gt_u32_e32 0x47800000, v4
	s_xor_b32 s20, exec_lo, s20
	s_cbranch_execz .LBB47_4785
; %bb.4780:
	s_mov_b32 s21, exec_lo
                                        ; implicit-def: $vgpr3
	v_cmpx_lt_u32_e32 0x387fffff, v4
	s_xor_b32 s21, exec_lo, s21
; %bb.4781:
	v_bfe_u32 v3, v31, 21, 1
	s_delay_alu instid0(VALU_DEP_1) | instskip(NEXT) | instid1(VALU_DEP_1)
	v_add3_u32 v3, v31, v3, 0x80fffff
	v_lshrrev_b32_e32 v3, 21, v3
; %bb.4782:
	s_and_not1_saveexec_b32 s21, s21
; %bb.4783:
	v_add_f32_e64 v3, 0x43000000, |v31|
; %bb.4784:
	s_or_b32 exec_lo, exec_lo, s21
                                        ; implicit-def: $vgpr4
.LBB47_4785:
	s_and_not1_saveexec_b32 s20, s20
; %bb.4786:
	v_mov_b32_e32 v3, 0x7f
	v_cmp_lt_u32_e32 vcc_lo, 0x7f800000, v4
	s_delay_alu instid0(VALU_DEP_2)
	v_cndmask_b32_e32 v3, 0x7c, v3, vcc_lo
; %bb.4787:
	s_or_b32 exec_lo, exec_lo, s20
	v_lshrrev_b32_e32 v4, 24, v31
	s_delay_alu instid0(VALU_DEP_1)
	v_and_or_b32 v3, 0x80, v4, v3
	flat_store_b8 v[1:2], v3
.LBB47_4788:
	s_or_b32 exec_lo, exec_lo, s19
	s_delay_alu instid0(SALU_CYCLE_1)
	s_or_b32 s19, s0, exec_lo
                                        ; implicit-def: $vgpr3
                                        ; implicit-def: $vgpr31
                                        ; implicit-def: $vgpr1_vgpr2
.LBB47_4789:
	s_or_saveexec_b32 s18, s18
	s_mov_b32 s20, s16
	s_xor_b32 exec_lo, exec_lo, s18
	s_cbranch_execz .LBB47_4799
; %bb.4790:
	s_mov_b32 s20, s19
	s_mov_b32 s21, s16
	s_mov_b32 s22, exec_lo
	v_cmpx_lt_i16_e32 14, v3
	s_xor_b32 s22, exec_lo, s22
	s_cbranch_execz .LBB47_4794
; %bb.4791:
	s_mov_b32 s23, -1
	s_mov_b32 s20, s19
	s_mov_b32 s21, exec_lo
	v_cmpx_eq_u16_e32 15, v3
	s_cbranch_execz .LBB47_4793
; %bb.4792:
	v_bfe_u32 v3, v31, 16, 1
	v_cmp_o_f32_e32 vcc_lo, v31, v31
	s_xor_b32 s23, exec_lo, -1
	s_or_b32 s20, s19, exec_lo
	s_delay_alu instid0(VALU_DEP_2) | instskip(NEXT) | instid1(VALU_DEP_1)
	v_add3_u32 v3, v31, v3, 0x7fff
	v_lshrrev_b32_e32 v3, 16, v3
	s_delay_alu instid0(VALU_DEP_1)
	v_cndmask_b32_e32 v3, 0x7fc0, v3, vcc_lo
	flat_store_b16 v[1:2], v3
.LBB47_4793:
	s_or_b32 exec_lo, exec_lo, s21
	s_delay_alu instid0(SALU_CYCLE_1)
	s_and_not1_b32 s21, s16, exec_lo
	s_and_b32 s23, s23, exec_lo
	s_and_not1_b32 s24, s19, exec_lo
	s_and_b32 s20, s20, exec_lo
	s_or_b32 s21, s21, s23
	s_or_b32 s20, s24, s20
                                        ; implicit-def: $vgpr3
                                        ; implicit-def: $vgpr31
                                        ; implicit-def: $vgpr1_vgpr2
.LBB47_4794:
	s_and_not1_saveexec_b32 s22, s22
	s_cbranch_execz .LBB47_4798
; %bb.4795:
	s_mov_b32 s24, -1
	s_mov_b32 s23, s20
	s_mov_b32 s25, exec_lo
	v_cmpx_eq_u16_e32 11, v3
	s_cbranch_execz .LBB47_4797
; %bb.4796:
	v_cmp_neq_f32_e32 vcc_lo, 0, v31
	s_xor_b32 s24, exec_lo, -1
	s_or_b32 s23, s20, exec_lo
	v_cndmask_b32_e64 v3, 0, 1, vcc_lo
	flat_store_b8 v[1:2], v3
.LBB47_4797:
	s_or_b32 exec_lo, exec_lo, s25
	s_delay_alu instid0(SALU_CYCLE_1)
	s_and_not1_b32 s21, s21, exec_lo
	s_and_b32 s24, s24, exec_lo
	s_and_not1_b32 s20, s20, exec_lo
	s_and_b32 s23, s23, exec_lo
	s_or_b32 s21, s21, s24
	s_or_b32 s20, s20, s23
.LBB47_4798:
	s_or_b32 exec_lo, exec_lo, s22
	s_delay_alu instid0(SALU_CYCLE_1)
	s_and_not1_b32 s22, s16, exec_lo
	s_and_b32 s21, s21, exec_lo
	s_and_not1_b32 s19, s19, exec_lo
	s_and_b32 s23, s20, exec_lo
	s_or_b32 s20, s22, s21
	s_or_b32 s19, s19, s23
.LBB47_4799:
	s_or_b32 exec_lo, exec_lo, s18
	s_delay_alu instid0(SALU_CYCLE_1)
	s_and_not1_b32 s16, s16, exec_lo
	s_and_b32 s18, s20, exec_lo
	s_and_not1_b32 s0, s0, exec_lo
	s_and_b32 s19, s19, exec_lo
	s_or_b32 s16, s16, s18
	s_or_b32 s0, s0, s19
.LBB47_4800:
	s_or_b32 exec_lo, exec_lo, s17
	s_delay_alu instid0(SALU_CYCLE_1)
	s_and_not1_b32 s17, s9, exec_lo
	s_and_b32 s16, s16, exec_lo
	s_and_b32 s0, s0, exec_lo
	s_or_b32 s16, s17, s16
                                        ; implicit-def: $vgpr3
                                        ; implicit-def: $vgpr31
                                        ; implicit-def: $vgpr1_vgpr2
	s_and_not1_saveexec_b32 s14, s14
	s_cbranch_execz .LBB47_3874
.LBB47_4801:
	s_mov_b32 s17, exec_lo
	v_cmpx_lt_i16_e32 4, v3
	s_xor_b32 s17, exec_lo, s17
	s_cbranch_execz .LBB47_4823
; %bb.4802:
	s_mov_b32 s18, exec_lo
	v_cmpx_lt_i16_e32 7, v3
	s_xor_b32 s18, exec_lo, s18
	s_cbranch_execz .LBB47_4812
; %bb.4803:
	;; [unrolled: 5-line block ×4, first 2 shown]
	v_cvt_f64_f32_e32 v[31:32], v31
	v_mov_b32_e32 v33, 0
	s_delay_alu instid0(VALU_DEP_1)
	v_mov_b32_e32 v34, v33
	flat_store_b128 v[1:2], v[31:34]
                                        ; implicit-def: $vgpr31
                                        ; implicit-def: $vgpr1_vgpr2
.LBB47_4806:
	s_and_not1_saveexec_b32 s20, s20
	s_cbranch_execz .LBB47_4808
; %bb.4807:
	v_mov_b32_e32 v32, 0
	flat_store_b64 v[1:2], v[31:32]
.LBB47_4808:
	s_or_b32 exec_lo, exec_lo, s20
                                        ; implicit-def: $vgpr31
                                        ; implicit-def: $vgpr1_vgpr2
.LBB47_4809:
	s_and_not1_saveexec_b32 s19, s19
	s_cbranch_execz .LBB47_4811
; %bb.4810:
	v_cvt_f16_f32_e32 v3, v31
	s_delay_alu instid0(VALU_DEP_1)
	v_and_b32_e32 v3, 0xffff, v3
	flat_store_b32 v[1:2], v3
.LBB47_4811:
	s_or_b32 exec_lo, exec_lo, s19
                                        ; implicit-def: $vgpr31
                                        ; implicit-def: $vgpr1_vgpr2
                                        ; implicit-def: $vgpr3
.LBB47_4812:
	s_and_not1_saveexec_b32 s18, s18
	s_cbranch_execz .LBB47_4822
; %bb.4813:
	s_mov_b32 s19, exec_lo
	v_cmpx_lt_i16_e32 5, v3
	s_xor_b32 s19, exec_lo, s19
	s_cbranch_execz .LBB47_4819
; %bb.4814:
	s_mov_b32 s20, exec_lo
	v_cmpx_lt_i16_e32 6, v3
	s_xor_b32 s20, exec_lo, s20
	s_cbranch_execz .LBB47_4816
; %bb.4815:
	v_cvt_f64_f32_e32 v[3:4], v31
                                        ; implicit-def: $vgpr31
	flat_store_b64 v[1:2], v[3:4]
                                        ; implicit-def: $vgpr1_vgpr2
.LBB47_4816:
	s_and_not1_saveexec_b32 s20, s20
	s_cbranch_execz .LBB47_4818
; %bb.4817:
	flat_store_b32 v[1:2], v31
.LBB47_4818:
	s_or_b32 exec_lo, exec_lo, s20
                                        ; implicit-def: $vgpr31
                                        ; implicit-def: $vgpr1_vgpr2
.LBB47_4819:
	s_and_not1_saveexec_b32 s19, s19
	s_cbranch_execz .LBB47_4821
; %bb.4820:
	v_cvt_f16_f32_e32 v3, v31
	flat_store_b16 v[1:2], v3
.LBB47_4821:
	s_or_b32 exec_lo, exec_lo, s19
.LBB47_4822:
	s_delay_alu instid0(SALU_CYCLE_1)
	s_or_b32 exec_lo, exec_lo, s18
                                        ; implicit-def: $vgpr3
                                        ; implicit-def: $vgpr31
                                        ; implicit-def: $vgpr1_vgpr2
.LBB47_4823:
	s_and_not1_saveexec_b32 s17, s17
	s_cbranch_execz .LBB47_4841
; %bb.4824:
	s_mov_b32 s18, exec_lo
	v_cmpx_lt_i16_e32 1, v3
	s_xor_b32 s18, exec_lo, s18
	s_cbranch_execz .LBB47_4834
; %bb.4825:
	s_mov_b32 s19, exec_lo
	v_cmpx_lt_i16_e32 2, v3
	s_xor_b32 s19, exec_lo, s19
	;; [unrolled: 5-line block ×3, first 2 shown]
	s_cbranch_execz .LBB47_4828
; %bb.4827:
	v_trunc_f32_e32 v3, v31
                                        ; implicit-def: $vgpr31
	s_delay_alu instid0(VALU_DEP_1) | instskip(SKIP_1) | instid1(VALU_DEP_2)
	v_mul_f32_e64 v4, 0x2f800000, |v3|
	v_ashrrev_i32_e32 v10, 31, v3
	v_floor_f32_e32 v4, v4
	s_delay_alu instid0(VALU_DEP_1) | instskip(SKIP_1) | instid1(VALU_DEP_2)
	v_fma_f32 v5, 0xcf800000, v4, |v3|
	v_cvt_u32_f32_e32 v4, v4
	v_cvt_u32_f32_e32 v3, v5
	s_delay_alu instid0(VALU_DEP_2) | instskip(NEXT) | instid1(VALU_DEP_2)
	v_xor_b32_e32 v4, v4, v10
	v_xor_b32_e32 v3, v3, v10
	s_delay_alu instid0(VALU_DEP_1) | instskip(NEXT) | instid1(VALU_DEP_3)
	v_sub_co_u32 v3, vcc_lo, v3, v10
	v_sub_co_ci_u32_e32 v4, vcc_lo, v4, v10, vcc_lo
	flat_store_b64 v[1:2], v[3:4]
                                        ; implicit-def: $vgpr1_vgpr2
.LBB47_4828:
	s_and_not1_saveexec_b32 s20, s20
	s_cbranch_execz .LBB47_4830
; %bb.4829:
	v_cvt_i32_f32_e32 v3, v31
	flat_store_b32 v[1:2], v3
.LBB47_4830:
	s_or_b32 exec_lo, exec_lo, s20
                                        ; implicit-def: $vgpr31
                                        ; implicit-def: $vgpr1_vgpr2
.LBB47_4831:
	s_and_not1_saveexec_b32 s19, s19
	s_cbranch_execz .LBB47_4833
; %bb.4832:
	v_cvt_i32_f32_e32 v3, v31
	flat_store_b16 v[1:2], v3
.LBB47_4833:
	s_or_b32 exec_lo, exec_lo, s19
                                        ; implicit-def: $vgpr31
                                        ; implicit-def: $vgpr1_vgpr2
                                        ; implicit-def: $vgpr3
.LBB47_4834:
	s_and_not1_saveexec_b32 s18, s18
	s_cbranch_execz .LBB47_4840
; %bb.4835:
	s_mov_b32 s19, exec_lo
	v_cmpx_lt_i16_e32 0, v3
	s_xor_b32 s19, exec_lo, s19
	s_cbranch_execz .LBB47_4837
; %bb.4836:
	v_cvt_i32_f32_e32 v3, v31
                                        ; implicit-def: $vgpr31
	flat_store_b8 v[1:2], v3
                                        ; implicit-def: $vgpr1_vgpr2
.LBB47_4837:
	s_and_not1_saveexec_b32 s19, s19
	s_cbranch_execz .LBB47_4839
; %bb.4838:
	v_trunc_f32_e32 v3, v31
	s_delay_alu instid0(VALU_DEP_1) | instskip(NEXT) | instid1(VALU_DEP_1)
	v_mul_f32_e64 v4, 0x2f800000, |v3|
	v_floor_f32_e32 v4, v4
	s_delay_alu instid0(VALU_DEP_1) | instskip(SKIP_1) | instid1(VALU_DEP_2)
	v_fma_f32 v4, 0xcf800000, v4, |v3|
	v_ashrrev_i32_e32 v3, 31, v3
	v_cvt_u32_f32_e32 v4, v4
	s_delay_alu instid0(VALU_DEP_1) | instskip(NEXT) | instid1(VALU_DEP_1)
	v_xor_b32_e32 v4, v4, v3
	v_sub_nc_u32_e32 v3, v4, v3
	flat_store_b8 v[1:2], v3
.LBB47_4839:
	s_or_b32 exec_lo, exec_lo, s19
.LBB47_4840:
	s_delay_alu instid0(SALU_CYCLE_1)
	s_or_b32 exec_lo, exec_lo, s18
.LBB47_4841:
	s_delay_alu instid0(SALU_CYCLE_1) | instskip(NEXT) | instid1(SALU_CYCLE_1)
	s_or_b32 exec_lo, exec_lo, s17
	s_or_b32 s0, s0, exec_lo
	s_or_b32 exec_lo, exec_lo, s14
	s_mov_b32 s17, 0
	s_and_saveexec_b32 s14, s0
	s_cbranch_execnz .LBB47_3875
	s_branch .LBB47_3876
.LBB47_4842:
	v_bfe_u32 v3, v36, 21, 1
	s_mov_b32 s10, exec_lo
	s_delay_alu instid0(VALU_DEP_1) | instskip(NEXT) | instid1(VALU_DEP_1)
	v_add3_u32 v3, v36, v3, 0x88fffff
	v_lshrrev_b32_e32 v3, 21, v3
	s_or_saveexec_b32 s14, s14
                                        ; implicit-def: $sgpr15
	s_delay_alu instid0(SALU_CYCLE_1)
	s_xor_b32 exec_lo, exec_lo, s14
	s_cbranch_execz .LBB47_3761
.LBB47_4843:
	v_add_f32_e64 v3, 0x42800000, |v36|
	s_and_not1_b32 s10, s10, exec_lo
	s_mov_b32 s15, 0
	s_delay_alu instid0(VALU_DEP_1) | instskip(NEXT) | instid1(VALU_DEP_1)
	v_and_b32_e32 v3, 0xff, v3
	v_cmp_ne_u32_e32 vcc_lo, 0, v3
	s_and_b32 s16, vcc_lo, exec_lo
	s_delay_alu instid0(SALU_CYCLE_1)
	s_or_b32 s10, s10, s16
	s_or_b32 exec_lo, exec_lo, s14
	v_mov_b32_e32 v4, s15
	s_and_saveexec_b32 s14, s10
	s_cbranch_execnz .LBB47_3762
	s_branch .LBB47_3763
.LBB47_4844:
	s_mov_b32 s18, s14
	s_mov_b32 s19, exec_lo
	v_cmpx_lt_i16_e32 25, v3
	s_xor_b32 s19, exec_lo, s19
	s_cbranch_execz .LBB47_4880
; %bb.4845:
	s_mov_b32 s20, s14
	s_mov_b32 s18, exec_lo
	v_cmpx_lt_i16_e32 28, v3
	s_xor_b32 s18, exec_lo, s18
	s_cbranch_execz .LBB47_4863
; %bb.4846:
	;; [unrolled: 6-line block ×3, first 2 shown]
	s_mov_b32 s21, 0
	s_mov_b32 s22, s14
	s_mov_b32 s0, exec_lo
	v_cmpx_lt_i16_e32 45, v3
	s_xor_b32 s0, exec_lo, s0
	s_cbranch_execz .LBB47_4851
; %bb.4848:
	s_mov_b32 s23, -1
	s_mov_b32 s22, exec_lo
	v_cmpx_eq_u16_e32 46, v3
	s_cbranch_execz .LBB47_4850
; %bb.4849:
	v_bfe_u32 v3, v30, 16, 1
	v_cmp_o_f32_e32 vcc_lo, v30, v30
	s_mov_b32 s21, exec_lo
	s_xor_b32 s23, exec_lo, -1
	s_delay_alu instid0(VALU_DEP_2) | instskip(NEXT) | instid1(VALU_DEP_1)
	v_add3_u32 v3, v30, v3, 0x7fff
	v_lshrrev_b32_e32 v3, 16, v3
	s_delay_alu instid0(VALU_DEP_1)
	v_cndmask_b32_e32 v3, 0x7fc0, v3, vcc_lo
	flat_store_b32 v[1:2], v3
.LBB47_4850:
	s_or_b32 exec_lo, exec_lo, s22
	s_delay_alu instid0(SALU_CYCLE_1)
	s_and_not1_b32 s22, s14, exec_lo
	s_and_b32 s23, s23, exec_lo
	s_and_b32 s21, s21, exec_lo
	s_or_b32 s22, s22, s23
                                        ; implicit-def: $vgpr3
                                        ; implicit-def: $vgpr1_vgpr2
                                        ; implicit-def: $vgpr30
.LBB47_4851:
	s_and_not1_saveexec_b32 s23, s0
	s_cbranch_execz .LBB47_4857
; %bb.4852:
	s_mov_b32 s25, -1
	s_mov_b32 s0, s21
	s_mov_b32 s24, exec_lo
	v_cmpx_eq_u16_e32 44, v3
	s_cbranch_execz .LBB47_4856
; %bb.4853:
	v_bfe_u32 v4, v30, 23, 8
	v_mov_b32_e32 v3, 0xff
	s_mov_b32 s25, exec_lo
	s_delay_alu instid0(VALU_DEP_2)
	v_cmpx_ne_u32_e32 0xff, v4
; %bb.4854:
	v_and_b32_e32 v3, 0x400000, v30
	v_and_or_b32 v4, 0x3fffff, v30, v4
	s_delay_alu instid0(VALU_DEP_2) | instskip(NEXT) | instid1(VALU_DEP_2)
	v_cmp_ne_u32_e32 vcc_lo, 0, v3
	v_cmp_ne_u32_e64 s0, 0, v4
	v_lshrrev_b32_e32 v3, 23, v30
	s_delay_alu instid0(VALU_DEP_2) | instskip(NEXT) | instid1(SALU_CYCLE_1)
	s_and_b32 s0, vcc_lo, s0
	v_cndmask_b32_e64 v4, 0, 1, s0
	s_delay_alu instid0(VALU_DEP_1)
	v_add_nc_u32_e32 v3, v3, v4
; %bb.4855:
	s_or_b32 exec_lo, exec_lo, s25
	s_delay_alu instid0(SALU_CYCLE_1)
	s_xor_b32 s25, exec_lo, -1
	s_or_b32 s0, s21, exec_lo
	flat_store_b8 v[1:2], v3
.LBB47_4856:
	s_or_b32 exec_lo, exec_lo, s24
	s_delay_alu instid0(SALU_CYCLE_1)
	s_and_not1_b32 s22, s22, exec_lo
	s_and_b32 s24, s25, exec_lo
	s_and_not1_b32 s21, s21, exec_lo
	s_and_b32 s0, s0, exec_lo
	s_or_b32 s22, s22, s24
	s_or_b32 s21, s21, s0
.LBB47_4857:
	s_or_b32 exec_lo, exec_lo, s23
	s_delay_alu instid0(SALU_CYCLE_1) | instskip(SKIP_1) | instid1(SALU_CYCLE_1)
	s_and_not1_b32 s0, s14, exec_lo
	s_and_b32 s22, s22, exec_lo
                                        ; implicit-def: $vgpr3
                                        ; implicit-def: $vgpr30
                                        ; implicit-def: $vgpr1_vgpr2
	s_or_b32 s22, s0, s22
	s_and_b32 s0, s21, exec_lo
.LBB47_4858:
	s_and_not1_saveexec_b32 s20, s20
	s_cbranch_execz .LBB47_4862
; %bb.4859:
	s_mov_b32 s24, -1
	s_mov_b32 s23, s0
	s_mov_b32 s21, exec_lo
	v_cmpx_eq_u16_e32 29, v3
	s_cbranch_execz .LBB47_4861
; %bb.4860:
	v_trunc_f32_e32 v3, v30
	s_xor_b32 s24, exec_lo, -1
	s_or_b32 s23, s0, exec_lo
	s_delay_alu instid0(VALU_DEP_1) | instskip(NEXT) | instid1(VALU_DEP_1)
	v_mul_f32_e32 v4, 0x2f800000, v3
	v_floor_f32_e32 v4, v4
	s_delay_alu instid0(VALU_DEP_1) | instskip(SKIP_1) | instid1(VALU_DEP_2)
	v_fmamk_f32 v3, v4, 0xcf800000, v3
	v_cvt_u32_f32_e32 v4, v4
	v_cvt_u32_f32_e32 v3, v3
	flat_store_b64 v[1:2], v[3:4]
.LBB47_4861:
	s_or_b32 exec_lo, exec_lo, s21
	s_delay_alu instid0(SALU_CYCLE_1)
	s_and_not1_b32 s21, s22, exec_lo
	s_and_b32 s22, s24, exec_lo
	s_and_not1_b32 s0, s0, exec_lo
	s_and_b32 s23, s23, exec_lo
	s_or_b32 s22, s21, s22
	s_or_b32 s0, s0, s23
.LBB47_4862:
	s_or_b32 exec_lo, exec_lo, s20
	s_delay_alu instid0(SALU_CYCLE_1)
	s_and_not1_b32 s20, s14, exec_lo
	s_and_b32 s21, s22, exec_lo
	s_and_b32 s0, s0, exec_lo
	s_or_b32 s20, s20, s21
                                        ; implicit-def: $vgpr1_vgpr2
                                        ; implicit-def: $vgpr3
                                        ; implicit-def: $vgpr30
.LBB47_4863:
	s_and_not1_saveexec_b32 s18, s18
	s_cbranch_execz .LBB47_4879
; %bb.4864:
	s_mov_b32 s21, exec_lo
	v_cmpx_lt_i16_e32 26, v3
	s_xor_b32 s21, exec_lo, s21
	s_cbranch_execz .LBB47_4870
; %bb.4865:
	s_mov_b32 s22, exec_lo
	v_cmpx_lt_i16_e32 27, v3
	s_xor_b32 s22, exec_lo, s22
	s_cbranch_execz .LBB47_4867
; %bb.4866:
	v_cvt_u32_f32_e32 v3, v30
                                        ; implicit-def: $vgpr30
	flat_store_b32 v[1:2], v3
                                        ; implicit-def: $vgpr1_vgpr2
.LBB47_4867:
	s_and_not1_saveexec_b32 s22, s22
	s_cbranch_execz .LBB47_4869
; %bb.4868:
	v_cvt_u32_f32_e32 v3, v30
	flat_store_b16 v[1:2], v3
.LBB47_4869:
	s_or_b32 exec_lo, exec_lo, s22
                                        ; implicit-def: $vgpr1_vgpr2
                                        ; implicit-def: $vgpr30
.LBB47_4870:
	s_and_not1_saveexec_b32 s21, s21
	s_cbranch_execz .LBB47_4878
; %bb.4871:
	v_and_b32_e32 v3, 0x7fffffff, v30
	v_mov_b32_e32 v4, 0x80
	s_mov_b32 s22, exec_lo
	s_delay_alu instid0(VALU_DEP_2)
	v_cmpx_gt_u32_e32 0x43800000, v3
	s_cbranch_execz .LBB47_4877
; %bb.4872:
	v_cmp_lt_u32_e32 vcc_lo, 0x3bffffff, v3
	s_mov_b32 s23, 0
                                        ; implicit-def: $vgpr3
	s_and_saveexec_b32 s24, vcc_lo
	s_delay_alu instid0(SALU_CYCLE_1)
	s_xor_b32 s24, exec_lo, s24
	s_cbranch_execnz .LBB47_5596
; %bb.4873:
	s_or_saveexec_b32 s24, s24
                                        ; implicit-def: $sgpr25
	s_delay_alu instid0(SALU_CYCLE_1)
	s_xor_b32 exec_lo, exec_lo, s24
	s_cbranch_execnz .LBB47_5597
.LBB47_4874:
	s_or_b32 exec_lo, exec_lo, s24
	v_mov_b32_e32 v4, s25
	s_and_saveexec_b32 s24, s23
.LBB47_4875:
	v_lshrrev_b32_e32 v4, 24, v30
	s_delay_alu instid0(VALU_DEP_1)
	v_and_or_b32 v4, 0x80, v4, v3
.LBB47_4876:
	s_or_b32 exec_lo, exec_lo, s24
.LBB47_4877:
	s_delay_alu instid0(SALU_CYCLE_1)
	s_or_b32 exec_lo, exec_lo, s22
	flat_store_b8 v[1:2], v4
.LBB47_4878:
	s_or_b32 exec_lo, exec_lo, s21
	s_delay_alu instid0(SALU_CYCLE_1)
	s_or_b32 s0, s0, exec_lo
.LBB47_4879:
	s_or_b32 exec_lo, exec_lo, s18
	s_delay_alu instid0(SALU_CYCLE_1)
	s_and_not1_b32 s18, s14, exec_lo
	s_and_b32 s20, s20, exec_lo
	s_and_b32 s0, s0, exec_lo
	s_or_b32 s18, s18, s20
                                        ; implicit-def: $vgpr3
                                        ; implicit-def: $vgpr30
                                        ; implicit-def: $vgpr1_vgpr2
.LBB47_4880:
	s_and_not1_saveexec_b32 s19, s19
	s_cbranch_execz .LBB47_4924
; %bb.4881:
	s_mov_b32 s21, s0
	s_mov_b32 s20, exec_lo
	v_cmpx_lt_i16_e32 22, v3
	s_xor_b32 s20, exec_lo, s20
	s_cbranch_execz .LBB47_4913
; %bb.4882:
	s_mov_b32 s21, exec_lo
	v_cmpx_lt_i16_e32 23, v3
	s_xor_b32 s21, exec_lo, s21
	s_cbranch_execz .LBB47_4902
; %bb.4883:
	s_mov_b32 s22, exec_lo
	v_cmpx_lt_i16_e32 24, v3
	s_xor_b32 s22, exec_lo, s22
	s_cbranch_execz .LBB47_4891
; %bb.4884:
	v_and_b32_e32 v3, 0x7fffffff, v30
	v_mov_b32_e32 v4, 0x80
	s_mov_b32 s23, exec_lo
	s_delay_alu instid0(VALU_DEP_2)
	v_cmpx_gt_u32_e32 0x47800000, v3
	s_cbranch_execz .LBB47_4890
; %bb.4885:
	v_cmp_lt_u32_e32 vcc_lo, 0x37ffffff, v3
	s_mov_b32 s24, 0
                                        ; implicit-def: $vgpr3
	s_and_saveexec_b32 s25, vcc_lo
	s_delay_alu instid0(SALU_CYCLE_1)
	s_xor_b32 s25, exec_lo, s25
	s_cbranch_execnz .LBB47_5720
; %bb.4886:
	s_or_saveexec_b32 s25, s25
                                        ; implicit-def: $sgpr26
	s_delay_alu instid0(SALU_CYCLE_1)
	s_xor_b32 exec_lo, exec_lo, s25
	s_cbranch_execnz .LBB47_5721
.LBB47_4887:
	s_or_b32 exec_lo, exec_lo, s25
	v_mov_b32_e32 v4, s26
	s_and_saveexec_b32 s25, s24
.LBB47_4888:
	v_lshrrev_b32_e32 v4, 24, v30
	s_delay_alu instid0(VALU_DEP_1)
	v_and_or_b32 v4, 0x80, v4, v3
.LBB47_4889:
	s_or_b32 exec_lo, exec_lo, s25
.LBB47_4890:
	s_delay_alu instid0(SALU_CYCLE_1)
	s_or_b32 exec_lo, exec_lo, s23
	flat_store_b8 v[1:2], v4
                                        ; implicit-def: $vgpr30
                                        ; implicit-def: $vgpr1_vgpr2
.LBB47_4891:
	s_and_not1_saveexec_b32 s22, s22
	s_cbranch_execz .LBB47_4901
; %bb.4892:
	v_and_b32_e32 v4, 0x7fffffff, v30
	s_mov_b32 s23, exec_lo
                                        ; implicit-def: $vgpr3
	s_delay_alu instid0(VALU_DEP_1)
	v_cmpx_gt_u32_e32 0x43f00000, v4
	s_xor_b32 s23, exec_lo, s23
	s_cbranch_execz .LBB47_4898
; %bb.4893:
	s_mov_b32 s24, exec_lo
                                        ; implicit-def: $vgpr3
	v_cmpx_lt_u32_e32 0x3c7fffff, v4
	s_xor_b32 s24, exec_lo, s24
; %bb.4894:
	v_bfe_u32 v3, v30, 20, 1
	s_delay_alu instid0(VALU_DEP_1) | instskip(NEXT) | instid1(VALU_DEP_1)
	v_add3_u32 v3, v30, v3, 0x407ffff
	v_and_b32_e32 v4, 0xff00000, v3
	v_lshrrev_b32_e32 v3, 20, v3
	s_delay_alu instid0(VALU_DEP_2) | instskip(NEXT) | instid1(VALU_DEP_2)
	v_cmp_ne_u32_e32 vcc_lo, 0x7f00000, v4
	v_cndmask_b32_e32 v3, 0x7e, v3, vcc_lo
; %bb.4895:
	s_and_not1_saveexec_b32 s24, s24
; %bb.4896:
	v_add_f32_e64 v3, 0x46800000, |v30|
; %bb.4897:
	s_or_b32 exec_lo, exec_lo, s24
                                        ; implicit-def: $vgpr4
.LBB47_4898:
	s_and_not1_saveexec_b32 s23, s23
; %bb.4899:
	v_mov_b32_e32 v3, 0x7f
	v_cmp_lt_u32_e32 vcc_lo, 0x7f800000, v4
	s_delay_alu instid0(VALU_DEP_2)
	v_cndmask_b32_e32 v3, 0x7e, v3, vcc_lo
; %bb.4900:
	s_or_b32 exec_lo, exec_lo, s23
	v_lshrrev_b32_e32 v4, 24, v30
	s_delay_alu instid0(VALU_DEP_1)
	v_and_or_b32 v3, 0x80, v4, v3
	flat_store_b8 v[1:2], v3
.LBB47_4901:
	s_or_b32 exec_lo, exec_lo, s22
                                        ; implicit-def: $vgpr30
                                        ; implicit-def: $vgpr1_vgpr2
.LBB47_4902:
	s_and_not1_saveexec_b32 s21, s21
	s_cbranch_execz .LBB47_4912
; %bb.4903:
	v_and_b32_e32 v4, 0x7fffffff, v30
	s_mov_b32 s22, exec_lo
                                        ; implicit-def: $vgpr3
	s_delay_alu instid0(VALU_DEP_1)
	v_cmpx_gt_u32_e32 0x47800000, v4
	s_xor_b32 s22, exec_lo, s22
	s_cbranch_execz .LBB47_4909
; %bb.4904:
	s_mov_b32 s23, exec_lo
                                        ; implicit-def: $vgpr3
	v_cmpx_lt_u32_e32 0x387fffff, v4
	s_xor_b32 s23, exec_lo, s23
; %bb.4905:
	v_bfe_u32 v3, v30, 21, 1
	s_delay_alu instid0(VALU_DEP_1) | instskip(NEXT) | instid1(VALU_DEP_1)
	v_add3_u32 v3, v30, v3, 0x80fffff
	v_lshrrev_b32_e32 v3, 21, v3
; %bb.4906:
	s_and_not1_saveexec_b32 s23, s23
; %bb.4907:
	v_add_f32_e64 v3, 0x43000000, |v30|
; %bb.4908:
	s_or_b32 exec_lo, exec_lo, s23
                                        ; implicit-def: $vgpr4
.LBB47_4909:
	s_and_not1_saveexec_b32 s22, s22
; %bb.4910:
	v_mov_b32_e32 v3, 0x7f
	v_cmp_lt_u32_e32 vcc_lo, 0x7f800000, v4
	s_delay_alu instid0(VALU_DEP_2)
	v_cndmask_b32_e32 v3, 0x7c, v3, vcc_lo
; %bb.4911:
	s_or_b32 exec_lo, exec_lo, s22
	v_lshrrev_b32_e32 v4, 24, v30
	s_delay_alu instid0(VALU_DEP_1)
	v_and_or_b32 v3, 0x80, v4, v3
	flat_store_b8 v[1:2], v3
.LBB47_4912:
	s_or_b32 exec_lo, exec_lo, s21
	s_delay_alu instid0(SALU_CYCLE_1)
	s_or_b32 s21, s0, exec_lo
                                        ; implicit-def: $vgpr3
                                        ; implicit-def: $vgpr30
                                        ; implicit-def: $vgpr1_vgpr2
.LBB47_4913:
	s_or_saveexec_b32 s20, s20
	s_mov_b32 s22, s18
	s_xor_b32 exec_lo, exec_lo, s20
	s_cbranch_execz .LBB47_4923
; %bb.4914:
	s_mov_b32 s22, s21
	s_mov_b32 s23, s18
	s_mov_b32 s24, exec_lo
	v_cmpx_lt_i16_e32 14, v3
	s_xor_b32 s24, exec_lo, s24
	s_cbranch_execz .LBB47_4918
; %bb.4915:
	s_mov_b32 s25, -1
	s_mov_b32 s22, s21
	s_mov_b32 s23, exec_lo
	v_cmpx_eq_u16_e32 15, v3
	s_cbranch_execz .LBB47_4917
; %bb.4916:
	v_bfe_u32 v3, v30, 16, 1
	v_cmp_o_f32_e32 vcc_lo, v30, v30
	s_xor_b32 s25, exec_lo, -1
	s_or_b32 s22, s21, exec_lo
	s_delay_alu instid0(VALU_DEP_2) | instskip(NEXT) | instid1(VALU_DEP_1)
	v_add3_u32 v3, v30, v3, 0x7fff
	v_lshrrev_b32_e32 v3, 16, v3
	s_delay_alu instid0(VALU_DEP_1)
	v_cndmask_b32_e32 v3, 0x7fc0, v3, vcc_lo
	flat_store_b16 v[1:2], v3
.LBB47_4917:
	s_or_b32 exec_lo, exec_lo, s23
	s_delay_alu instid0(SALU_CYCLE_1)
	s_and_not1_b32 s23, s18, exec_lo
	s_and_b32 s25, s25, exec_lo
	s_and_not1_b32 s26, s21, exec_lo
	s_and_b32 s22, s22, exec_lo
	s_or_b32 s23, s23, s25
	s_or_b32 s22, s26, s22
                                        ; implicit-def: $vgpr3
                                        ; implicit-def: $vgpr30
                                        ; implicit-def: $vgpr1_vgpr2
.LBB47_4918:
	s_and_not1_saveexec_b32 s24, s24
	s_cbranch_execz .LBB47_4922
; %bb.4919:
	s_mov_b32 s26, -1
	s_mov_b32 s25, s22
	s_mov_b32 s27, exec_lo
	v_cmpx_eq_u16_e32 11, v3
	s_cbranch_execz .LBB47_4921
; %bb.4920:
	v_cmp_neq_f32_e32 vcc_lo, 0, v30
	s_xor_b32 s26, exec_lo, -1
	s_or_b32 s25, s22, exec_lo
	v_cndmask_b32_e64 v3, 0, 1, vcc_lo
	flat_store_b8 v[1:2], v3
.LBB47_4921:
	s_or_b32 exec_lo, exec_lo, s27
	s_delay_alu instid0(SALU_CYCLE_1)
	s_and_not1_b32 s23, s23, exec_lo
	s_and_b32 s26, s26, exec_lo
	s_and_not1_b32 s22, s22, exec_lo
	s_and_b32 s25, s25, exec_lo
	s_or_b32 s23, s23, s26
	s_or_b32 s22, s22, s25
.LBB47_4922:
	s_or_b32 exec_lo, exec_lo, s24
	s_delay_alu instid0(SALU_CYCLE_1)
	s_and_not1_b32 s24, s18, exec_lo
	s_and_b32 s23, s23, exec_lo
	s_and_not1_b32 s21, s21, exec_lo
	s_and_b32 s25, s22, exec_lo
	s_or_b32 s22, s24, s23
	s_or_b32 s21, s21, s25
.LBB47_4923:
	s_or_b32 exec_lo, exec_lo, s20
	s_delay_alu instid0(SALU_CYCLE_1)
	s_and_not1_b32 s18, s18, exec_lo
	s_and_b32 s20, s22, exec_lo
	s_and_not1_b32 s0, s0, exec_lo
	s_and_b32 s21, s21, exec_lo
	s_or_b32 s18, s18, s20
	s_or_b32 s0, s0, s21
.LBB47_4924:
	s_or_b32 exec_lo, exec_lo, s19
	s_delay_alu instid0(SALU_CYCLE_1)
	s_and_not1_b32 s19, s14, exec_lo
	s_and_b32 s18, s18, exec_lo
	s_and_b32 s0, s0, exec_lo
	s_or_b32 s18, s19, s18
                                        ; implicit-def: $vgpr3
                                        ; implicit-def: $vgpr30
                                        ; implicit-def: $vgpr1_vgpr2
	s_and_not1_saveexec_b32 s16, s16
	s_cbranch_execz .LBB47_3881
.LBB47_4925:
	s_mov_b32 s19, exec_lo
	v_cmpx_lt_i16_e32 4, v3
	s_xor_b32 s19, exec_lo, s19
	s_cbranch_execz .LBB47_4947
; %bb.4926:
	s_mov_b32 s20, exec_lo
	v_cmpx_lt_i16_e32 7, v3
	s_xor_b32 s20, exec_lo, s20
	s_cbranch_execz .LBB47_4936
; %bb.4927:
	;; [unrolled: 5-line block ×4, first 2 shown]
	v_cvt_f64_f32_e32 v[30:31], v30
	v_mov_b32_e32 v32, 0
	s_delay_alu instid0(VALU_DEP_1)
	v_mov_b32_e32 v33, v32
	flat_store_b128 v[1:2], v[30:33]
                                        ; implicit-def: $vgpr30
                                        ; implicit-def: $vgpr1_vgpr2
.LBB47_4930:
	s_and_not1_saveexec_b32 s22, s22
	s_cbranch_execz .LBB47_4932
; %bb.4931:
	v_mov_b32_e32 v31, 0
	flat_store_b64 v[1:2], v[30:31]
.LBB47_4932:
	s_or_b32 exec_lo, exec_lo, s22
                                        ; implicit-def: $vgpr30
                                        ; implicit-def: $vgpr1_vgpr2
.LBB47_4933:
	s_and_not1_saveexec_b32 s21, s21
	s_cbranch_execz .LBB47_4935
; %bb.4934:
	v_cvt_f16_f32_e32 v3, v30
	s_delay_alu instid0(VALU_DEP_1)
	v_and_b32_e32 v3, 0xffff, v3
	flat_store_b32 v[1:2], v3
.LBB47_4935:
	s_or_b32 exec_lo, exec_lo, s21
                                        ; implicit-def: $vgpr30
                                        ; implicit-def: $vgpr1_vgpr2
                                        ; implicit-def: $vgpr3
.LBB47_4936:
	s_and_not1_saveexec_b32 s20, s20
	s_cbranch_execz .LBB47_4946
; %bb.4937:
	s_mov_b32 s21, exec_lo
	v_cmpx_lt_i16_e32 5, v3
	s_xor_b32 s21, exec_lo, s21
	s_cbranch_execz .LBB47_4943
; %bb.4938:
	s_mov_b32 s22, exec_lo
	v_cmpx_lt_i16_e32 6, v3
	s_xor_b32 s22, exec_lo, s22
	s_cbranch_execz .LBB47_4940
; %bb.4939:
	v_cvt_f64_f32_e32 v[3:4], v30
                                        ; implicit-def: $vgpr30
	flat_store_b64 v[1:2], v[3:4]
                                        ; implicit-def: $vgpr1_vgpr2
.LBB47_4940:
	s_and_not1_saveexec_b32 s22, s22
	s_cbranch_execz .LBB47_4942
; %bb.4941:
	flat_store_b32 v[1:2], v30
.LBB47_4942:
	s_or_b32 exec_lo, exec_lo, s22
                                        ; implicit-def: $vgpr30
                                        ; implicit-def: $vgpr1_vgpr2
.LBB47_4943:
	s_and_not1_saveexec_b32 s21, s21
	s_cbranch_execz .LBB47_4945
; %bb.4944:
	v_cvt_f16_f32_e32 v3, v30
	flat_store_b16 v[1:2], v3
.LBB47_4945:
	s_or_b32 exec_lo, exec_lo, s21
.LBB47_4946:
	s_delay_alu instid0(SALU_CYCLE_1)
	s_or_b32 exec_lo, exec_lo, s20
                                        ; implicit-def: $vgpr3
                                        ; implicit-def: $vgpr30
                                        ; implicit-def: $vgpr1_vgpr2
.LBB47_4947:
	s_and_not1_saveexec_b32 s19, s19
	s_cbranch_execz .LBB47_4965
; %bb.4948:
	s_mov_b32 s20, exec_lo
	v_cmpx_lt_i16_e32 1, v3
	s_xor_b32 s20, exec_lo, s20
	s_cbranch_execz .LBB47_4958
; %bb.4949:
	s_mov_b32 s21, exec_lo
	v_cmpx_lt_i16_e32 2, v3
	s_xor_b32 s21, exec_lo, s21
	;; [unrolled: 5-line block ×3, first 2 shown]
	s_cbranch_execz .LBB47_4952
; %bb.4951:
	v_trunc_f32_e32 v3, v30
                                        ; implicit-def: $vgpr30
	s_delay_alu instid0(VALU_DEP_1) | instskip(SKIP_1) | instid1(VALU_DEP_2)
	v_mul_f32_e64 v4, 0x2f800000, |v3|
	v_ashrrev_i32_e32 v10, 31, v3
	v_floor_f32_e32 v4, v4
	s_delay_alu instid0(VALU_DEP_1) | instskip(SKIP_1) | instid1(VALU_DEP_2)
	v_fma_f32 v5, 0xcf800000, v4, |v3|
	v_cvt_u32_f32_e32 v4, v4
	v_cvt_u32_f32_e32 v3, v5
	s_delay_alu instid0(VALU_DEP_2) | instskip(NEXT) | instid1(VALU_DEP_2)
	v_xor_b32_e32 v4, v4, v10
	v_xor_b32_e32 v3, v3, v10
	s_delay_alu instid0(VALU_DEP_1) | instskip(NEXT) | instid1(VALU_DEP_3)
	v_sub_co_u32 v3, vcc_lo, v3, v10
	v_sub_co_ci_u32_e32 v4, vcc_lo, v4, v10, vcc_lo
	flat_store_b64 v[1:2], v[3:4]
                                        ; implicit-def: $vgpr1_vgpr2
.LBB47_4952:
	s_and_not1_saveexec_b32 s22, s22
	s_cbranch_execz .LBB47_4954
; %bb.4953:
	v_cvt_i32_f32_e32 v3, v30
	flat_store_b32 v[1:2], v3
.LBB47_4954:
	s_or_b32 exec_lo, exec_lo, s22
                                        ; implicit-def: $vgpr30
                                        ; implicit-def: $vgpr1_vgpr2
.LBB47_4955:
	s_and_not1_saveexec_b32 s21, s21
	s_cbranch_execz .LBB47_4957
; %bb.4956:
	v_cvt_i32_f32_e32 v3, v30
	flat_store_b16 v[1:2], v3
.LBB47_4957:
	s_or_b32 exec_lo, exec_lo, s21
                                        ; implicit-def: $vgpr30
                                        ; implicit-def: $vgpr1_vgpr2
                                        ; implicit-def: $vgpr3
.LBB47_4958:
	s_and_not1_saveexec_b32 s20, s20
	s_cbranch_execz .LBB47_4964
; %bb.4959:
	s_mov_b32 s21, exec_lo
	v_cmpx_lt_i16_e32 0, v3
	s_xor_b32 s21, exec_lo, s21
	s_cbranch_execz .LBB47_4961
; %bb.4960:
	v_cvt_i32_f32_e32 v3, v30
                                        ; implicit-def: $vgpr30
	flat_store_b8 v[1:2], v3
                                        ; implicit-def: $vgpr1_vgpr2
.LBB47_4961:
	s_and_not1_saveexec_b32 s21, s21
	s_cbranch_execz .LBB47_4963
; %bb.4962:
	v_trunc_f32_e32 v3, v30
	s_delay_alu instid0(VALU_DEP_1) | instskip(NEXT) | instid1(VALU_DEP_1)
	v_mul_f32_e64 v4, 0x2f800000, |v3|
	v_floor_f32_e32 v4, v4
	s_delay_alu instid0(VALU_DEP_1) | instskip(SKIP_1) | instid1(VALU_DEP_2)
	v_fma_f32 v4, 0xcf800000, v4, |v3|
	v_ashrrev_i32_e32 v3, 31, v3
	v_cvt_u32_f32_e32 v4, v4
	s_delay_alu instid0(VALU_DEP_1) | instskip(NEXT) | instid1(VALU_DEP_1)
	v_xor_b32_e32 v4, v4, v3
	v_sub_nc_u32_e32 v3, v4, v3
	flat_store_b8 v[1:2], v3
.LBB47_4963:
	s_or_b32 exec_lo, exec_lo, s21
.LBB47_4964:
	s_delay_alu instid0(SALU_CYCLE_1)
	s_or_b32 exec_lo, exec_lo, s20
.LBB47_4965:
	s_delay_alu instid0(SALU_CYCLE_1) | instskip(NEXT) | instid1(SALU_CYCLE_1)
	s_or_b32 exec_lo, exec_lo, s19
	s_or_b32 s0, s0, exec_lo
	s_or_b32 exec_lo, exec_lo, s16
	s_mov_b32 s19, 0
	s_and_saveexec_b32 s16, s0
	s_cbranch_execnz .LBB47_3882
	s_branch .LBB47_3883
.LBB47_4966:
	v_bfe_u32 v3, v35, 20, 1
	s_mov_b32 s10, exec_lo
	s_delay_alu instid0(VALU_DEP_1) | instskip(NEXT) | instid1(VALU_DEP_1)
	v_add3_u32 v3, v35, v3, 0x487ffff
	v_lshrrev_b32_e32 v3, 20, v3
	s_or_saveexec_b32 s14, s14
                                        ; implicit-def: $sgpr15
	s_delay_alu instid0(SALU_CYCLE_1)
	s_xor_b32 exec_lo, exec_lo, s14
	s_cbranch_execz .LBB47_4250
.LBB47_4967:
	v_add_f32_e64 v3, 0x46000000, |v35|
	s_and_not1_b32 s10, s10, exec_lo
	s_mov_b32 s15, 0
	s_delay_alu instid0(VALU_DEP_1) | instskip(NEXT) | instid1(VALU_DEP_1)
	v_and_b32_e32 v3, 0xff, v3
	v_cmp_ne_u32_e32 vcc_lo, 0, v3
	s_and_b32 s16, vcc_lo, exec_lo
	s_delay_alu instid0(SALU_CYCLE_1)
	s_or_b32 s10, s10, s16
	s_or_b32 exec_lo, exec_lo, s14
	v_mov_b32_e32 v4, s15
	s_and_saveexec_b32 s14, s10
	s_cbranch_execnz .LBB47_4251
	s_branch .LBB47_4252
.LBB47_4968:
	s_mov_b32 s20, s16
	s_mov_b32 s21, exec_lo
	v_cmpx_lt_i16_e32 25, v3
	s_xor_b32 s21, exec_lo, s21
	s_cbranch_execz .LBB47_5004
; %bb.4969:
	s_mov_b32 s22, s16
	s_mov_b32 s20, exec_lo
	v_cmpx_lt_i16_e32 28, v3
	s_xor_b32 s20, exec_lo, s20
	s_cbranch_execz .LBB47_4987
; %bb.4970:
	;; [unrolled: 6-line block ×3, first 2 shown]
	s_mov_b32 s23, 0
	s_mov_b32 s24, s16
	s_mov_b32 s0, exec_lo
	v_cmpx_lt_i16_e32 45, v3
	s_xor_b32 s0, exec_lo, s0
	s_cbranch_execz .LBB47_4975
; %bb.4972:
	s_mov_b32 s25, -1
	s_mov_b32 s24, exec_lo
	v_cmpx_eq_u16_e32 46, v3
	s_cbranch_execz .LBB47_4974
; %bb.4973:
	v_bfe_u32 v3, v29, 16, 1
	v_cmp_o_f32_e32 vcc_lo, v29, v29
	s_mov_b32 s23, exec_lo
	s_xor_b32 s25, exec_lo, -1
	s_delay_alu instid0(VALU_DEP_2) | instskip(NEXT) | instid1(VALU_DEP_1)
	v_add3_u32 v3, v29, v3, 0x7fff
	v_lshrrev_b32_e32 v3, 16, v3
	s_delay_alu instid0(VALU_DEP_1)
	v_cndmask_b32_e32 v3, 0x7fc0, v3, vcc_lo
	flat_store_b32 v[1:2], v3
.LBB47_4974:
	s_or_b32 exec_lo, exec_lo, s24
	s_delay_alu instid0(SALU_CYCLE_1)
	s_and_not1_b32 s24, s16, exec_lo
	s_and_b32 s25, s25, exec_lo
	s_and_b32 s23, s23, exec_lo
	s_or_b32 s24, s24, s25
                                        ; implicit-def: $vgpr3
                                        ; implicit-def: $vgpr1_vgpr2
                                        ; implicit-def: $vgpr29
.LBB47_4975:
	s_and_not1_saveexec_b32 s25, s0
	s_cbranch_execz .LBB47_4981
; %bb.4976:
	s_mov_b32 s27, -1
	s_mov_b32 s0, s23
	s_mov_b32 s26, exec_lo
	v_cmpx_eq_u16_e32 44, v3
	s_cbranch_execz .LBB47_4980
; %bb.4977:
	v_bfe_u32 v4, v29, 23, 8
	v_mov_b32_e32 v3, 0xff
	s_mov_b32 s27, exec_lo
	s_delay_alu instid0(VALU_DEP_2)
	v_cmpx_ne_u32_e32 0xff, v4
; %bb.4978:
	v_and_b32_e32 v3, 0x400000, v29
	v_and_or_b32 v4, 0x3fffff, v29, v4
	s_delay_alu instid0(VALU_DEP_2) | instskip(NEXT) | instid1(VALU_DEP_2)
	v_cmp_ne_u32_e32 vcc_lo, 0, v3
	v_cmp_ne_u32_e64 s0, 0, v4
	v_lshrrev_b32_e32 v3, 23, v29
	s_delay_alu instid0(VALU_DEP_2) | instskip(NEXT) | instid1(SALU_CYCLE_1)
	s_and_b32 s0, vcc_lo, s0
	v_cndmask_b32_e64 v4, 0, 1, s0
	s_delay_alu instid0(VALU_DEP_1)
	v_add_nc_u32_e32 v3, v3, v4
; %bb.4979:
	s_or_b32 exec_lo, exec_lo, s27
	s_delay_alu instid0(SALU_CYCLE_1)
	s_xor_b32 s27, exec_lo, -1
	s_or_b32 s0, s23, exec_lo
	flat_store_b8 v[1:2], v3
.LBB47_4980:
	s_or_b32 exec_lo, exec_lo, s26
	s_delay_alu instid0(SALU_CYCLE_1)
	s_and_not1_b32 s24, s24, exec_lo
	s_and_b32 s26, s27, exec_lo
	s_and_not1_b32 s23, s23, exec_lo
	s_and_b32 s0, s0, exec_lo
	s_or_b32 s24, s24, s26
	s_or_b32 s23, s23, s0
.LBB47_4981:
	s_or_b32 exec_lo, exec_lo, s25
	s_delay_alu instid0(SALU_CYCLE_1) | instskip(SKIP_1) | instid1(SALU_CYCLE_1)
	s_and_not1_b32 s0, s16, exec_lo
	s_and_b32 s24, s24, exec_lo
                                        ; implicit-def: $vgpr3
                                        ; implicit-def: $vgpr29
                                        ; implicit-def: $vgpr1_vgpr2
	s_or_b32 s24, s0, s24
	s_and_b32 s0, s23, exec_lo
.LBB47_4982:
	s_and_not1_saveexec_b32 s22, s22
	s_cbranch_execz .LBB47_4986
; %bb.4983:
	s_mov_b32 s26, -1
	s_mov_b32 s25, s0
	s_mov_b32 s23, exec_lo
	v_cmpx_eq_u16_e32 29, v3
	s_cbranch_execz .LBB47_4985
; %bb.4984:
	v_trunc_f32_e32 v3, v29
	s_xor_b32 s26, exec_lo, -1
	s_or_b32 s25, s0, exec_lo
	s_delay_alu instid0(VALU_DEP_1) | instskip(NEXT) | instid1(VALU_DEP_1)
	v_mul_f32_e32 v4, 0x2f800000, v3
	v_floor_f32_e32 v4, v4
	s_delay_alu instid0(VALU_DEP_1) | instskip(SKIP_1) | instid1(VALU_DEP_2)
	v_fmamk_f32 v3, v4, 0xcf800000, v3
	v_cvt_u32_f32_e32 v4, v4
	v_cvt_u32_f32_e32 v3, v3
	flat_store_b64 v[1:2], v[3:4]
.LBB47_4985:
	s_or_b32 exec_lo, exec_lo, s23
	s_delay_alu instid0(SALU_CYCLE_1)
	s_and_not1_b32 s23, s24, exec_lo
	s_and_b32 s24, s26, exec_lo
	s_and_not1_b32 s0, s0, exec_lo
	s_and_b32 s25, s25, exec_lo
	s_or_b32 s24, s23, s24
	s_or_b32 s0, s0, s25
.LBB47_4986:
	s_or_b32 exec_lo, exec_lo, s22
	s_delay_alu instid0(SALU_CYCLE_1)
	s_and_not1_b32 s22, s16, exec_lo
	s_and_b32 s23, s24, exec_lo
	s_and_b32 s0, s0, exec_lo
	s_or_b32 s22, s22, s23
                                        ; implicit-def: $vgpr1_vgpr2
                                        ; implicit-def: $vgpr3
                                        ; implicit-def: $vgpr29
.LBB47_4987:
	s_and_not1_saveexec_b32 s20, s20
	s_cbranch_execz .LBB47_5003
; %bb.4988:
	s_mov_b32 s23, exec_lo
	v_cmpx_lt_i16_e32 26, v3
	s_xor_b32 s23, exec_lo, s23
	s_cbranch_execz .LBB47_4994
; %bb.4989:
	s_mov_b32 s24, exec_lo
	v_cmpx_lt_i16_e32 27, v3
	s_xor_b32 s24, exec_lo, s24
	s_cbranch_execz .LBB47_4991
; %bb.4990:
	v_cvt_u32_f32_e32 v3, v29
                                        ; implicit-def: $vgpr29
	flat_store_b32 v[1:2], v3
                                        ; implicit-def: $vgpr1_vgpr2
.LBB47_4991:
	s_and_not1_saveexec_b32 s24, s24
	s_cbranch_execz .LBB47_4993
; %bb.4992:
	v_cvt_u32_f32_e32 v3, v29
	flat_store_b16 v[1:2], v3
.LBB47_4993:
	s_or_b32 exec_lo, exec_lo, s24
                                        ; implicit-def: $vgpr1_vgpr2
                                        ; implicit-def: $vgpr29
.LBB47_4994:
	s_and_not1_saveexec_b32 s23, s23
	s_cbranch_execz .LBB47_5002
; %bb.4995:
	v_and_b32_e32 v3, 0x7fffffff, v29
	v_mov_b32_e32 v4, 0x80
	s_mov_b32 s24, exec_lo
	s_delay_alu instid0(VALU_DEP_2)
	v_cmpx_gt_u32_e32 0x43800000, v3
	s_cbranch_execz .LBB47_5001
; %bb.4996:
	v_cmp_lt_u32_e32 vcc_lo, 0x3bffffff, v3
	s_mov_b32 s25, 0
                                        ; implicit-def: $vgpr3
	s_and_saveexec_b32 s26, vcc_lo
	s_delay_alu instid0(SALU_CYCLE_1)
	s_xor_b32 s26, exec_lo, s26
	s_cbranch_execnz .LBB47_5722
; %bb.4997:
	s_or_saveexec_b32 s26, s26
                                        ; implicit-def: $sgpr27
	s_delay_alu instid0(SALU_CYCLE_1)
	s_xor_b32 exec_lo, exec_lo, s26
	s_cbranch_execnz .LBB47_5723
.LBB47_4998:
	s_or_b32 exec_lo, exec_lo, s26
	v_mov_b32_e32 v4, s27
	s_and_saveexec_b32 s26, s25
.LBB47_4999:
	v_lshrrev_b32_e32 v4, 24, v29
	s_delay_alu instid0(VALU_DEP_1)
	v_and_or_b32 v4, 0x80, v4, v3
.LBB47_5000:
	s_or_b32 exec_lo, exec_lo, s26
.LBB47_5001:
	s_delay_alu instid0(SALU_CYCLE_1)
	s_or_b32 exec_lo, exec_lo, s24
	flat_store_b8 v[1:2], v4
.LBB47_5002:
	s_or_b32 exec_lo, exec_lo, s23
	s_delay_alu instid0(SALU_CYCLE_1)
	s_or_b32 s0, s0, exec_lo
.LBB47_5003:
	s_or_b32 exec_lo, exec_lo, s20
	s_delay_alu instid0(SALU_CYCLE_1)
	s_and_not1_b32 s20, s16, exec_lo
	s_and_b32 s22, s22, exec_lo
	s_and_b32 s0, s0, exec_lo
	s_or_b32 s20, s20, s22
                                        ; implicit-def: $vgpr3
                                        ; implicit-def: $vgpr29
                                        ; implicit-def: $vgpr1_vgpr2
.LBB47_5004:
	s_and_not1_saveexec_b32 s21, s21
	s_cbranch_execz .LBB47_5048
; %bb.5005:
	s_mov_b32 s23, s0
	s_mov_b32 s22, exec_lo
	v_cmpx_lt_i16_e32 22, v3
	s_xor_b32 s22, exec_lo, s22
	s_cbranch_execz .LBB47_5037
; %bb.5006:
	s_mov_b32 s23, exec_lo
	v_cmpx_lt_i16_e32 23, v3
	s_xor_b32 s23, exec_lo, s23
	s_cbranch_execz .LBB47_5026
; %bb.5007:
	;; [unrolled: 5-line block ×3, first 2 shown]
	v_and_b32_e32 v3, 0x7fffffff, v29
	v_mov_b32_e32 v4, 0x80
	s_mov_b32 s25, exec_lo
	s_delay_alu instid0(VALU_DEP_2)
	v_cmpx_gt_u32_e32 0x47800000, v3
	s_cbranch_execz .LBB47_5014
; %bb.5009:
	v_cmp_lt_u32_e32 vcc_lo, 0x37ffffff, v3
	s_mov_b32 s26, 0
                                        ; implicit-def: $vgpr3
	s_and_saveexec_b32 s27, vcc_lo
	s_delay_alu instid0(SALU_CYCLE_1)
	s_xor_b32 s27, exec_lo, s27
	s_cbranch_execnz .LBB47_5846
; %bb.5010:
	s_or_saveexec_b32 s27, s27
                                        ; implicit-def: $sgpr28
	s_delay_alu instid0(SALU_CYCLE_1)
	s_xor_b32 exec_lo, exec_lo, s27
	s_cbranch_execnz .LBB47_5847
.LBB47_5011:
	s_or_b32 exec_lo, exec_lo, s27
	v_mov_b32_e32 v4, s28
	s_and_saveexec_b32 s27, s26
.LBB47_5012:
	v_lshrrev_b32_e32 v4, 24, v29
	s_delay_alu instid0(VALU_DEP_1)
	v_and_or_b32 v4, 0x80, v4, v3
.LBB47_5013:
	s_or_b32 exec_lo, exec_lo, s27
.LBB47_5014:
	s_delay_alu instid0(SALU_CYCLE_1)
	s_or_b32 exec_lo, exec_lo, s25
	flat_store_b8 v[1:2], v4
                                        ; implicit-def: $vgpr29
                                        ; implicit-def: $vgpr1_vgpr2
.LBB47_5015:
	s_and_not1_saveexec_b32 s24, s24
	s_cbranch_execz .LBB47_5025
; %bb.5016:
	v_and_b32_e32 v4, 0x7fffffff, v29
	s_mov_b32 s25, exec_lo
                                        ; implicit-def: $vgpr3
	s_delay_alu instid0(VALU_DEP_1)
	v_cmpx_gt_u32_e32 0x43f00000, v4
	s_xor_b32 s25, exec_lo, s25
	s_cbranch_execz .LBB47_5022
; %bb.5017:
	s_mov_b32 s26, exec_lo
                                        ; implicit-def: $vgpr3
	v_cmpx_lt_u32_e32 0x3c7fffff, v4
	s_xor_b32 s26, exec_lo, s26
; %bb.5018:
	v_bfe_u32 v3, v29, 20, 1
	s_delay_alu instid0(VALU_DEP_1) | instskip(NEXT) | instid1(VALU_DEP_1)
	v_add3_u32 v3, v29, v3, 0x407ffff
	v_and_b32_e32 v4, 0xff00000, v3
	v_lshrrev_b32_e32 v3, 20, v3
	s_delay_alu instid0(VALU_DEP_2) | instskip(NEXT) | instid1(VALU_DEP_2)
	v_cmp_ne_u32_e32 vcc_lo, 0x7f00000, v4
	v_cndmask_b32_e32 v3, 0x7e, v3, vcc_lo
; %bb.5019:
	s_and_not1_saveexec_b32 s26, s26
; %bb.5020:
	v_add_f32_e64 v3, 0x46800000, |v29|
; %bb.5021:
	s_or_b32 exec_lo, exec_lo, s26
                                        ; implicit-def: $vgpr4
.LBB47_5022:
	s_and_not1_saveexec_b32 s25, s25
; %bb.5023:
	v_mov_b32_e32 v3, 0x7f
	v_cmp_lt_u32_e32 vcc_lo, 0x7f800000, v4
	s_delay_alu instid0(VALU_DEP_2)
	v_cndmask_b32_e32 v3, 0x7e, v3, vcc_lo
; %bb.5024:
	s_or_b32 exec_lo, exec_lo, s25
	v_lshrrev_b32_e32 v4, 24, v29
	s_delay_alu instid0(VALU_DEP_1)
	v_and_or_b32 v3, 0x80, v4, v3
	flat_store_b8 v[1:2], v3
.LBB47_5025:
	s_or_b32 exec_lo, exec_lo, s24
                                        ; implicit-def: $vgpr29
                                        ; implicit-def: $vgpr1_vgpr2
.LBB47_5026:
	s_and_not1_saveexec_b32 s23, s23
	s_cbranch_execz .LBB47_5036
; %bb.5027:
	v_and_b32_e32 v4, 0x7fffffff, v29
	s_mov_b32 s24, exec_lo
                                        ; implicit-def: $vgpr3
	s_delay_alu instid0(VALU_DEP_1)
	v_cmpx_gt_u32_e32 0x47800000, v4
	s_xor_b32 s24, exec_lo, s24
	s_cbranch_execz .LBB47_5033
; %bb.5028:
	s_mov_b32 s25, exec_lo
                                        ; implicit-def: $vgpr3
	v_cmpx_lt_u32_e32 0x387fffff, v4
	s_xor_b32 s25, exec_lo, s25
; %bb.5029:
	v_bfe_u32 v3, v29, 21, 1
	s_delay_alu instid0(VALU_DEP_1) | instskip(NEXT) | instid1(VALU_DEP_1)
	v_add3_u32 v3, v29, v3, 0x80fffff
	v_lshrrev_b32_e32 v3, 21, v3
; %bb.5030:
	s_and_not1_saveexec_b32 s25, s25
; %bb.5031:
	v_add_f32_e64 v3, 0x43000000, |v29|
; %bb.5032:
	s_or_b32 exec_lo, exec_lo, s25
                                        ; implicit-def: $vgpr4
.LBB47_5033:
	s_and_not1_saveexec_b32 s24, s24
; %bb.5034:
	v_mov_b32_e32 v3, 0x7f
	v_cmp_lt_u32_e32 vcc_lo, 0x7f800000, v4
	s_delay_alu instid0(VALU_DEP_2)
	v_cndmask_b32_e32 v3, 0x7c, v3, vcc_lo
; %bb.5035:
	s_or_b32 exec_lo, exec_lo, s24
	v_lshrrev_b32_e32 v4, 24, v29
	s_delay_alu instid0(VALU_DEP_1)
	v_and_or_b32 v3, 0x80, v4, v3
	flat_store_b8 v[1:2], v3
.LBB47_5036:
	s_or_b32 exec_lo, exec_lo, s23
	s_delay_alu instid0(SALU_CYCLE_1)
	s_or_b32 s23, s0, exec_lo
                                        ; implicit-def: $vgpr3
                                        ; implicit-def: $vgpr29
                                        ; implicit-def: $vgpr1_vgpr2
.LBB47_5037:
	s_or_saveexec_b32 s22, s22
	s_mov_b32 s24, s20
	s_xor_b32 exec_lo, exec_lo, s22
	s_cbranch_execz .LBB47_5047
; %bb.5038:
	s_mov_b32 s24, s23
	s_mov_b32 s25, s20
	s_mov_b32 s26, exec_lo
	v_cmpx_lt_i16_e32 14, v3
	s_xor_b32 s26, exec_lo, s26
	s_cbranch_execz .LBB47_5042
; %bb.5039:
	s_mov_b32 s27, -1
	s_mov_b32 s24, s23
	s_mov_b32 s25, exec_lo
	v_cmpx_eq_u16_e32 15, v3
	s_cbranch_execz .LBB47_5041
; %bb.5040:
	v_bfe_u32 v3, v29, 16, 1
	v_cmp_o_f32_e32 vcc_lo, v29, v29
	s_xor_b32 s27, exec_lo, -1
	s_or_b32 s24, s23, exec_lo
	s_delay_alu instid0(VALU_DEP_2) | instskip(NEXT) | instid1(VALU_DEP_1)
	v_add3_u32 v3, v29, v3, 0x7fff
	v_lshrrev_b32_e32 v3, 16, v3
	s_delay_alu instid0(VALU_DEP_1)
	v_cndmask_b32_e32 v3, 0x7fc0, v3, vcc_lo
	flat_store_b16 v[1:2], v3
.LBB47_5041:
	s_or_b32 exec_lo, exec_lo, s25
	s_delay_alu instid0(SALU_CYCLE_1)
	s_and_not1_b32 s25, s20, exec_lo
	s_and_b32 s27, s27, exec_lo
	s_and_not1_b32 s28, s23, exec_lo
	s_and_b32 s24, s24, exec_lo
	s_or_b32 s25, s25, s27
	s_or_b32 s24, s28, s24
                                        ; implicit-def: $vgpr3
                                        ; implicit-def: $vgpr29
                                        ; implicit-def: $vgpr1_vgpr2
.LBB47_5042:
	s_and_not1_saveexec_b32 s26, s26
	s_cbranch_execz .LBB47_5046
; %bb.5043:
	s_mov_b32 s28, -1
	s_mov_b32 s27, s24
	s_mov_b32 s29, exec_lo
	v_cmpx_eq_u16_e32 11, v3
	s_cbranch_execz .LBB47_5045
; %bb.5044:
	v_cmp_neq_f32_e32 vcc_lo, 0, v29
	s_xor_b32 s28, exec_lo, -1
	s_or_b32 s27, s24, exec_lo
	v_cndmask_b32_e64 v3, 0, 1, vcc_lo
	flat_store_b8 v[1:2], v3
.LBB47_5045:
	s_or_b32 exec_lo, exec_lo, s29
	s_delay_alu instid0(SALU_CYCLE_1)
	s_and_not1_b32 s25, s25, exec_lo
	s_and_b32 s28, s28, exec_lo
	s_and_not1_b32 s24, s24, exec_lo
	s_and_b32 s27, s27, exec_lo
	s_or_b32 s25, s25, s28
	s_or_b32 s24, s24, s27
.LBB47_5046:
	s_or_b32 exec_lo, exec_lo, s26
	s_delay_alu instid0(SALU_CYCLE_1)
	s_and_not1_b32 s26, s20, exec_lo
	s_and_b32 s25, s25, exec_lo
	s_and_not1_b32 s23, s23, exec_lo
	s_and_b32 s27, s24, exec_lo
	s_or_b32 s24, s26, s25
	s_or_b32 s23, s23, s27
.LBB47_5047:
	s_or_b32 exec_lo, exec_lo, s22
	s_delay_alu instid0(SALU_CYCLE_1)
	s_and_not1_b32 s20, s20, exec_lo
	s_and_b32 s22, s24, exec_lo
	s_and_not1_b32 s0, s0, exec_lo
	s_and_b32 s23, s23, exec_lo
	s_or_b32 s20, s20, s22
	s_or_b32 s0, s0, s23
.LBB47_5048:
	s_or_b32 exec_lo, exec_lo, s21
	s_delay_alu instid0(SALU_CYCLE_1)
	s_and_not1_b32 s21, s16, exec_lo
	s_and_b32 s20, s20, exec_lo
	s_and_b32 s0, s0, exec_lo
	s_or_b32 s20, s21, s20
                                        ; implicit-def: $vgpr3
                                        ; implicit-def: $vgpr29
                                        ; implicit-def: $vgpr1_vgpr2
	s_and_not1_saveexec_b32 s18, s18
	s_cbranch_execz .LBB47_3888
.LBB47_5049:
	s_mov_b32 s21, exec_lo
	v_cmpx_lt_i16_e32 4, v3
	s_xor_b32 s21, exec_lo, s21
	s_cbranch_execz .LBB47_5071
; %bb.5050:
	s_mov_b32 s22, exec_lo
	v_cmpx_lt_i16_e32 7, v3
	s_xor_b32 s22, exec_lo, s22
	s_cbranch_execz .LBB47_5060
; %bb.5051:
	;; [unrolled: 5-line block ×4, first 2 shown]
	v_cvt_f64_f32_e32 v[29:30], v29
	v_mov_b32_e32 v31, 0
	s_delay_alu instid0(VALU_DEP_1)
	v_mov_b32_e32 v32, v31
	flat_store_b128 v[1:2], v[29:32]
                                        ; implicit-def: $vgpr29
                                        ; implicit-def: $vgpr1_vgpr2
.LBB47_5054:
	s_and_not1_saveexec_b32 s24, s24
	s_cbranch_execz .LBB47_5056
; %bb.5055:
	v_mov_b32_e32 v30, 0
	flat_store_b64 v[1:2], v[29:30]
.LBB47_5056:
	s_or_b32 exec_lo, exec_lo, s24
                                        ; implicit-def: $vgpr29
                                        ; implicit-def: $vgpr1_vgpr2
.LBB47_5057:
	s_and_not1_saveexec_b32 s23, s23
	s_cbranch_execz .LBB47_5059
; %bb.5058:
	v_cvt_f16_f32_e32 v3, v29
	s_delay_alu instid0(VALU_DEP_1)
	v_and_b32_e32 v3, 0xffff, v3
	flat_store_b32 v[1:2], v3
.LBB47_5059:
	s_or_b32 exec_lo, exec_lo, s23
                                        ; implicit-def: $vgpr29
                                        ; implicit-def: $vgpr1_vgpr2
                                        ; implicit-def: $vgpr3
.LBB47_5060:
	s_and_not1_saveexec_b32 s22, s22
	s_cbranch_execz .LBB47_5070
; %bb.5061:
	s_mov_b32 s23, exec_lo
	v_cmpx_lt_i16_e32 5, v3
	s_xor_b32 s23, exec_lo, s23
	s_cbranch_execz .LBB47_5067
; %bb.5062:
	s_mov_b32 s24, exec_lo
	v_cmpx_lt_i16_e32 6, v3
	s_xor_b32 s24, exec_lo, s24
	s_cbranch_execz .LBB47_5064
; %bb.5063:
	v_cvt_f64_f32_e32 v[3:4], v29
                                        ; implicit-def: $vgpr29
	flat_store_b64 v[1:2], v[3:4]
                                        ; implicit-def: $vgpr1_vgpr2
.LBB47_5064:
	s_and_not1_saveexec_b32 s24, s24
	s_cbranch_execz .LBB47_5066
; %bb.5065:
	flat_store_b32 v[1:2], v29
.LBB47_5066:
	s_or_b32 exec_lo, exec_lo, s24
                                        ; implicit-def: $vgpr29
                                        ; implicit-def: $vgpr1_vgpr2
.LBB47_5067:
	s_and_not1_saveexec_b32 s23, s23
	s_cbranch_execz .LBB47_5069
; %bb.5068:
	v_cvt_f16_f32_e32 v3, v29
	flat_store_b16 v[1:2], v3
.LBB47_5069:
	s_or_b32 exec_lo, exec_lo, s23
.LBB47_5070:
	s_delay_alu instid0(SALU_CYCLE_1)
	s_or_b32 exec_lo, exec_lo, s22
                                        ; implicit-def: $vgpr3
                                        ; implicit-def: $vgpr29
                                        ; implicit-def: $vgpr1_vgpr2
.LBB47_5071:
	s_and_not1_saveexec_b32 s21, s21
	s_cbranch_execz .LBB47_5089
; %bb.5072:
	s_mov_b32 s22, exec_lo
	v_cmpx_lt_i16_e32 1, v3
	s_xor_b32 s22, exec_lo, s22
	s_cbranch_execz .LBB47_5082
; %bb.5073:
	s_mov_b32 s23, exec_lo
	v_cmpx_lt_i16_e32 2, v3
	s_xor_b32 s23, exec_lo, s23
	;; [unrolled: 5-line block ×3, first 2 shown]
	s_cbranch_execz .LBB47_5076
; %bb.5075:
	v_trunc_f32_e32 v3, v29
                                        ; implicit-def: $vgpr29
	s_delay_alu instid0(VALU_DEP_1) | instskip(SKIP_1) | instid1(VALU_DEP_2)
	v_mul_f32_e64 v4, 0x2f800000, |v3|
	v_ashrrev_i32_e32 v10, 31, v3
	v_floor_f32_e32 v4, v4
	s_delay_alu instid0(VALU_DEP_1) | instskip(SKIP_1) | instid1(VALU_DEP_2)
	v_fma_f32 v5, 0xcf800000, v4, |v3|
	v_cvt_u32_f32_e32 v4, v4
	v_cvt_u32_f32_e32 v3, v5
	s_delay_alu instid0(VALU_DEP_2) | instskip(NEXT) | instid1(VALU_DEP_2)
	v_xor_b32_e32 v4, v4, v10
	v_xor_b32_e32 v3, v3, v10
	s_delay_alu instid0(VALU_DEP_1) | instskip(NEXT) | instid1(VALU_DEP_3)
	v_sub_co_u32 v3, vcc_lo, v3, v10
	v_sub_co_ci_u32_e32 v4, vcc_lo, v4, v10, vcc_lo
	flat_store_b64 v[1:2], v[3:4]
                                        ; implicit-def: $vgpr1_vgpr2
.LBB47_5076:
	s_and_not1_saveexec_b32 s24, s24
	s_cbranch_execz .LBB47_5078
; %bb.5077:
	v_cvt_i32_f32_e32 v3, v29
	flat_store_b32 v[1:2], v3
.LBB47_5078:
	s_or_b32 exec_lo, exec_lo, s24
                                        ; implicit-def: $vgpr29
                                        ; implicit-def: $vgpr1_vgpr2
.LBB47_5079:
	s_and_not1_saveexec_b32 s23, s23
	s_cbranch_execz .LBB47_5081
; %bb.5080:
	v_cvt_i32_f32_e32 v3, v29
	flat_store_b16 v[1:2], v3
.LBB47_5081:
	s_or_b32 exec_lo, exec_lo, s23
                                        ; implicit-def: $vgpr29
                                        ; implicit-def: $vgpr1_vgpr2
                                        ; implicit-def: $vgpr3
.LBB47_5082:
	s_and_not1_saveexec_b32 s22, s22
	s_cbranch_execz .LBB47_5088
; %bb.5083:
	s_mov_b32 s23, exec_lo
	v_cmpx_lt_i16_e32 0, v3
	s_xor_b32 s23, exec_lo, s23
	s_cbranch_execz .LBB47_5085
; %bb.5084:
	v_cvt_i32_f32_e32 v3, v29
                                        ; implicit-def: $vgpr29
	flat_store_b8 v[1:2], v3
                                        ; implicit-def: $vgpr1_vgpr2
.LBB47_5085:
	s_and_not1_saveexec_b32 s23, s23
	s_cbranch_execz .LBB47_5087
; %bb.5086:
	v_trunc_f32_e32 v3, v29
	s_delay_alu instid0(VALU_DEP_1) | instskip(NEXT) | instid1(VALU_DEP_1)
	v_mul_f32_e64 v4, 0x2f800000, |v3|
	v_floor_f32_e32 v4, v4
	s_delay_alu instid0(VALU_DEP_1) | instskip(SKIP_1) | instid1(VALU_DEP_2)
	v_fma_f32 v4, 0xcf800000, v4, |v3|
	v_ashrrev_i32_e32 v3, 31, v3
	v_cvt_u32_f32_e32 v4, v4
	s_delay_alu instid0(VALU_DEP_1) | instskip(NEXT) | instid1(VALU_DEP_1)
	v_xor_b32_e32 v4, v4, v3
	v_sub_nc_u32_e32 v3, v4, v3
	flat_store_b8 v[1:2], v3
.LBB47_5087:
	s_or_b32 exec_lo, exec_lo, s23
.LBB47_5088:
	s_delay_alu instid0(SALU_CYCLE_1)
	s_or_b32 exec_lo, exec_lo, s22
.LBB47_5089:
	s_delay_alu instid0(SALU_CYCLE_1) | instskip(NEXT) | instid1(SALU_CYCLE_1)
	s_or_b32 exec_lo, exec_lo, s21
	s_or_b32 s0, s0, exec_lo
	s_or_b32 exec_lo, exec_lo, s18
	s_mov_b32 s21, 0
	s_and_saveexec_b32 s18, s0
	s_cbranch_execnz .LBB47_3889
	s_branch .LBB47_3890
.LBB47_5090:
	v_bfe_u32 v3, v35, 21, 1
	s_mov_b32 s14, exec_lo
	s_delay_alu instid0(VALU_DEP_1) | instskip(NEXT) | instid1(VALU_DEP_1)
	v_add3_u32 v3, v35, v3, 0x88fffff
	v_lshrrev_b32_e32 v3, 21, v3
	s_or_saveexec_b32 s15, s15
                                        ; implicit-def: $sgpr16
	s_delay_alu instid0(SALU_CYCLE_1)
	s_xor_b32 exec_lo, exec_lo, s15
	s_cbranch_execz .LBB47_4263
.LBB47_5091:
	v_add_f32_e64 v3, 0x42800000, |v35|
	s_and_not1_b32 s14, s14, exec_lo
	s_mov_b32 s16, 0
	s_delay_alu instid0(VALU_DEP_1) | instskip(NEXT) | instid1(VALU_DEP_1)
	v_and_b32_e32 v3, 0xff, v3
	v_cmp_ne_u32_e32 vcc_lo, 0, v3
	s_and_b32 s17, vcc_lo, exec_lo
	s_delay_alu instid0(SALU_CYCLE_1)
	s_or_b32 s14, s14, s17
	s_or_b32 exec_lo, exec_lo, s15
	v_mov_b32_e32 v4, s16
	s_and_saveexec_b32 s15, s14
	s_cbranch_execnz .LBB47_4264
	s_branch .LBB47_4265
.LBB47_5092:
	v_bfe_u32 v3, v34, 20, 1
	s_mov_b32 s15, exec_lo
	s_delay_alu instid0(VALU_DEP_1) | instskip(NEXT) | instid1(VALU_DEP_1)
	v_add3_u32 v3, v34, v3, 0x487ffff
	v_lshrrev_b32_e32 v3, 20, v3
	s_or_saveexec_b32 s16, s16
                                        ; implicit-def: $sgpr17
	s_delay_alu instid0(SALU_CYCLE_1)
	s_xor_b32 exec_lo, exec_lo, s16
	s_cbranch_execz .LBB47_4376
.LBB47_5093:
	v_add_f32_e64 v3, 0x46000000, |v34|
	s_and_not1_b32 s15, s15, exec_lo
	s_mov_b32 s17, 0
	s_delay_alu instid0(VALU_DEP_1) | instskip(NEXT) | instid1(VALU_DEP_1)
	v_and_b32_e32 v3, 0xff, v3
	v_cmp_ne_u32_e32 vcc_lo, 0, v3
	s_and_b32 s18, vcc_lo, exec_lo
	s_delay_alu instid0(SALU_CYCLE_1)
	s_or_b32 s15, s15, s18
	s_or_b32 exec_lo, exec_lo, s16
	v_mov_b32_e32 v4, s17
	s_and_saveexec_b32 s16, s15
	s_cbranch_execnz .LBB47_4377
	s_branch .LBB47_4378
.LBB47_5094:
	s_mov_b32 s22, s18
	s_mov_b32 s23, exec_lo
	v_cmpx_lt_i16_e32 25, v3
	s_xor_b32 s23, exec_lo, s23
	s_cbranch_execz .LBB47_5130
; %bb.5095:
	s_mov_b32 s24, s18
	s_mov_b32 s22, exec_lo
	v_cmpx_lt_i16_e32 28, v3
	s_xor_b32 s22, exec_lo, s22
	s_cbranch_execz .LBB47_5113
; %bb.5096:
	;; [unrolled: 6-line block ×3, first 2 shown]
	s_mov_b32 s25, 0
	s_mov_b32 s26, s18
	s_mov_b32 s0, exec_lo
	v_cmpx_lt_i16_e32 45, v3
	s_xor_b32 s0, exec_lo, s0
	s_cbranch_execz .LBB47_5101
; %bb.5098:
	s_mov_b32 s27, -1
	s_mov_b32 s26, exec_lo
	v_cmpx_eq_u16_e32 46, v3
	s_cbranch_execz .LBB47_5100
; %bb.5099:
	v_bfe_u32 v3, v28, 16, 1
	v_cmp_o_f32_e32 vcc_lo, v28, v28
	s_mov_b32 s25, exec_lo
	s_xor_b32 s27, exec_lo, -1
	s_delay_alu instid0(VALU_DEP_2) | instskip(NEXT) | instid1(VALU_DEP_1)
	v_add3_u32 v3, v28, v3, 0x7fff
	v_lshrrev_b32_e32 v3, 16, v3
	s_delay_alu instid0(VALU_DEP_1)
	v_cndmask_b32_e32 v3, 0x7fc0, v3, vcc_lo
	flat_store_b32 v[1:2], v3
.LBB47_5100:
	s_or_b32 exec_lo, exec_lo, s26
	s_delay_alu instid0(SALU_CYCLE_1)
	s_and_not1_b32 s26, s18, exec_lo
	s_and_b32 s27, s27, exec_lo
	s_and_b32 s25, s25, exec_lo
	s_or_b32 s26, s26, s27
                                        ; implicit-def: $vgpr3
                                        ; implicit-def: $vgpr1_vgpr2
                                        ; implicit-def: $vgpr28
.LBB47_5101:
	s_and_not1_saveexec_b32 s27, s0
	s_cbranch_execz .LBB47_5107
; %bb.5102:
	s_mov_b32 s29, -1
	s_mov_b32 s0, s25
	s_mov_b32 s28, exec_lo
	v_cmpx_eq_u16_e32 44, v3
	s_cbranch_execz .LBB47_5106
; %bb.5103:
	v_bfe_u32 v4, v28, 23, 8
	v_mov_b32_e32 v3, 0xff
	s_mov_b32 s29, exec_lo
	s_delay_alu instid0(VALU_DEP_2)
	v_cmpx_ne_u32_e32 0xff, v4
; %bb.5104:
	v_and_b32_e32 v3, 0x400000, v28
	v_and_or_b32 v4, 0x3fffff, v28, v4
	s_delay_alu instid0(VALU_DEP_2) | instskip(NEXT) | instid1(VALU_DEP_2)
	v_cmp_ne_u32_e32 vcc_lo, 0, v3
	v_cmp_ne_u32_e64 s0, 0, v4
	v_lshrrev_b32_e32 v3, 23, v28
	s_delay_alu instid0(VALU_DEP_2) | instskip(NEXT) | instid1(SALU_CYCLE_1)
	s_and_b32 s0, vcc_lo, s0
	v_cndmask_b32_e64 v4, 0, 1, s0
	s_delay_alu instid0(VALU_DEP_1)
	v_add_nc_u32_e32 v3, v3, v4
; %bb.5105:
	s_or_b32 exec_lo, exec_lo, s29
	s_delay_alu instid0(SALU_CYCLE_1)
	s_xor_b32 s29, exec_lo, -1
	s_or_b32 s0, s25, exec_lo
	flat_store_b8 v[1:2], v3
.LBB47_5106:
	s_or_b32 exec_lo, exec_lo, s28
	s_delay_alu instid0(SALU_CYCLE_1)
	s_and_not1_b32 s26, s26, exec_lo
	s_and_b32 s28, s29, exec_lo
	s_and_not1_b32 s25, s25, exec_lo
	s_and_b32 s0, s0, exec_lo
	s_or_b32 s26, s26, s28
	s_or_b32 s25, s25, s0
.LBB47_5107:
	s_or_b32 exec_lo, exec_lo, s27
	s_delay_alu instid0(SALU_CYCLE_1) | instskip(SKIP_1) | instid1(SALU_CYCLE_1)
	s_and_not1_b32 s0, s18, exec_lo
	s_and_b32 s26, s26, exec_lo
                                        ; implicit-def: $vgpr3
                                        ; implicit-def: $vgpr28
                                        ; implicit-def: $vgpr1_vgpr2
	s_or_b32 s26, s0, s26
	s_and_b32 s0, s25, exec_lo
.LBB47_5108:
	s_and_not1_saveexec_b32 s24, s24
	s_cbranch_execz .LBB47_5112
; %bb.5109:
	s_mov_b32 s28, -1
	s_mov_b32 s27, s0
	s_mov_b32 s25, exec_lo
	v_cmpx_eq_u16_e32 29, v3
	s_cbranch_execz .LBB47_5111
; %bb.5110:
	v_trunc_f32_e32 v3, v28
	s_xor_b32 s28, exec_lo, -1
	s_or_b32 s27, s0, exec_lo
	s_delay_alu instid0(VALU_DEP_1) | instskip(NEXT) | instid1(VALU_DEP_1)
	v_mul_f32_e32 v4, 0x2f800000, v3
	v_floor_f32_e32 v4, v4
	s_delay_alu instid0(VALU_DEP_1) | instskip(SKIP_1) | instid1(VALU_DEP_2)
	v_fmamk_f32 v3, v4, 0xcf800000, v3
	v_cvt_u32_f32_e32 v4, v4
	v_cvt_u32_f32_e32 v3, v3
	flat_store_b64 v[1:2], v[3:4]
.LBB47_5111:
	s_or_b32 exec_lo, exec_lo, s25
	s_delay_alu instid0(SALU_CYCLE_1)
	s_and_not1_b32 s25, s26, exec_lo
	s_and_b32 s26, s28, exec_lo
	s_and_not1_b32 s0, s0, exec_lo
	s_and_b32 s27, s27, exec_lo
	s_or_b32 s26, s25, s26
	s_or_b32 s0, s0, s27
.LBB47_5112:
	s_or_b32 exec_lo, exec_lo, s24
	s_delay_alu instid0(SALU_CYCLE_1)
	s_and_not1_b32 s24, s18, exec_lo
	s_and_b32 s25, s26, exec_lo
	s_and_b32 s0, s0, exec_lo
	s_or_b32 s24, s24, s25
                                        ; implicit-def: $vgpr1_vgpr2
                                        ; implicit-def: $vgpr3
                                        ; implicit-def: $vgpr28
.LBB47_5113:
	s_and_not1_saveexec_b32 s22, s22
	s_cbranch_execz .LBB47_5129
; %bb.5114:
	s_mov_b32 s25, exec_lo
	v_cmpx_lt_i16_e32 26, v3
	s_xor_b32 s25, exec_lo, s25
	s_cbranch_execz .LBB47_5120
; %bb.5115:
	s_mov_b32 s26, exec_lo
	v_cmpx_lt_i16_e32 27, v3
	s_xor_b32 s26, exec_lo, s26
	s_cbranch_execz .LBB47_5117
; %bb.5116:
	v_cvt_u32_f32_e32 v3, v28
                                        ; implicit-def: $vgpr28
	flat_store_b32 v[1:2], v3
                                        ; implicit-def: $vgpr1_vgpr2
.LBB47_5117:
	s_and_not1_saveexec_b32 s26, s26
	s_cbranch_execz .LBB47_5119
; %bb.5118:
	v_cvt_u32_f32_e32 v3, v28
	flat_store_b16 v[1:2], v3
.LBB47_5119:
	s_or_b32 exec_lo, exec_lo, s26
                                        ; implicit-def: $vgpr1_vgpr2
                                        ; implicit-def: $vgpr28
.LBB47_5120:
	s_and_not1_saveexec_b32 s25, s25
	s_cbranch_execz .LBB47_5128
; %bb.5121:
	v_and_b32_e32 v3, 0x7fffffff, v28
	v_mov_b32_e32 v4, 0x80
	s_mov_b32 s26, exec_lo
	s_delay_alu instid0(VALU_DEP_2)
	v_cmpx_gt_u32_e32 0x43800000, v3
	s_cbranch_execz .LBB47_5127
; %bb.5122:
	v_cmp_lt_u32_e32 vcc_lo, 0x3bffffff, v3
	s_mov_b32 s27, 0
                                        ; implicit-def: $vgpr3
	s_and_saveexec_b32 s28, vcc_lo
	s_delay_alu instid0(SALU_CYCLE_1)
	s_xor_b32 s28, exec_lo, s28
	s_cbranch_execnz .LBB47_5848
; %bb.5123:
	s_or_saveexec_b32 s28, s28
                                        ; implicit-def: $sgpr29
	s_delay_alu instid0(SALU_CYCLE_1)
	s_xor_b32 exec_lo, exec_lo, s28
	s_cbranch_execnz .LBB47_5849
.LBB47_5124:
	s_or_b32 exec_lo, exec_lo, s28
	v_mov_b32_e32 v4, s29
	s_and_saveexec_b32 s28, s27
.LBB47_5125:
	v_lshrrev_b32_e32 v4, 24, v28
	s_delay_alu instid0(VALU_DEP_1)
	v_and_or_b32 v4, 0x80, v4, v3
.LBB47_5126:
	s_or_b32 exec_lo, exec_lo, s28
.LBB47_5127:
	s_delay_alu instid0(SALU_CYCLE_1)
	s_or_b32 exec_lo, exec_lo, s26
	flat_store_b8 v[1:2], v4
.LBB47_5128:
	s_or_b32 exec_lo, exec_lo, s25
	s_delay_alu instid0(SALU_CYCLE_1)
	s_or_b32 s0, s0, exec_lo
.LBB47_5129:
	s_or_b32 exec_lo, exec_lo, s22
	s_delay_alu instid0(SALU_CYCLE_1)
	s_and_not1_b32 s22, s18, exec_lo
	s_and_b32 s24, s24, exec_lo
	s_and_b32 s0, s0, exec_lo
	s_or_b32 s22, s22, s24
                                        ; implicit-def: $vgpr3
                                        ; implicit-def: $vgpr28
                                        ; implicit-def: $vgpr1_vgpr2
.LBB47_5130:
	s_and_not1_saveexec_b32 s23, s23
	s_cbranch_execz .LBB47_5174
; %bb.5131:
	s_mov_b32 s25, s0
	s_mov_b32 s24, exec_lo
	v_cmpx_lt_i16_e32 22, v3
	s_xor_b32 s24, exec_lo, s24
	s_cbranch_execz .LBB47_5163
; %bb.5132:
	s_mov_b32 s25, exec_lo
	v_cmpx_lt_i16_e32 23, v3
	s_xor_b32 s25, exec_lo, s25
	s_cbranch_execz .LBB47_5152
; %bb.5133:
	;; [unrolled: 5-line block ×3, first 2 shown]
	v_and_b32_e32 v3, 0x7fffffff, v28
	v_mov_b32_e32 v4, 0x80
	s_mov_b32 s27, exec_lo
	s_delay_alu instid0(VALU_DEP_2)
	v_cmpx_gt_u32_e32 0x47800000, v3
	s_cbranch_execz .LBB47_5140
; %bb.5135:
	v_cmp_lt_u32_e32 vcc_lo, 0x37ffffff, v3
	s_mov_b32 s28, 0
                                        ; implicit-def: $vgpr3
	s_and_saveexec_b32 s29, vcc_lo
	s_delay_alu instid0(SALU_CYCLE_1)
	s_xor_b32 s29, exec_lo, s29
	s_cbranch_execnz .LBB47_5972
; %bb.5136:
	s_or_saveexec_b32 s29, s29
                                        ; implicit-def: $vcc_lo
	s_delay_alu instid0(SALU_CYCLE_1)
	s_xor_b32 exec_lo, exec_lo, s29
	s_cbranch_execnz .LBB47_5973
.LBB47_5137:
	s_or_b32 exec_lo, exec_lo, s29
	v_mov_b32_e32 v4, vcc_lo
	s_and_saveexec_b32 s29, s28
.LBB47_5138:
	v_lshrrev_b32_e32 v4, 24, v28
	s_delay_alu instid0(VALU_DEP_1)
	v_and_or_b32 v4, 0x80, v4, v3
.LBB47_5139:
	s_or_b32 exec_lo, exec_lo, s29
.LBB47_5140:
	s_delay_alu instid0(SALU_CYCLE_1)
	s_or_b32 exec_lo, exec_lo, s27
	flat_store_b8 v[1:2], v4
                                        ; implicit-def: $vgpr28
                                        ; implicit-def: $vgpr1_vgpr2
.LBB47_5141:
	s_and_not1_saveexec_b32 s26, s26
	s_cbranch_execz .LBB47_5151
; %bb.5142:
	v_and_b32_e32 v4, 0x7fffffff, v28
	s_mov_b32 s27, exec_lo
                                        ; implicit-def: $vgpr3
	s_delay_alu instid0(VALU_DEP_1)
	v_cmpx_gt_u32_e32 0x43f00000, v4
	s_xor_b32 s27, exec_lo, s27
	s_cbranch_execz .LBB47_5148
; %bb.5143:
	s_mov_b32 s28, exec_lo
                                        ; implicit-def: $vgpr3
	v_cmpx_lt_u32_e32 0x3c7fffff, v4
	s_xor_b32 s28, exec_lo, s28
; %bb.5144:
	v_bfe_u32 v3, v28, 20, 1
	s_delay_alu instid0(VALU_DEP_1) | instskip(NEXT) | instid1(VALU_DEP_1)
	v_add3_u32 v3, v28, v3, 0x407ffff
	v_and_b32_e32 v4, 0xff00000, v3
	v_lshrrev_b32_e32 v3, 20, v3
	s_delay_alu instid0(VALU_DEP_2) | instskip(NEXT) | instid1(VALU_DEP_2)
	v_cmp_ne_u32_e32 vcc_lo, 0x7f00000, v4
	v_cndmask_b32_e32 v3, 0x7e, v3, vcc_lo
; %bb.5145:
	s_and_not1_saveexec_b32 s28, s28
; %bb.5146:
	v_add_f32_e64 v3, 0x46800000, |v28|
; %bb.5147:
	s_or_b32 exec_lo, exec_lo, s28
                                        ; implicit-def: $vgpr4
.LBB47_5148:
	s_and_not1_saveexec_b32 s27, s27
; %bb.5149:
	v_mov_b32_e32 v3, 0x7f
	v_cmp_lt_u32_e32 vcc_lo, 0x7f800000, v4
	s_delay_alu instid0(VALU_DEP_2)
	v_cndmask_b32_e32 v3, 0x7e, v3, vcc_lo
; %bb.5150:
	s_or_b32 exec_lo, exec_lo, s27
	v_lshrrev_b32_e32 v4, 24, v28
	s_delay_alu instid0(VALU_DEP_1)
	v_and_or_b32 v3, 0x80, v4, v3
	flat_store_b8 v[1:2], v3
.LBB47_5151:
	s_or_b32 exec_lo, exec_lo, s26
                                        ; implicit-def: $vgpr28
                                        ; implicit-def: $vgpr1_vgpr2
.LBB47_5152:
	s_and_not1_saveexec_b32 s25, s25
	s_cbranch_execz .LBB47_5162
; %bb.5153:
	v_and_b32_e32 v4, 0x7fffffff, v28
	s_mov_b32 s26, exec_lo
                                        ; implicit-def: $vgpr3
	s_delay_alu instid0(VALU_DEP_1)
	v_cmpx_gt_u32_e32 0x47800000, v4
	s_xor_b32 s26, exec_lo, s26
	s_cbranch_execz .LBB47_5159
; %bb.5154:
	s_mov_b32 s27, exec_lo
                                        ; implicit-def: $vgpr3
	v_cmpx_lt_u32_e32 0x387fffff, v4
	s_xor_b32 s27, exec_lo, s27
; %bb.5155:
	v_bfe_u32 v3, v28, 21, 1
	s_delay_alu instid0(VALU_DEP_1) | instskip(NEXT) | instid1(VALU_DEP_1)
	v_add3_u32 v3, v28, v3, 0x80fffff
	v_lshrrev_b32_e32 v3, 21, v3
; %bb.5156:
	s_and_not1_saveexec_b32 s27, s27
; %bb.5157:
	v_add_f32_e64 v3, 0x43000000, |v28|
; %bb.5158:
	s_or_b32 exec_lo, exec_lo, s27
                                        ; implicit-def: $vgpr4
.LBB47_5159:
	s_and_not1_saveexec_b32 s26, s26
; %bb.5160:
	v_mov_b32_e32 v3, 0x7f
	v_cmp_lt_u32_e32 vcc_lo, 0x7f800000, v4
	s_delay_alu instid0(VALU_DEP_2)
	v_cndmask_b32_e32 v3, 0x7c, v3, vcc_lo
; %bb.5161:
	s_or_b32 exec_lo, exec_lo, s26
	v_lshrrev_b32_e32 v4, 24, v28
	s_delay_alu instid0(VALU_DEP_1)
	v_and_or_b32 v3, 0x80, v4, v3
	flat_store_b8 v[1:2], v3
.LBB47_5162:
	s_or_b32 exec_lo, exec_lo, s25
	s_delay_alu instid0(SALU_CYCLE_1)
	s_or_b32 s25, s0, exec_lo
                                        ; implicit-def: $vgpr3
                                        ; implicit-def: $vgpr28
                                        ; implicit-def: $vgpr1_vgpr2
.LBB47_5163:
	s_or_saveexec_b32 s24, s24
	s_mov_b32 s26, s22
	s_xor_b32 exec_lo, exec_lo, s24
	s_cbranch_execz .LBB47_5173
; %bb.5164:
	s_mov_b32 s26, s25
	s_mov_b32 s27, s22
	s_mov_b32 s28, exec_lo
	v_cmpx_lt_i16_e32 14, v3
	s_xor_b32 s28, exec_lo, s28
	s_cbranch_execz .LBB47_5168
; %bb.5165:
	s_mov_b32 s29, -1
	s_mov_b32 s26, s25
	s_mov_b32 s27, exec_lo
	v_cmpx_eq_u16_e32 15, v3
	s_cbranch_execz .LBB47_5167
; %bb.5166:
	v_bfe_u32 v3, v28, 16, 1
	v_cmp_o_f32_e32 vcc_lo, v28, v28
	s_xor_b32 s29, exec_lo, -1
	s_or_b32 s26, s25, exec_lo
	s_delay_alu instid0(VALU_DEP_2) | instskip(NEXT) | instid1(VALU_DEP_1)
	v_add3_u32 v3, v28, v3, 0x7fff
	v_lshrrev_b32_e32 v3, 16, v3
	s_delay_alu instid0(VALU_DEP_1)
	v_cndmask_b32_e32 v3, 0x7fc0, v3, vcc_lo
	flat_store_b16 v[1:2], v3
.LBB47_5167:
	s_or_b32 exec_lo, exec_lo, s27
	s_delay_alu instid0(SALU_CYCLE_1)
	s_and_not1_b32 s27, s22, exec_lo
	s_and_b32 s29, s29, exec_lo
	s_and_not1_b32 vcc_lo, s25, exec_lo
	s_and_b32 s26, s26, exec_lo
	s_or_b32 s27, s27, s29
	s_or_b32 s26, vcc_lo, s26
                                        ; implicit-def: $vgpr3
                                        ; implicit-def: $vgpr28
                                        ; implicit-def: $vgpr1_vgpr2
.LBB47_5168:
	s_and_not1_saveexec_b32 s28, s28
	s_cbranch_execz .LBB47_5172
; %bb.5169:
	s_mov_b32 vcc_hi, -1
	s_mov_b32 s29, s26
	s_mov_b32 s30, exec_lo
	v_cmpx_eq_u16_e32 11, v3
	s_cbranch_execz .LBB47_5171
; %bb.5170:
	v_cmp_neq_f32_e32 vcc_lo, 0, v28
	s_xor_b32 vcc_hi, exec_lo, -1
	s_or_b32 s29, s26, exec_lo
	v_cndmask_b32_e64 v3, 0, 1, vcc_lo
	flat_store_b8 v[1:2], v3
.LBB47_5171:
	s_or_b32 exec_lo, exec_lo, s30
	s_delay_alu instid0(SALU_CYCLE_1)
	s_and_not1_b32 s27, s27, exec_lo
	s_and_b32 vcc_lo, vcc_hi, exec_lo
	s_and_not1_b32 s26, s26, exec_lo
	s_and_b32 s29, s29, exec_lo
	s_or_b32 s27, s27, vcc_lo
	s_or_b32 s26, s26, s29
.LBB47_5172:
	s_or_b32 exec_lo, exec_lo, s28
	s_delay_alu instid0(SALU_CYCLE_1)
	s_and_not1_b32 s28, s22, exec_lo
	s_and_b32 s27, s27, exec_lo
	s_and_not1_b32 s25, s25, exec_lo
	s_and_b32 s29, s26, exec_lo
	s_or_b32 s26, s28, s27
	s_or_b32 s25, s25, s29
.LBB47_5173:
	s_or_b32 exec_lo, exec_lo, s24
	s_delay_alu instid0(SALU_CYCLE_1)
	s_and_not1_b32 s22, s22, exec_lo
	s_and_b32 s24, s26, exec_lo
	s_and_not1_b32 s0, s0, exec_lo
	s_and_b32 s25, s25, exec_lo
	s_or_b32 s22, s22, s24
	s_or_b32 s0, s0, s25
.LBB47_5174:
	s_or_b32 exec_lo, exec_lo, s23
	s_delay_alu instid0(SALU_CYCLE_1)
	s_and_not1_b32 s23, s18, exec_lo
	s_and_b32 s22, s22, exec_lo
	s_and_b32 s0, s0, exec_lo
	s_or_b32 s22, s23, s22
                                        ; implicit-def: $vgpr3
                                        ; implicit-def: $vgpr28
                                        ; implicit-def: $vgpr1_vgpr2
	s_and_not1_saveexec_b32 s20, s20
	s_cbranch_execz .LBB47_3895
.LBB47_5175:
	s_mov_b32 s23, exec_lo
	v_cmpx_lt_i16_e32 4, v3
	s_xor_b32 s23, exec_lo, s23
	s_cbranch_execz .LBB47_5197
; %bb.5176:
	s_mov_b32 s24, exec_lo
	v_cmpx_lt_i16_e32 7, v3
	s_xor_b32 s24, exec_lo, s24
	s_cbranch_execz .LBB47_5186
; %bb.5177:
	;; [unrolled: 5-line block ×4, first 2 shown]
	v_cvt_f64_f32_e32 v[28:29], v28
	v_mov_b32_e32 v30, 0
	s_delay_alu instid0(VALU_DEP_1)
	v_mov_b32_e32 v31, v30
	flat_store_b128 v[1:2], v[28:31]
                                        ; implicit-def: $vgpr28
                                        ; implicit-def: $vgpr1_vgpr2
.LBB47_5180:
	s_and_not1_saveexec_b32 s26, s26
	s_cbranch_execz .LBB47_5182
; %bb.5181:
	v_mov_b32_e32 v29, 0
	flat_store_b64 v[1:2], v[28:29]
.LBB47_5182:
	s_or_b32 exec_lo, exec_lo, s26
                                        ; implicit-def: $vgpr28
                                        ; implicit-def: $vgpr1_vgpr2
.LBB47_5183:
	s_and_not1_saveexec_b32 s25, s25
	s_cbranch_execz .LBB47_5185
; %bb.5184:
	v_cvt_f16_f32_e32 v3, v28
	s_delay_alu instid0(VALU_DEP_1)
	v_and_b32_e32 v3, 0xffff, v3
	flat_store_b32 v[1:2], v3
.LBB47_5185:
	s_or_b32 exec_lo, exec_lo, s25
                                        ; implicit-def: $vgpr28
                                        ; implicit-def: $vgpr1_vgpr2
                                        ; implicit-def: $vgpr3
.LBB47_5186:
	s_and_not1_saveexec_b32 s24, s24
	s_cbranch_execz .LBB47_5196
; %bb.5187:
	s_mov_b32 s25, exec_lo
	v_cmpx_lt_i16_e32 5, v3
	s_xor_b32 s25, exec_lo, s25
	s_cbranch_execz .LBB47_5193
; %bb.5188:
	s_mov_b32 s26, exec_lo
	v_cmpx_lt_i16_e32 6, v3
	s_xor_b32 s26, exec_lo, s26
	s_cbranch_execz .LBB47_5190
; %bb.5189:
	v_cvt_f64_f32_e32 v[3:4], v28
                                        ; implicit-def: $vgpr28
	flat_store_b64 v[1:2], v[3:4]
                                        ; implicit-def: $vgpr1_vgpr2
.LBB47_5190:
	s_and_not1_saveexec_b32 s26, s26
	s_cbranch_execz .LBB47_5192
; %bb.5191:
	flat_store_b32 v[1:2], v28
.LBB47_5192:
	s_or_b32 exec_lo, exec_lo, s26
                                        ; implicit-def: $vgpr28
                                        ; implicit-def: $vgpr1_vgpr2
.LBB47_5193:
	s_and_not1_saveexec_b32 s25, s25
	s_cbranch_execz .LBB47_5195
; %bb.5194:
	v_cvt_f16_f32_e32 v3, v28
	flat_store_b16 v[1:2], v3
.LBB47_5195:
	s_or_b32 exec_lo, exec_lo, s25
.LBB47_5196:
	s_delay_alu instid0(SALU_CYCLE_1)
	s_or_b32 exec_lo, exec_lo, s24
                                        ; implicit-def: $vgpr3
                                        ; implicit-def: $vgpr28
                                        ; implicit-def: $vgpr1_vgpr2
.LBB47_5197:
	s_and_not1_saveexec_b32 s23, s23
	s_cbranch_execz .LBB47_5215
; %bb.5198:
	s_mov_b32 s24, exec_lo
	v_cmpx_lt_i16_e32 1, v3
	s_xor_b32 s24, exec_lo, s24
	s_cbranch_execz .LBB47_5208
; %bb.5199:
	s_mov_b32 s25, exec_lo
	v_cmpx_lt_i16_e32 2, v3
	s_xor_b32 s25, exec_lo, s25
	;; [unrolled: 5-line block ×3, first 2 shown]
	s_cbranch_execz .LBB47_5202
; %bb.5201:
	v_trunc_f32_e32 v3, v28
                                        ; implicit-def: $vgpr28
	s_delay_alu instid0(VALU_DEP_1) | instskip(SKIP_1) | instid1(VALU_DEP_2)
	v_mul_f32_e64 v4, 0x2f800000, |v3|
	v_ashrrev_i32_e32 v10, 31, v3
	v_floor_f32_e32 v4, v4
	s_delay_alu instid0(VALU_DEP_1) | instskip(SKIP_1) | instid1(VALU_DEP_2)
	v_fma_f32 v5, 0xcf800000, v4, |v3|
	v_cvt_u32_f32_e32 v4, v4
	v_cvt_u32_f32_e32 v3, v5
	s_delay_alu instid0(VALU_DEP_2) | instskip(NEXT) | instid1(VALU_DEP_2)
	v_xor_b32_e32 v4, v4, v10
	v_xor_b32_e32 v3, v3, v10
	s_delay_alu instid0(VALU_DEP_1) | instskip(NEXT) | instid1(VALU_DEP_3)
	v_sub_co_u32 v3, vcc_lo, v3, v10
	v_sub_co_ci_u32_e32 v4, vcc_lo, v4, v10, vcc_lo
	flat_store_b64 v[1:2], v[3:4]
                                        ; implicit-def: $vgpr1_vgpr2
.LBB47_5202:
	s_and_not1_saveexec_b32 s26, s26
	s_cbranch_execz .LBB47_5204
; %bb.5203:
	v_cvt_i32_f32_e32 v3, v28
	flat_store_b32 v[1:2], v3
.LBB47_5204:
	s_or_b32 exec_lo, exec_lo, s26
                                        ; implicit-def: $vgpr28
                                        ; implicit-def: $vgpr1_vgpr2
.LBB47_5205:
	s_and_not1_saveexec_b32 s25, s25
	s_cbranch_execz .LBB47_5207
; %bb.5206:
	v_cvt_i32_f32_e32 v3, v28
	flat_store_b16 v[1:2], v3
.LBB47_5207:
	s_or_b32 exec_lo, exec_lo, s25
                                        ; implicit-def: $vgpr28
                                        ; implicit-def: $vgpr1_vgpr2
                                        ; implicit-def: $vgpr3
.LBB47_5208:
	s_and_not1_saveexec_b32 s24, s24
	s_cbranch_execz .LBB47_5214
; %bb.5209:
	s_mov_b32 s25, exec_lo
	v_cmpx_lt_i16_e32 0, v3
	s_xor_b32 s25, exec_lo, s25
	s_cbranch_execz .LBB47_5211
; %bb.5210:
	v_cvt_i32_f32_e32 v3, v28
                                        ; implicit-def: $vgpr28
	flat_store_b8 v[1:2], v3
                                        ; implicit-def: $vgpr1_vgpr2
.LBB47_5211:
	s_and_not1_saveexec_b32 s25, s25
	s_cbranch_execz .LBB47_5213
; %bb.5212:
	v_trunc_f32_e32 v3, v28
	s_delay_alu instid0(VALU_DEP_1) | instskip(NEXT) | instid1(VALU_DEP_1)
	v_mul_f32_e64 v4, 0x2f800000, |v3|
	v_floor_f32_e32 v4, v4
	s_delay_alu instid0(VALU_DEP_1) | instskip(SKIP_1) | instid1(VALU_DEP_2)
	v_fma_f32 v4, 0xcf800000, v4, |v3|
	v_ashrrev_i32_e32 v3, 31, v3
	v_cvt_u32_f32_e32 v4, v4
	s_delay_alu instid0(VALU_DEP_1) | instskip(NEXT) | instid1(VALU_DEP_1)
	v_xor_b32_e32 v4, v4, v3
	v_sub_nc_u32_e32 v3, v4, v3
	flat_store_b8 v[1:2], v3
.LBB47_5213:
	s_or_b32 exec_lo, exec_lo, s25
.LBB47_5214:
	s_delay_alu instid0(SALU_CYCLE_1)
	s_or_b32 exec_lo, exec_lo, s24
.LBB47_5215:
	s_delay_alu instid0(SALU_CYCLE_1) | instskip(NEXT) | instid1(SALU_CYCLE_1)
	s_or_b32 exec_lo, exec_lo, s23
	s_or_b32 s0, s0, exec_lo
	s_or_b32 exec_lo, exec_lo, s20
	s_mov_b32 s23, 0
	s_and_saveexec_b32 s20, s0
	s_cbranch_execnz .LBB47_3896
	s_branch .LBB47_3897
.LBB47_5216:
	v_bfe_u32 v3, v34, 21, 1
	s_mov_b32 s16, exec_lo
	s_delay_alu instid0(VALU_DEP_1) | instskip(NEXT) | instid1(VALU_DEP_1)
	v_add3_u32 v3, v34, v3, 0x88fffff
	v_lshrrev_b32_e32 v3, 21, v3
	s_or_saveexec_b32 s17, s17
                                        ; implicit-def: $sgpr18
	s_delay_alu instid0(SALU_CYCLE_1)
	s_xor_b32 exec_lo, exec_lo, s17
	s_cbranch_execz .LBB47_4389
.LBB47_5217:
	v_add_f32_e64 v3, 0x42800000, |v34|
	s_and_not1_b32 s16, s16, exec_lo
	s_mov_b32 s18, 0
	s_delay_alu instid0(VALU_DEP_1) | instskip(NEXT) | instid1(VALU_DEP_1)
	v_and_b32_e32 v3, 0xff, v3
	v_cmp_ne_u32_e32 vcc_lo, 0, v3
	s_and_b32 s19, vcc_lo, exec_lo
	s_delay_alu instid0(SALU_CYCLE_1)
	s_or_b32 s16, s16, s19
	s_or_b32 exec_lo, exec_lo, s17
	v_mov_b32_e32 v4, s18
	s_and_saveexec_b32 s17, s16
	s_cbranch_execnz .LBB47_4390
	s_branch .LBB47_4391
.LBB47_5218:
	v_bfe_u32 v3, v33, 20, 1
	s_mov_b32 s17, exec_lo
	s_delay_alu instid0(VALU_DEP_1) | instskip(NEXT) | instid1(VALU_DEP_1)
	v_add3_u32 v3, v33, v3, 0x487ffff
	v_lshrrev_b32_e32 v3, 20, v3
	s_or_saveexec_b32 s18, s18
                                        ; implicit-def: $sgpr19
	s_delay_alu instid0(SALU_CYCLE_1)
	s_xor_b32 exec_lo, exec_lo, s18
	s_cbranch_execz .LBB47_4502
.LBB47_5219:
	v_add_f32_e64 v3, 0x46000000, |v33|
	s_and_not1_b32 s17, s17, exec_lo
	s_mov_b32 s19, 0
	s_delay_alu instid0(VALU_DEP_1) | instskip(NEXT) | instid1(VALU_DEP_1)
	v_and_b32_e32 v3, 0xff, v3
	v_cmp_ne_u32_e32 vcc_lo, 0, v3
	s_and_b32 s20, vcc_lo, exec_lo
	s_delay_alu instid0(SALU_CYCLE_1)
	s_or_b32 s17, s17, s20
	s_or_b32 exec_lo, exec_lo, s18
	v_mov_b32_e32 v4, s19
	s_and_saveexec_b32 s18, s17
	s_cbranch_execnz .LBB47_4503
	s_branch .LBB47_4504
.LBB47_5220:
	s_mov_b32 s24, s20
	s_mov_b32 s25, exec_lo
	v_cmpx_lt_i16_e32 25, v3
	s_xor_b32 s25, exec_lo, s25
	s_cbranch_execz .LBB47_5256
; %bb.5221:
	s_mov_b32 s26, s20
	s_mov_b32 s24, exec_lo
	v_cmpx_lt_i16_e32 28, v3
	s_xor_b32 s24, exec_lo, s24
	s_cbranch_execz .LBB47_5239
; %bb.5222:
	;; [unrolled: 6-line block ×3, first 2 shown]
	s_mov_b32 s27, 0
	s_mov_b32 s28, s20
	s_mov_b32 s0, exec_lo
	v_cmpx_lt_i16_e32 45, v3
	s_xor_b32 s0, exec_lo, s0
	s_cbranch_execz .LBB47_5227
; %bb.5224:
	s_mov_b32 s29, -1
	s_mov_b32 s28, exec_lo
	v_cmpx_eq_u16_e32 46, v3
	s_cbranch_execz .LBB47_5226
; %bb.5225:
	v_bfe_u32 v3, v27, 16, 1
	v_cmp_o_f32_e32 vcc_lo, v27, v27
	s_mov_b32 s27, exec_lo
	s_xor_b32 s29, exec_lo, -1
	s_delay_alu instid0(VALU_DEP_2) | instskip(NEXT) | instid1(VALU_DEP_1)
	v_add3_u32 v3, v27, v3, 0x7fff
	v_lshrrev_b32_e32 v3, 16, v3
	s_delay_alu instid0(VALU_DEP_1)
	v_cndmask_b32_e32 v3, 0x7fc0, v3, vcc_lo
	flat_store_b32 v[1:2], v3
.LBB47_5226:
	s_or_b32 exec_lo, exec_lo, s28
	s_delay_alu instid0(SALU_CYCLE_1)
	s_and_not1_b32 s28, s20, exec_lo
	s_and_b32 s29, s29, exec_lo
	s_and_b32 s27, s27, exec_lo
	s_or_b32 s28, s28, s29
                                        ; implicit-def: $vgpr3
                                        ; implicit-def: $vgpr1_vgpr2
                                        ; implicit-def: $vgpr27
.LBB47_5227:
	s_and_not1_saveexec_b32 s29, s0
	s_cbranch_execz .LBB47_5233
; %bb.5228:
	s_mov_b32 s30, -1
	s_mov_b32 s0, s27
	s_mov_b32 vcc_hi, exec_lo
	v_cmpx_eq_u16_e32 44, v3
	s_cbranch_execz .LBB47_5232
; %bb.5229:
	v_bfe_u32 v4, v27, 23, 8
	v_mov_b32_e32 v3, 0xff
	s_mov_b32 s30, exec_lo
	s_delay_alu instid0(VALU_DEP_2)
	v_cmpx_ne_u32_e32 0xff, v4
; %bb.5230:
	v_and_b32_e32 v3, 0x400000, v27
	v_and_or_b32 v4, 0x3fffff, v27, v4
	s_delay_alu instid0(VALU_DEP_2) | instskip(NEXT) | instid1(VALU_DEP_2)
	v_cmp_ne_u32_e32 vcc_lo, 0, v3
	v_cmp_ne_u32_e64 s0, 0, v4
	v_lshrrev_b32_e32 v3, 23, v27
	s_delay_alu instid0(VALU_DEP_2) | instskip(NEXT) | instid1(SALU_CYCLE_1)
	s_and_b32 s0, vcc_lo, s0
	v_cndmask_b32_e64 v4, 0, 1, s0
	s_delay_alu instid0(VALU_DEP_1)
	v_add_nc_u32_e32 v3, v3, v4
; %bb.5231:
	s_or_b32 exec_lo, exec_lo, s30
	s_delay_alu instid0(SALU_CYCLE_1)
	s_xor_b32 s30, exec_lo, -1
	s_or_b32 s0, s27, exec_lo
	flat_store_b8 v[1:2], v3
.LBB47_5232:
	s_or_b32 exec_lo, exec_lo, vcc_hi
	s_delay_alu instid0(SALU_CYCLE_1)
	s_and_not1_b32 s28, s28, exec_lo
	s_and_b32 vcc_lo, s30, exec_lo
	s_and_not1_b32 s27, s27, exec_lo
	s_and_b32 s0, s0, exec_lo
	s_or_b32 s28, s28, vcc_lo
	s_or_b32 s27, s27, s0
.LBB47_5233:
	s_or_b32 exec_lo, exec_lo, s29
	s_delay_alu instid0(SALU_CYCLE_1) | instskip(SKIP_1) | instid1(SALU_CYCLE_1)
	s_and_not1_b32 s0, s20, exec_lo
	s_and_b32 s28, s28, exec_lo
                                        ; implicit-def: $vgpr3
                                        ; implicit-def: $vgpr27
                                        ; implicit-def: $vgpr1_vgpr2
	s_or_b32 s28, s0, s28
	s_and_b32 s0, s27, exec_lo
.LBB47_5234:
	s_and_not1_saveexec_b32 s26, s26
	s_cbranch_execz .LBB47_5238
; %bb.5235:
	s_mov_b32 vcc_hi, -1
	s_mov_b32 s29, s0
	s_mov_b32 s27, exec_lo
	v_cmpx_eq_u16_e32 29, v3
	s_cbranch_execz .LBB47_5237
; %bb.5236:
	v_trunc_f32_e32 v3, v27
	s_xor_b32 vcc_hi, exec_lo, -1
	s_or_b32 s29, s0, exec_lo
	s_delay_alu instid0(VALU_DEP_1) | instskip(NEXT) | instid1(VALU_DEP_1)
	v_mul_f32_e32 v4, 0x2f800000, v3
	v_floor_f32_e32 v4, v4
	s_delay_alu instid0(VALU_DEP_1) | instskip(SKIP_1) | instid1(VALU_DEP_2)
	v_fmamk_f32 v3, v4, 0xcf800000, v3
	v_cvt_u32_f32_e32 v4, v4
	v_cvt_u32_f32_e32 v3, v3
	flat_store_b64 v[1:2], v[3:4]
.LBB47_5237:
	s_or_b32 exec_lo, exec_lo, s27
	s_delay_alu instid0(SALU_CYCLE_1)
	s_and_not1_b32 s27, s28, exec_lo
	s_and_b32 s28, vcc_hi, exec_lo
	s_and_not1_b32 s0, s0, exec_lo
	s_and_b32 s29, s29, exec_lo
	s_or_b32 s28, s27, s28
	s_or_b32 s0, s0, s29
.LBB47_5238:
	s_or_b32 exec_lo, exec_lo, s26
	s_delay_alu instid0(SALU_CYCLE_1)
	s_and_not1_b32 s26, s20, exec_lo
	s_and_b32 s27, s28, exec_lo
	s_and_b32 s0, s0, exec_lo
	s_or_b32 s26, s26, s27
                                        ; implicit-def: $vgpr1_vgpr2
                                        ; implicit-def: $vgpr3
                                        ; implicit-def: $vgpr27
.LBB47_5239:
	s_and_not1_saveexec_b32 s24, s24
	s_cbranch_execz .LBB47_5255
; %bb.5240:
	s_mov_b32 s27, exec_lo
	v_cmpx_lt_i16_e32 26, v3
	s_xor_b32 s27, exec_lo, s27
	s_cbranch_execz .LBB47_5246
; %bb.5241:
	v_cmp_lt_i16_e32 vcc_lo, 27, v3
	v_cvt_u32_f32_e32 v3, v27
	s_and_saveexec_b32 s28, vcc_lo
	s_delay_alu instid0(SALU_CYCLE_1)
	s_xor_b32 s28, exec_lo, s28
	s_cbranch_execz .LBB47_5243
; %bb.5242:
	flat_store_b32 v[1:2], v3
                                        ; implicit-def: $vgpr1_vgpr2
                                        ; implicit-def: $vgpr3
.LBB47_5243:
	s_and_not1_saveexec_b32 s28, s28
	s_cbranch_execz .LBB47_5245
; %bb.5244:
	flat_store_b16 v[1:2], v3
.LBB47_5245:
	s_or_b32 exec_lo, exec_lo, s28
                                        ; implicit-def: $vgpr1_vgpr2
                                        ; implicit-def: $vgpr27
.LBB47_5246:
	s_and_not1_saveexec_b32 s27, s27
	s_cbranch_execz .LBB47_5254
; %bb.5247:
	v_and_b32_e32 v3, 0x7fffffff, v27
	v_mov_b32_e32 v4, 0x80
	s_mov_b32 s28, exec_lo
	s_delay_alu instid0(VALU_DEP_2)
	v_cmpx_gt_u32_e32 0x43800000, v3
	s_cbranch_execz .LBB47_5253
; %bb.5248:
	v_cmp_lt_u32_e32 vcc_lo, 0x3bffffff, v3
	s_mov_b32 s29, 0
                                        ; implicit-def: $vgpr3
	s_and_saveexec_b32 vcc_hi, vcc_lo
	s_delay_alu instid0(SALU_CYCLE_1)
	s_xor_b32 vcc_lo, exec_lo, vcc_hi
	s_cbranch_execnz .LBB47_5974
; %bb.5249:
	s_or_saveexec_b32 vcc_hi, vcc_lo
                                        ; implicit-def: $vcc_lo
	s_delay_alu instid0(SALU_CYCLE_1)
	s_xor_b32 exec_lo, exec_lo, vcc_hi
	s_cbranch_execnz .LBB47_5975
.LBB47_5250:
	s_or_b32 exec_lo, exec_lo, vcc_hi
	v_mov_b32_e32 v4, vcc_lo
	s_and_saveexec_b32 vcc_lo, s29
.LBB47_5251:
	v_lshrrev_b32_e32 v4, 24, v27
	s_delay_alu instid0(VALU_DEP_1)
	v_and_or_b32 v4, 0x80, v4, v3
.LBB47_5252:
	s_or_b32 exec_lo, exec_lo, vcc_lo
.LBB47_5253:
	s_delay_alu instid0(SALU_CYCLE_1)
	s_or_b32 exec_lo, exec_lo, s28
	flat_store_b8 v[1:2], v4
.LBB47_5254:
	s_or_b32 exec_lo, exec_lo, s27
	s_delay_alu instid0(SALU_CYCLE_1)
	s_or_b32 s0, s0, exec_lo
.LBB47_5255:
	s_or_b32 exec_lo, exec_lo, s24
	s_delay_alu instid0(SALU_CYCLE_1)
	s_and_not1_b32 s24, s20, exec_lo
	s_and_b32 s26, s26, exec_lo
	s_and_b32 s0, s0, exec_lo
	s_or_b32 s24, s24, s26
                                        ; implicit-def: $vgpr3
                                        ; implicit-def: $vgpr27
                                        ; implicit-def: $vgpr1_vgpr2
.LBB47_5256:
	s_and_not1_saveexec_b32 s25, s25
	s_cbranch_execz .LBB47_5300
; %bb.5257:
	s_mov_b32 s27, s0
	s_mov_b32 s26, exec_lo
	v_cmpx_lt_i16_e32 22, v3
	s_xor_b32 s26, exec_lo, s26
	s_cbranch_execz .LBB47_5289
; %bb.5258:
	s_mov_b32 s27, exec_lo
	v_cmpx_lt_i16_e32 23, v3
	s_xor_b32 s27, exec_lo, s27
	s_cbranch_execz .LBB47_5278
; %bb.5259:
	s_mov_b32 s28, exec_lo
	v_cmpx_lt_i16_e32 24, v3
	s_xor_b32 s28, exec_lo, s28
	s_cbranch_execz .LBB47_5267
; %bb.5260:
	v_and_b32_e32 v3, 0x7fffffff, v27
	v_mov_b32_e32 v4, 0x80
	s_mov_b32 s29, exec_lo
	s_delay_alu instid0(VALU_DEP_2)
	v_cmpx_gt_u32_e32 0x47800000, v3
	s_cbranch_execz .LBB47_5266
; %bb.5261:
	v_cmp_lt_u32_e32 vcc_lo, 0x37ffffff, v3
	s_mov_b32 vcc_hi, 0
                                        ; implicit-def: $vgpr3
	s_and_saveexec_b32 s30, vcc_lo
	s_delay_alu instid0(SALU_CYCLE_1)
	s_xor_b32 vcc_lo, exec_lo, s30
	s_cbranch_execnz .LBB47_6098
; %bb.5262:
	s_or_saveexec_b32 s30, vcc_lo
                                        ; implicit-def: $vcc_lo
	s_delay_alu instid0(SALU_CYCLE_1)
	s_xor_b32 exec_lo, exec_lo, s30
	s_cbranch_execnz .LBB47_6099
.LBB47_5263:
	s_or_b32 exec_lo, exec_lo, s30
	v_mov_b32_e32 v4, vcc_lo
	s_and_saveexec_b32 vcc_lo, vcc_hi
.LBB47_5264:
	v_lshrrev_b32_e32 v4, 24, v27
	s_delay_alu instid0(VALU_DEP_1)
	v_and_or_b32 v4, 0x80, v4, v3
.LBB47_5265:
	s_or_b32 exec_lo, exec_lo, vcc_lo
.LBB47_5266:
	s_delay_alu instid0(SALU_CYCLE_1)
	s_or_b32 exec_lo, exec_lo, s29
	flat_store_b8 v[1:2], v4
                                        ; implicit-def: $vgpr27
                                        ; implicit-def: $vgpr1_vgpr2
.LBB47_5267:
	s_and_not1_saveexec_b32 s28, s28
	s_cbranch_execz .LBB47_5277
; %bb.5268:
	v_and_b32_e32 v4, 0x7fffffff, v27
	s_mov_b32 s29, exec_lo
                                        ; implicit-def: $vgpr3
	s_delay_alu instid0(VALU_DEP_1)
	v_cmpx_gt_u32_e32 0x43f00000, v4
	s_xor_b32 s29, exec_lo, s29
	s_cbranch_execz .LBB47_5274
; %bb.5269:
	s_mov_b32 vcc_hi, exec_lo
                                        ; implicit-def: $vgpr3
	v_cmpx_lt_u32_e32 0x3c7fffff, v4
	s_xor_b32 vcc_hi, exec_lo, vcc_hi
; %bb.5270:
	v_bfe_u32 v3, v27, 20, 1
	s_delay_alu instid0(VALU_DEP_1) | instskip(NEXT) | instid1(VALU_DEP_1)
	v_add3_u32 v3, v27, v3, 0x407ffff
	v_and_b32_e32 v4, 0xff00000, v3
	v_lshrrev_b32_e32 v3, 20, v3
	s_delay_alu instid0(VALU_DEP_2) | instskip(NEXT) | instid1(VALU_DEP_2)
	v_cmp_ne_u32_e32 vcc_lo, 0x7f00000, v4
	v_cndmask_b32_e32 v3, 0x7e, v3, vcc_lo
; %bb.5271:
	s_and_not1_saveexec_b32 vcc_lo, vcc_hi
; %bb.5272:
	v_add_f32_e64 v3, 0x46800000, |v27|
; %bb.5273:
	s_or_b32 exec_lo, exec_lo, vcc_lo
                                        ; implicit-def: $vgpr4
.LBB47_5274:
	s_and_not1_saveexec_b32 s29, s29
; %bb.5275:
	v_mov_b32_e32 v3, 0x7f
	v_cmp_lt_u32_e32 vcc_lo, 0x7f800000, v4
	s_delay_alu instid0(VALU_DEP_2)
	v_cndmask_b32_e32 v3, 0x7e, v3, vcc_lo
; %bb.5276:
	s_or_b32 exec_lo, exec_lo, s29
	v_lshrrev_b32_e32 v4, 24, v27
	s_delay_alu instid0(VALU_DEP_1)
	v_and_or_b32 v3, 0x80, v4, v3
	flat_store_b8 v[1:2], v3
.LBB47_5277:
	s_or_b32 exec_lo, exec_lo, s28
                                        ; implicit-def: $vgpr27
                                        ; implicit-def: $vgpr1_vgpr2
.LBB47_5278:
	s_and_not1_saveexec_b32 s27, s27
	s_cbranch_execz .LBB47_5288
; %bb.5279:
	v_and_b32_e32 v4, 0x7fffffff, v27
	s_mov_b32 s28, exec_lo
                                        ; implicit-def: $vgpr3
	s_delay_alu instid0(VALU_DEP_1)
	v_cmpx_gt_u32_e32 0x47800000, v4
	s_xor_b32 s28, exec_lo, s28
	s_cbranch_execz .LBB47_5285
; %bb.5280:
	s_mov_b32 s29, exec_lo
                                        ; implicit-def: $vgpr3
	v_cmpx_lt_u32_e32 0x387fffff, v4
	s_xor_b32 s29, exec_lo, s29
; %bb.5281:
	v_bfe_u32 v3, v27, 21, 1
	s_delay_alu instid0(VALU_DEP_1) | instskip(NEXT) | instid1(VALU_DEP_1)
	v_add3_u32 v3, v27, v3, 0x80fffff
	v_lshrrev_b32_e32 v3, 21, v3
; %bb.5282:
	s_and_not1_saveexec_b32 s29, s29
; %bb.5283:
	v_add_f32_e64 v3, 0x43000000, |v27|
; %bb.5284:
	s_or_b32 exec_lo, exec_lo, s29
                                        ; implicit-def: $vgpr4
.LBB47_5285:
	s_and_not1_saveexec_b32 s28, s28
; %bb.5286:
	v_mov_b32_e32 v3, 0x7f
	v_cmp_lt_u32_e32 vcc_lo, 0x7f800000, v4
	s_delay_alu instid0(VALU_DEP_2)
	v_cndmask_b32_e32 v3, 0x7c, v3, vcc_lo
; %bb.5287:
	s_or_b32 exec_lo, exec_lo, s28
	v_lshrrev_b32_e32 v4, 24, v27
	s_delay_alu instid0(VALU_DEP_1)
	v_and_or_b32 v3, 0x80, v4, v3
	flat_store_b8 v[1:2], v3
.LBB47_5288:
	s_or_b32 exec_lo, exec_lo, s27
	s_delay_alu instid0(SALU_CYCLE_1)
	s_or_b32 s27, s0, exec_lo
                                        ; implicit-def: $vgpr3
                                        ; implicit-def: $vgpr27
                                        ; implicit-def: $vgpr1_vgpr2
.LBB47_5289:
	s_or_saveexec_b32 s26, s26
	s_mov_b32 s28, s24
	s_xor_b32 exec_lo, exec_lo, s26
	s_cbranch_execz .LBB47_5299
; %bb.5290:
	s_mov_b32 s28, s27
	s_mov_b32 s29, s24
	s_mov_b32 vcc_hi, exec_lo
	v_cmpx_lt_i16_e32 14, v3
	s_xor_b32 vcc_hi, exec_lo, vcc_hi
	s_cbranch_execz .LBB47_5294
; %bb.5291:
	s_mov_b32 s30, -1
	s_mov_b32 s28, s27
	s_mov_b32 s29, exec_lo
	v_cmpx_eq_u16_e32 15, v3
	s_cbranch_execz .LBB47_5293
; %bb.5292:
	v_bfe_u32 v3, v27, 16, 1
	v_cmp_o_f32_e32 vcc_lo, v27, v27
	s_xor_b32 s30, exec_lo, -1
	s_or_b32 s28, s27, exec_lo
	s_delay_alu instid0(VALU_DEP_2) | instskip(NEXT) | instid1(VALU_DEP_1)
	v_add3_u32 v3, v27, v3, 0x7fff
	v_lshrrev_b32_e32 v3, 16, v3
	s_delay_alu instid0(VALU_DEP_1)
	v_cndmask_b32_e32 v3, 0x7fc0, v3, vcc_lo
	flat_store_b16 v[1:2], v3
.LBB47_5293:
	s_or_b32 exec_lo, exec_lo, s29
	s_delay_alu instid0(SALU_CYCLE_1)
	s_and_not1_b32 s29, s24, exec_lo
	s_and_b32 vcc_lo, s30, exec_lo
	s_and_not1_b32 s30, s27, exec_lo
	s_and_b32 s28, s28, exec_lo
	s_or_b32 s29, s29, vcc_lo
	s_or_b32 s28, s30, s28
                                        ; implicit-def: $vgpr3
                                        ; implicit-def: $vgpr27
                                        ; implicit-def: $vgpr1_vgpr2
.LBB47_5294:
	s_and_not1_saveexec_b32 vcc_hi, vcc_hi
	s_cbranch_execz .LBB47_5298
; %bb.5295:
	s_mov_b32 s31, -1
	s_mov_b32 s30, s28
	s_mov_b32 s34, exec_lo
	v_cmpx_eq_u16_e32 11, v3
	s_cbranch_execz .LBB47_5297
; %bb.5296:
	v_cmp_neq_f32_e32 vcc_lo, 0, v27
	s_xor_b32 s31, exec_lo, -1
	s_or_b32 s30, s28, exec_lo
	v_cndmask_b32_e64 v3, 0, 1, vcc_lo
	flat_store_b8 v[1:2], v3
.LBB47_5297:
	s_or_b32 exec_lo, exec_lo, s34
	s_delay_alu instid0(SALU_CYCLE_1)
	s_and_not1_b32 s29, s29, exec_lo
	s_and_b32 vcc_lo, s31, exec_lo
	s_and_not1_b32 s28, s28, exec_lo
	s_and_b32 s30, s30, exec_lo
	s_or_b32 s29, s29, vcc_lo
	s_or_b32 s28, s28, s30
.LBB47_5298:
	s_or_b32 exec_lo, exec_lo, vcc_hi
	s_delay_alu instid0(SALU_CYCLE_1)
	s_and_not1_b32 vcc_lo, s24, exec_lo
	s_and_b32 s29, s29, exec_lo
	s_and_not1_b32 s27, s27, exec_lo
	s_and_b32 vcc_hi, s28, exec_lo
	s_or_b32 s28, vcc_lo, s29
	s_or_b32 s27, s27, vcc_hi
.LBB47_5299:
	s_or_b32 exec_lo, exec_lo, s26
	s_delay_alu instid0(SALU_CYCLE_1)
	s_and_not1_b32 s24, s24, exec_lo
	s_and_b32 s26, s28, exec_lo
	s_and_not1_b32 s0, s0, exec_lo
	s_and_b32 s27, s27, exec_lo
	s_or_b32 s24, s24, s26
	s_or_b32 s0, s0, s27
.LBB47_5300:
	s_or_b32 exec_lo, exec_lo, s25
	s_delay_alu instid0(SALU_CYCLE_1)
	s_and_not1_b32 s25, s20, exec_lo
	s_and_b32 s24, s24, exec_lo
	s_and_b32 s0, s0, exec_lo
	s_or_b32 s24, s25, s24
                                        ; implicit-def: $vgpr3
                                        ; implicit-def: $vgpr27
                                        ; implicit-def: $vgpr1_vgpr2
	s_and_not1_saveexec_b32 s22, s22
	s_cbranch_execz .LBB47_3902
.LBB47_5301:
	s_mov_b32 s25, exec_lo
	v_cmpx_lt_i16_e32 4, v3
	s_xor_b32 s25, exec_lo, s25
	s_cbranch_execz .LBB47_5323
; %bb.5302:
	s_mov_b32 s26, exec_lo
	v_cmpx_lt_i16_e32 7, v3
	s_xor_b32 s26, exec_lo, s26
	s_cbranch_execz .LBB47_5312
; %bb.5303:
	;; [unrolled: 5-line block ×4, first 2 shown]
	v_cvt_f64_f32_e32 v[27:28], v27
	v_mov_b32_e32 v29, 0
	s_delay_alu instid0(VALU_DEP_1)
	v_mov_b32_e32 v30, v29
	flat_store_b128 v[1:2], v[27:30]
                                        ; implicit-def: $vgpr27
                                        ; implicit-def: $vgpr1_vgpr2
.LBB47_5306:
	s_and_not1_saveexec_b32 s28, s28
	s_cbranch_execz .LBB47_5308
; %bb.5307:
	v_mov_b32_e32 v28, 0
	flat_store_b64 v[1:2], v[27:28]
.LBB47_5308:
	s_or_b32 exec_lo, exec_lo, s28
                                        ; implicit-def: $vgpr27
                                        ; implicit-def: $vgpr1_vgpr2
.LBB47_5309:
	s_and_not1_saveexec_b32 s27, s27
	s_cbranch_execz .LBB47_5311
; %bb.5310:
	v_cvt_f16_f32_e32 v3, v27
	s_delay_alu instid0(VALU_DEP_1)
	v_and_b32_e32 v3, 0xffff, v3
	flat_store_b32 v[1:2], v3
.LBB47_5311:
	s_or_b32 exec_lo, exec_lo, s27
                                        ; implicit-def: $vgpr27
                                        ; implicit-def: $vgpr1_vgpr2
                                        ; implicit-def: $vgpr3
.LBB47_5312:
	s_and_not1_saveexec_b32 s26, s26
	s_cbranch_execz .LBB47_5322
; %bb.5313:
	s_mov_b32 s27, exec_lo
	v_cmpx_lt_i16_e32 5, v3
	s_xor_b32 s27, exec_lo, s27
	s_cbranch_execz .LBB47_5319
; %bb.5314:
	s_mov_b32 s28, exec_lo
	v_cmpx_lt_i16_e32 6, v3
	s_xor_b32 s28, exec_lo, s28
	s_cbranch_execz .LBB47_5316
; %bb.5315:
	v_cvt_f64_f32_e32 v[3:4], v27
                                        ; implicit-def: $vgpr27
	flat_store_b64 v[1:2], v[3:4]
                                        ; implicit-def: $vgpr1_vgpr2
.LBB47_5316:
	s_and_not1_saveexec_b32 s28, s28
	s_cbranch_execz .LBB47_5318
; %bb.5317:
	flat_store_b32 v[1:2], v27
.LBB47_5318:
	s_or_b32 exec_lo, exec_lo, s28
                                        ; implicit-def: $vgpr27
                                        ; implicit-def: $vgpr1_vgpr2
.LBB47_5319:
	s_and_not1_saveexec_b32 s27, s27
	s_cbranch_execz .LBB47_5321
; %bb.5320:
	v_cvt_f16_f32_e32 v3, v27
	flat_store_b16 v[1:2], v3
.LBB47_5321:
	s_or_b32 exec_lo, exec_lo, s27
.LBB47_5322:
	s_delay_alu instid0(SALU_CYCLE_1)
	s_or_b32 exec_lo, exec_lo, s26
                                        ; implicit-def: $vgpr3
                                        ; implicit-def: $vgpr27
                                        ; implicit-def: $vgpr1_vgpr2
.LBB47_5323:
	s_and_not1_saveexec_b32 s25, s25
	s_cbranch_execz .LBB47_5341
; %bb.5324:
	s_mov_b32 s26, exec_lo
	v_cmpx_lt_i16_e32 1, v3
	s_xor_b32 s26, exec_lo, s26
	s_cbranch_execz .LBB47_5334
; %bb.5325:
	s_mov_b32 s27, exec_lo
	v_cmpx_lt_i16_e32 2, v3
	s_xor_b32 s27, exec_lo, s27
	;; [unrolled: 5-line block ×3, first 2 shown]
	s_cbranch_execz .LBB47_5328
; %bb.5327:
	v_trunc_f32_e32 v3, v27
                                        ; implicit-def: $vgpr27
	s_delay_alu instid0(VALU_DEP_1) | instskip(SKIP_1) | instid1(VALU_DEP_2)
	v_mul_f32_e64 v4, 0x2f800000, |v3|
	v_ashrrev_i32_e32 v10, 31, v3
	v_floor_f32_e32 v4, v4
	s_delay_alu instid0(VALU_DEP_1) | instskip(SKIP_1) | instid1(VALU_DEP_2)
	v_fma_f32 v5, 0xcf800000, v4, |v3|
	v_cvt_u32_f32_e32 v4, v4
	v_cvt_u32_f32_e32 v3, v5
	s_delay_alu instid0(VALU_DEP_2) | instskip(NEXT) | instid1(VALU_DEP_2)
	v_xor_b32_e32 v4, v4, v10
	v_xor_b32_e32 v3, v3, v10
	s_delay_alu instid0(VALU_DEP_1) | instskip(NEXT) | instid1(VALU_DEP_3)
	v_sub_co_u32 v3, vcc_lo, v3, v10
	v_sub_co_ci_u32_e32 v4, vcc_lo, v4, v10, vcc_lo
	flat_store_b64 v[1:2], v[3:4]
                                        ; implicit-def: $vgpr1_vgpr2
.LBB47_5328:
	s_and_not1_saveexec_b32 s28, s28
	s_cbranch_execz .LBB47_5330
; %bb.5329:
	v_cvt_i32_f32_e32 v3, v27
	flat_store_b32 v[1:2], v3
.LBB47_5330:
	s_or_b32 exec_lo, exec_lo, s28
                                        ; implicit-def: $vgpr27
                                        ; implicit-def: $vgpr1_vgpr2
.LBB47_5331:
	s_and_not1_saveexec_b32 s27, s27
	s_cbranch_execz .LBB47_5333
; %bb.5332:
	v_cvt_i32_f32_e32 v3, v27
	flat_store_b16 v[1:2], v3
.LBB47_5333:
	s_or_b32 exec_lo, exec_lo, s27
                                        ; implicit-def: $vgpr27
                                        ; implicit-def: $vgpr1_vgpr2
                                        ; implicit-def: $vgpr3
.LBB47_5334:
	s_and_not1_saveexec_b32 s26, s26
	s_cbranch_execz .LBB47_5340
; %bb.5335:
	s_mov_b32 s27, exec_lo
	v_cmpx_lt_i16_e32 0, v3
	s_xor_b32 s27, exec_lo, s27
	s_cbranch_execz .LBB47_5337
; %bb.5336:
	v_cvt_i32_f32_e32 v3, v27
                                        ; implicit-def: $vgpr27
	flat_store_b8 v[1:2], v3
                                        ; implicit-def: $vgpr1_vgpr2
.LBB47_5337:
	s_and_not1_saveexec_b32 s27, s27
	s_cbranch_execz .LBB47_5339
; %bb.5338:
	v_trunc_f32_e32 v3, v27
	s_delay_alu instid0(VALU_DEP_1) | instskip(NEXT) | instid1(VALU_DEP_1)
	v_mul_f32_e64 v4, 0x2f800000, |v3|
	v_floor_f32_e32 v4, v4
	s_delay_alu instid0(VALU_DEP_1) | instskip(SKIP_1) | instid1(VALU_DEP_2)
	v_fma_f32 v4, 0xcf800000, v4, |v3|
	v_ashrrev_i32_e32 v3, 31, v3
	v_cvt_u32_f32_e32 v4, v4
	s_delay_alu instid0(VALU_DEP_1) | instskip(NEXT) | instid1(VALU_DEP_1)
	v_xor_b32_e32 v4, v4, v3
	v_sub_nc_u32_e32 v3, v4, v3
	flat_store_b8 v[1:2], v3
.LBB47_5339:
	s_or_b32 exec_lo, exec_lo, s27
.LBB47_5340:
	s_delay_alu instid0(SALU_CYCLE_1)
	s_or_b32 exec_lo, exec_lo, s26
.LBB47_5341:
	s_delay_alu instid0(SALU_CYCLE_1) | instskip(NEXT) | instid1(SALU_CYCLE_1)
	s_or_b32 exec_lo, exec_lo, s25
	s_or_b32 s0, s0, exec_lo
	s_or_b32 exec_lo, exec_lo, s22
	s_mov_b32 s25, 0
	s_and_saveexec_b32 s22, s0
	s_cbranch_execnz .LBB47_3903
	s_branch .LBB47_3904
.LBB47_5342:
	v_bfe_u32 v3, v33, 21, 1
	s_mov_b32 s18, exec_lo
	s_delay_alu instid0(VALU_DEP_1) | instskip(NEXT) | instid1(VALU_DEP_1)
	v_add3_u32 v3, v33, v3, 0x88fffff
	v_lshrrev_b32_e32 v3, 21, v3
	s_or_saveexec_b32 s19, s19
                                        ; implicit-def: $sgpr20
	s_delay_alu instid0(SALU_CYCLE_1)
	s_xor_b32 exec_lo, exec_lo, s19
	s_cbranch_execz .LBB47_4515
.LBB47_5343:
	v_add_f32_e64 v3, 0x42800000, |v33|
	s_and_not1_b32 s18, s18, exec_lo
	s_mov_b32 s20, 0
	s_delay_alu instid0(VALU_DEP_1) | instskip(NEXT) | instid1(VALU_DEP_1)
	v_and_b32_e32 v3, 0xff, v3
	v_cmp_ne_u32_e32 vcc_lo, 0, v3
	s_and_b32 s21, vcc_lo, exec_lo
	s_delay_alu instid0(SALU_CYCLE_1)
	s_or_b32 s18, s18, s21
	s_or_b32 exec_lo, exec_lo, s19
	v_mov_b32_e32 v4, s20
	s_and_saveexec_b32 s19, s18
	s_cbranch_execnz .LBB47_4516
	s_branch .LBB47_4517
.LBB47_5344:
	v_bfe_u32 v3, v32, 20, 1
	s_mov_b32 s19, exec_lo
	s_delay_alu instid0(VALU_DEP_1) | instskip(NEXT) | instid1(VALU_DEP_1)
	v_add3_u32 v3, v32, v3, 0x487ffff
	v_lshrrev_b32_e32 v3, 20, v3
	s_or_saveexec_b32 s20, s20
                                        ; implicit-def: $sgpr21
	s_delay_alu instid0(SALU_CYCLE_1)
	s_xor_b32 exec_lo, exec_lo, s20
	s_cbranch_execz .LBB47_4626
.LBB47_5345:
	v_add_f32_e64 v3, 0x46000000, |v32|
	s_and_not1_b32 s19, s19, exec_lo
	s_mov_b32 s21, 0
	s_delay_alu instid0(VALU_DEP_1) | instskip(NEXT) | instid1(VALU_DEP_1)
	v_and_b32_e32 v3, 0xff, v3
	v_cmp_ne_u32_e32 vcc_lo, 0, v3
	s_and_b32 s22, vcc_lo, exec_lo
	s_delay_alu instid0(SALU_CYCLE_1)
	s_or_b32 s19, s19, s22
	s_or_b32 exec_lo, exec_lo, s20
	v_mov_b32_e32 v4, s21
	s_and_saveexec_b32 s20, s19
	s_cbranch_execnz .LBB47_4627
	s_branch .LBB47_4628
.LBB47_5346:
	s_mov_b32 s26, s22
	s_mov_b32 s27, exec_lo
	v_cmpx_lt_i16_e32 25, v3
	s_xor_b32 s27, exec_lo, s27
	s_cbranch_execz .LBB47_5382
; %bb.5347:
	s_mov_b32 s28, s22
	s_mov_b32 s26, exec_lo
	v_cmpx_lt_i16_e32 28, v3
	s_xor_b32 s26, exec_lo, s26
	s_cbranch_execz .LBB47_5365
; %bb.5348:
	s_mov_b32 vcc_hi, s22
	s_mov_b32 s28, exec_lo
	v_cmpx_lt_i16_e32 43, v3
	s_xor_b32 s28, exec_lo, s28
	s_cbranch_execz .LBB47_5360
; %bb.5349:
	s_mov_b32 s29, 0
	s_mov_b32 vcc_hi, s22
	s_mov_b32 s0, exec_lo
	v_cmpx_lt_i16_e32 45, v3
	s_xor_b32 s0, exec_lo, s0
	s_cbranch_execz .LBB47_5353
; %bb.5350:
	s_mov_b32 s30, -1
	s_mov_b32 vcc_hi, exec_lo
	v_cmpx_eq_u16_e32 46, v3
	s_cbranch_execz .LBB47_5352
; %bb.5351:
	v_bfe_u32 v3, v26, 16, 1
	v_cmp_o_f32_e32 vcc_lo, v26, v26
	s_mov_b32 s29, exec_lo
	s_xor_b32 s30, exec_lo, -1
	s_delay_alu instid0(VALU_DEP_2) | instskip(NEXT) | instid1(VALU_DEP_1)
	v_add3_u32 v3, v26, v3, 0x7fff
	v_lshrrev_b32_e32 v3, 16, v3
	s_delay_alu instid0(VALU_DEP_1)
	v_cndmask_b32_e32 v3, 0x7fc0, v3, vcc_lo
	flat_store_b32 v[1:2], v3
.LBB47_5352:
	s_or_b32 exec_lo, exec_lo, vcc_hi
	s_delay_alu instid0(SALU_CYCLE_1)
	s_and_not1_b32 vcc_lo, s22, exec_lo
	s_and_b32 vcc_hi, s30, exec_lo
	s_and_b32 s29, s29, exec_lo
	s_or_b32 vcc_hi, vcc_lo, vcc_hi
                                        ; implicit-def: $vgpr3
                                        ; implicit-def: $vgpr1_vgpr2
                                        ; implicit-def: $vgpr26
.LBB47_5353:
	s_and_not1_saveexec_b32 s30, s0
	s_cbranch_execz .LBB47_5359
; %bb.5354:
	s_mov_b32 s34, -1
	s_mov_b32 s0, s29
	s_mov_b32 s31, exec_lo
	v_cmpx_eq_u16_e32 44, v3
	s_cbranch_execz .LBB47_5358
; %bb.5355:
	v_bfe_u32 v4, v26, 23, 8
	v_mov_b32_e32 v3, 0xff
	s_mov_b32 s34, exec_lo
	s_delay_alu instid0(VALU_DEP_2)
	v_cmpx_ne_u32_e32 0xff, v4
; %bb.5356:
	v_and_b32_e32 v3, 0x400000, v26
	v_and_or_b32 v4, 0x3fffff, v26, v4
	s_delay_alu instid0(VALU_DEP_2) | instskip(NEXT) | instid1(VALU_DEP_2)
	v_cmp_ne_u32_e32 vcc_lo, 0, v3
	v_cmp_ne_u32_e64 s0, 0, v4
	v_lshrrev_b32_e32 v3, 23, v26
	s_delay_alu instid0(VALU_DEP_2) | instskip(NEXT) | instid1(SALU_CYCLE_1)
	s_and_b32 s0, vcc_lo, s0
	v_cndmask_b32_e64 v4, 0, 1, s0
	s_delay_alu instid0(VALU_DEP_1)
	v_add_nc_u32_e32 v3, v3, v4
; %bb.5357:
	s_or_b32 exec_lo, exec_lo, s34
	s_delay_alu instid0(SALU_CYCLE_1)
	s_xor_b32 s34, exec_lo, -1
	s_or_b32 s0, s29, exec_lo
	flat_store_b8 v[1:2], v3
.LBB47_5358:
	s_or_b32 exec_lo, exec_lo, s31
	s_delay_alu instid0(SALU_CYCLE_1)
	s_and_not1_b32 vcc_lo, vcc_hi, exec_lo
	s_and_b32 vcc_hi, s34, exec_lo
	s_and_not1_b32 s29, s29, exec_lo
	s_and_b32 s0, s0, exec_lo
	s_or_b32 vcc_hi, vcc_lo, vcc_hi
	s_or_b32 s29, s29, s0
.LBB47_5359:
	s_or_b32 exec_lo, exec_lo, s30
	s_delay_alu instid0(SALU_CYCLE_1) | instskip(SKIP_1) | instid1(SALU_CYCLE_1)
	s_and_not1_b32 s0, s22, exec_lo
	s_and_b32 vcc_lo, vcc_hi, exec_lo
                                        ; implicit-def: $vgpr3
                                        ; implicit-def: $vgpr26
                                        ; implicit-def: $vgpr1_vgpr2
	s_or_b32 vcc_hi, s0, vcc_lo
	s_and_b32 s0, s29, exec_lo
.LBB47_5360:
	s_and_not1_saveexec_b32 s28, s28
	s_cbranch_execz .LBB47_5364
; %bb.5361:
	s_mov_b32 s31, -1
	s_mov_b32 s30, s0
	s_mov_b32 s29, exec_lo
	v_cmpx_eq_u16_e32 29, v3
	s_cbranch_execz .LBB47_5363
; %bb.5362:
	v_trunc_f32_e32 v3, v26
	s_xor_b32 s31, exec_lo, -1
	s_or_b32 s30, s0, exec_lo
	s_delay_alu instid0(VALU_DEP_1) | instskip(NEXT) | instid1(VALU_DEP_1)
	v_mul_f32_e32 v4, 0x2f800000, v3
	v_floor_f32_e32 v4, v4
	s_delay_alu instid0(VALU_DEP_1) | instskip(SKIP_1) | instid1(VALU_DEP_2)
	v_fmamk_f32 v3, v4, 0xcf800000, v3
	v_cvt_u32_f32_e32 v4, v4
	v_cvt_u32_f32_e32 v3, v3
	flat_store_b64 v[1:2], v[3:4]
.LBB47_5363:
	s_or_b32 exec_lo, exec_lo, s29
	s_delay_alu instid0(SALU_CYCLE_1)
	s_and_not1_b32 s29, vcc_hi, exec_lo
	s_and_b32 vcc_lo, s31, exec_lo
	s_and_not1_b32 s0, s0, exec_lo
	s_and_b32 s30, s30, exec_lo
	s_or_b32 vcc_hi, s29, vcc_lo
	s_or_b32 s0, s0, s30
.LBB47_5364:
	s_or_b32 exec_lo, exec_lo, s28
	s_delay_alu instid0(SALU_CYCLE_1)
	s_and_not1_b32 s28, s22, exec_lo
	s_and_b32 s29, vcc_hi, exec_lo
	s_and_b32 s0, s0, exec_lo
	s_or_b32 s28, s28, s29
                                        ; implicit-def: $vgpr1_vgpr2
                                        ; implicit-def: $vgpr3
                                        ; implicit-def: $vgpr26
.LBB47_5365:
	s_and_not1_saveexec_b32 s26, s26
	s_cbranch_execz .LBB47_5381
; %bb.5366:
	s_mov_b32 s29, exec_lo
	v_cmpx_lt_i16_e32 26, v3
	s_xor_b32 s29, exec_lo, s29
	s_cbranch_execz .LBB47_5372
; %bb.5367:
	v_cmp_lt_i16_e32 vcc_lo, 27, v3
	s_and_saveexec_b32 vcc_hi, vcc_lo
	s_delay_alu instid0(SALU_CYCLE_1)
	s_xor_b32 vcc_lo, exec_lo, vcc_hi
	s_cbranch_execz .LBB47_5369
; %bb.5368:
	v_cvt_u32_f32_e32 v3, v26
                                        ; implicit-def: $vgpr26
	flat_store_b32 v[1:2], v3
                                        ; implicit-def: $vgpr1_vgpr2
.LBB47_5369:
	s_and_not1_saveexec_b32 vcc_lo, vcc_lo
	s_cbranch_execz .LBB47_5371
; %bb.5370:
	v_cvt_u32_f32_e32 v3, v26
	flat_store_b16 v[1:2], v3
.LBB47_5371:
	s_or_b32 exec_lo, exec_lo, vcc_lo
                                        ; implicit-def: $vgpr1_vgpr2
                                        ; implicit-def: $vgpr26
.LBB47_5372:
	s_and_not1_saveexec_b32 s29, s29
	s_cbranch_execz .LBB47_5380
; %bb.5373:
	v_and_b32_e32 v3, 0x7fffffff, v26
	v_mov_b32_e32 v4, 0x80
	s_mov_b32 vcc_hi, exec_lo
	s_delay_alu instid0(VALU_DEP_2)
	v_cmpx_gt_u32_e32 0x43800000, v3
	s_cbranch_execz .LBB47_5379
; %bb.5374:
	v_cmp_lt_u32_e32 vcc_lo, 0x3bffffff, v3
	s_mov_b32 s30, 0
                                        ; implicit-def: $vgpr3
	s_and_saveexec_b32 s31, vcc_lo
	s_delay_alu instid0(SALU_CYCLE_1)
	s_xor_b32 vcc_lo, exec_lo, s31
	s_cbranch_execnz .LBB47_6100
; %bb.5375:
	s_or_saveexec_b32 s31, vcc_lo
                                        ; implicit-def: $vcc_lo
	s_delay_alu instid0(SALU_CYCLE_1)
	s_xor_b32 exec_lo, exec_lo, s31
	s_cbranch_execnz .LBB47_6101
.LBB47_5376:
	s_or_b32 exec_lo, exec_lo, s31
	v_mov_b32_e32 v4, vcc_lo
	s_and_saveexec_b32 vcc_lo, s30
.LBB47_5377:
	v_lshrrev_b32_e32 v4, 24, v26
	s_delay_alu instid0(VALU_DEP_1)
	v_and_or_b32 v4, 0x80, v4, v3
.LBB47_5378:
	s_or_b32 exec_lo, exec_lo, vcc_lo
.LBB47_5379:
	s_delay_alu instid0(SALU_CYCLE_1)
	s_or_b32 exec_lo, exec_lo, vcc_hi
	flat_store_b8 v[1:2], v4
.LBB47_5380:
	s_or_b32 exec_lo, exec_lo, s29
	s_delay_alu instid0(SALU_CYCLE_1)
	s_or_b32 s0, s0, exec_lo
.LBB47_5381:
	s_or_b32 exec_lo, exec_lo, s26
	s_delay_alu instid0(SALU_CYCLE_1)
	s_and_not1_b32 s26, s22, exec_lo
	s_and_b32 s28, s28, exec_lo
	s_and_b32 s0, s0, exec_lo
	s_or_b32 s26, s26, s28
                                        ; implicit-def: $vgpr3
                                        ; implicit-def: $vgpr26
                                        ; implicit-def: $vgpr1_vgpr2
.LBB47_5382:
	s_and_not1_saveexec_b32 s27, s27
	s_cbranch_execz .LBB47_5426
; %bb.5383:
	s_mov_b32 s29, s0
	s_mov_b32 s28, exec_lo
	v_cmpx_lt_i16_e32 22, v3
	s_xor_b32 s28, exec_lo, s28
	s_cbranch_execz .LBB47_5415
; %bb.5384:
	s_mov_b32 s29, exec_lo
	v_cmpx_lt_i16_e32 23, v3
	s_xor_b32 s29, exec_lo, s29
	s_cbranch_execz .LBB47_5404
; %bb.5385:
	s_mov_b32 vcc_hi, exec_lo
	v_cmpx_lt_i16_e32 24, v3
	s_xor_b32 vcc_hi, exec_lo, vcc_hi
	s_cbranch_execz .LBB47_5393
; %bb.5386:
	v_and_b32_e32 v3, 0x7fffffff, v26
	v_mov_b32_e32 v4, 0x80
	s_mov_b32 s30, exec_lo
	s_delay_alu instid0(VALU_DEP_2)
	v_cmpx_gt_u32_e32 0x47800000, v3
	s_cbranch_execz .LBB47_5392
; %bb.5387:
	v_cmp_lt_u32_e32 vcc_lo, 0x37ffffff, v3
	s_mov_b32 s31, 0
                                        ; implicit-def: $vgpr3
	s_and_saveexec_b32 s34, vcc_lo
	s_delay_alu instid0(SALU_CYCLE_1)
	s_xor_b32 vcc_lo, exec_lo, s34
	s_cbranch_execnz .LBB47_6224
; %bb.5388:
	s_or_saveexec_b32 s34, vcc_lo
                                        ; implicit-def: $vcc_lo
	s_delay_alu instid0(SALU_CYCLE_1)
	s_xor_b32 exec_lo, exec_lo, s34
	s_cbranch_execnz .LBB47_6225
.LBB47_5389:
	s_or_b32 exec_lo, exec_lo, s34
	v_mov_b32_e32 v4, vcc_lo
	s_and_saveexec_b32 vcc_lo, s31
.LBB47_5390:
	v_lshrrev_b32_e32 v4, 24, v26
	s_delay_alu instid0(VALU_DEP_1)
	v_and_or_b32 v4, 0x80, v4, v3
.LBB47_5391:
	s_or_b32 exec_lo, exec_lo, vcc_lo
.LBB47_5392:
	s_delay_alu instid0(SALU_CYCLE_1)
	s_or_b32 exec_lo, exec_lo, s30
	flat_store_b8 v[1:2], v4
                                        ; implicit-def: $vgpr26
                                        ; implicit-def: $vgpr1_vgpr2
.LBB47_5393:
	s_and_not1_saveexec_b32 vcc_hi, vcc_hi
	s_cbranch_execz .LBB47_5403
; %bb.5394:
	v_and_b32_e32 v4, 0x7fffffff, v26
	s_mov_b32 s30, exec_lo
                                        ; implicit-def: $vgpr3
	s_delay_alu instid0(VALU_DEP_1)
	v_cmpx_gt_u32_e32 0x43f00000, v4
	s_xor_b32 s30, exec_lo, s30
	s_cbranch_execz .LBB47_5400
; %bb.5395:
	s_mov_b32 s31, exec_lo
                                        ; implicit-def: $vgpr3
	v_cmpx_lt_u32_e32 0x3c7fffff, v4
	s_xor_b32 s31, exec_lo, s31
; %bb.5396:
	v_bfe_u32 v3, v26, 20, 1
	s_delay_alu instid0(VALU_DEP_1) | instskip(NEXT) | instid1(VALU_DEP_1)
	v_add3_u32 v3, v26, v3, 0x407ffff
	v_and_b32_e32 v4, 0xff00000, v3
	v_lshrrev_b32_e32 v3, 20, v3
	s_delay_alu instid0(VALU_DEP_2) | instskip(NEXT) | instid1(VALU_DEP_2)
	v_cmp_ne_u32_e32 vcc_lo, 0x7f00000, v4
	v_cndmask_b32_e32 v3, 0x7e, v3, vcc_lo
; %bb.5397:
	s_and_not1_saveexec_b32 vcc_lo, s31
; %bb.5398:
	v_add_f32_e64 v3, 0x46800000, |v26|
; %bb.5399:
	s_or_b32 exec_lo, exec_lo, vcc_lo
                                        ; implicit-def: $vgpr4
.LBB47_5400:
	s_and_not1_saveexec_b32 s30, s30
; %bb.5401:
	v_mov_b32_e32 v3, 0x7f
	v_cmp_lt_u32_e32 vcc_lo, 0x7f800000, v4
	s_delay_alu instid0(VALU_DEP_2)
	v_cndmask_b32_e32 v3, 0x7e, v3, vcc_lo
; %bb.5402:
	s_or_b32 exec_lo, exec_lo, s30
	v_lshrrev_b32_e32 v4, 24, v26
	s_delay_alu instid0(VALU_DEP_1)
	v_and_or_b32 v3, 0x80, v4, v3
	flat_store_b8 v[1:2], v3
.LBB47_5403:
	s_or_b32 exec_lo, exec_lo, vcc_hi
                                        ; implicit-def: $vgpr26
                                        ; implicit-def: $vgpr1_vgpr2
.LBB47_5404:
	s_and_not1_saveexec_b32 s29, s29
	s_cbranch_execz .LBB47_5414
; %bb.5405:
	v_and_b32_e32 v4, 0x7fffffff, v26
	s_mov_b32 vcc_hi, exec_lo
                                        ; implicit-def: $vgpr3
	s_delay_alu instid0(VALU_DEP_1)
	v_cmpx_gt_u32_e32 0x47800000, v4
	s_xor_b32 vcc_hi, exec_lo, vcc_hi
	s_cbranch_execz .LBB47_5411
; %bb.5406:
	v_cmp_lt_u32_e32 vcc_lo, 0x387fffff, v4
                                        ; implicit-def: $vgpr3
	s_and_saveexec_b32 s30, vcc_lo
	s_delay_alu instid0(SALU_CYCLE_1)
	s_xor_b32 vcc_lo, exec_lo, s30
; %bb.5407:
	v_bfe_u32 v3, v26, 21, 1
	s_delay_alu instid0(VALU_DEP_1) | instskip(NEXT) | instid1(VALU_DEP_1)
	v_add3_u32 v3, v26, v3, 0x80fffff
	v_lshrrev_b32_e32 v3, 21, v3
; %bb.5408:
	s_and_not1_saveexec_b32 vcc_lo, vcc_lo
; %bb.5409:
	v_add_f32_e64 v3, 0x43000000, |v26|
; %bb.5410:
	s_or_b32 exec_lo, exec_lo, vcc_lo
                                        ; implicit-def: $vgpr4
.LBB47_5411:
	s_and_not1_saveexec_b32 vcc_hi, vcc_hi
; %bb.5412:
	v_mov_b32_e32 v3, 0x7f
	v_cmp_lt_u32_e32 vcc_lo, 0x7f800000, v4
	s_delay_alu instid0(VALU_DEP_2)
	v_cndmask_b32_e32 v3, 0x7c, v3, vcc_lo
; %bb.5413:
	s_or_b32 exec_lo, exec_lo, vcc_hi
	v_lshrrev_b32_e32 v4, 24, v26
	s_delay_alu instid0(VALU_DEP_1)
	v_and_or_b32 v3, 0x80, v4, v3
	flat_store_b8 v[1:2], v3
.LBB47_5414:
	s_or_b32 exec_lo, exec_lo, s29
	s_delay_alu instid0(SALU_CYCLE_1)
	s_or_b32 s29, s0, exec_lo
                                        ; implicit-def: $vgpr3
                                        ; implicit-def: $vgpr26
                                        ; implicit-def: $vgpr1_vgpr2
.LBB47_5415:
	s_or_saveexec_b32 s28, s28
	s_mov_b32 vcc_lo, s26
	s_xor_b32 exec_lo, exec_lo, s28
	s_cbranch_execz .LBB47_5425
; %bb.5416:
	s_mov_b32 vcc_hi, s29
	s_mov_b32 s30, s26
	s_mov_b32 s31, exec_lo
	v_cmpx_lt_i16_e32 14, v3
	s_xor_b32 s31, exec_lo, s31
	s_cbranch_execz .LBB47_5420
; %bb.5417:
	s_mov_b32 s34, -1
	s_mov_b32 vcc_hi, s29
	s_mov_b32 s30, exec_lo
	v_cmpx_eq_u16_e32 15, v3
	s_cbranch_execz .LBB47_5419
; %bb.5418:
	v_bfe_u32 v3, v26, 16, 1
	v_cmp_o_f32_e32 vcc_lo, v26, v26
	s_xor_b32 s34, exec_lo, -1
	s_or_b32 vcc_hi, s29, exec_lo
	s_delay_alu instid0(VALU_DEP_2) | instskip(NEXT) | instid1(VALU_DEP_1)
	v_add3_u32 v3, v26, v3, 0x7fff
	v_lshrrev_b32_e32 v3, 16, v3
	s_delay_alu instid0(VALU_DEP_1)
	v_cndmask_b32_e32 v3, 0x7fc0, v3, vcc_lo
	flat_store_b16 v[1:2], v3
.LBB47_5419:
	s_or_b32 exec_lo, exec_lo, s30
	s_delay_alu instid0(SALU_CYCLE_1)
	s_and_not1_b32 vcc_lo, s26, exec_lo
	s_and_b32 s30, s34, exec_lo
	s_and_not1_b32 s34, s29, exec_lo
	s_and_b32 vcc_hi, vcc_hi, exec_lo
	s_or_b32 s30, vcc_lo, s30
	s_or_b32 vcc_hi, s34, vcc_hi
                                        ; implicit-def: $vgpr3
                                        ; implicit-def: $vgpr26
                                        ; implicit-def: $vgpr1_vgpr2
.LBB47_5420:
	s_and_not1_saveexec_b32 s31, s31
	s_cbranch_execz .LBB47_5424
; %bb.5421:
	s_mov_b32 s35, -1
	s_mov_b32 s34, vcc_hi
	s_mov_b32 s36, exec_lo
	v_cmpx_eq_u16_e32 11, v3
	s_cbranch_execz .LBB47_5423
; %bb.5422:
	v_cmp_neq_f32_e32 vcc_lo, 0, v26
	s_xor_b32 s35, exec_lo, -1
	v_cndmask_b32_e64 v3, 0, 1, vcc_lo
	s_or_b32 s34, vcc_hi, exec_lo
	flat_store_b8 v[1:2], v3
.LBB47_5423:
	s_or_b32 exec_lo, exec_lo, s36
	s_delay_alu instid0(SALU_CYCLE_1)
	s_and_not1_b32 vcc_lo, s30, exec_lo
	s_and_b32 s30, s35, exec_lo
	s_and_not1_b32 vcc_hi, vcc_hi, exec_lo
	s_and_b32 s34, s34, exec_lo
	s_or_b32 s30, vcc_lo, s30
	s_or_b32 vcc_hi, vcc_hi, s34
.LBB47_5424:
	s_or_b32 exec_lo, exec_lo, s31
	s_delay_alu instid0(SALU_CYCLE_1)
	s_and_not1_b32 vcc_lo, s26, exec_lo
	s_and_b32 s30, s30, exec_lo
	s_and_not1_b32 s29, s29, exec_lo
	s_and_b32 vcc_hi, vcc_hi, exec_lo
	s_or_b32 vcc_lo, vcc_lo, s30
	s_or_b32 s29, s29, vcc_hi
.LBB47_5425:
	s_or_b32 exec_lo, exec_lo, s28
	s_delay_alu instid0(SALU_CYCLE_1)
	s_and_not1_b32 s26, s26, exec_lo
	s_and_b32 s28, vcc_lo, exec_lo
	s_and_not1_b32 s0, s0, exec_lo
	s_and_b32 s29, s29, exec_lo
	s_or_b32 s26, s26, s28
	s_or_b32 s0, s0, s29
.LBB47_5426:
	s_or_b32 exec_lo, exec_lo, s27
	s_delay_alu instid0(SALU_CYCLE_1)
	s_and_not1_b32 s27, s22, exec_lo
	s_and_b32 s26, s26, exec_lo
	s_and_b32 s0, s0, exec_lo
	s_or_b32 s26, s27, s26
                                        ; implicit-def: $vgpr3
                                        ; implicit-def: $vgpr26
                                        ; implicit-def: $vgpr1_vgpr2
	s_and_not1_saveexec_b32 s24, s24
	s_cbranch_execz .LBB47_3909
.LBB47_5427:
	s_mov_b32 s27, exec_lo
	v_cmpx_lt_i16_e32 4, v3
	s_xor_b32 s27, exec_lo, s27
	s_cbranch_execz .LBB47_5449
; %bb.5428:
	s_mov_b32 s28, exec_lo
	v_cmpx_lt_i16_e32 7, v3
	s_xor_b32 s28, exec_lo, s28
	s_cbranch_execz .LBB47_5438
; %bb.5429:
	;; [unrolled: 5-line block ×3, first 2 shown]
	v_cmp_lt_i16_e32 vcc_lo, 9, v3
	s_and_saveexec_b32 vcc_hi, vcc_lo
	s_delay_alu instid0(SALU_CYCLE_1)
	s_xor_b32 vcc_lo, exec_lo, vcc_hi
	s_cbranch_execz .LBB47_5432
; %bb.5431:
	v_cvt_f64_f32_e32 v[26:27], v26
	v_mov_b32_e32 v28, 0
	s_delay_alu instid0(VALU_DEP_1)
	v_mov_b32_e32 v29, v28
	flat_store_b128 v[1:2], v[26:29]
                                        ; implicit-def: $vgpr26
                                        ; implicit-def: $vgpr1_vgpr2
.LBB47_5432:
	s_and_not1_saveexec_b32 vcc_lo, vcc_lo
	s_cbranch_execz .LBB47_5434
; %bb.5433:
	v_mov_b32_e32 v27, 0
	flat_store_b64 v[1:2], v[26:27]
.LBB47_5434:
	s_or_b32 exec_lo, exec_lo, vcc_lo
                                        ; implicit-def: $vgpr26
                                        ; implicit-def: $vgpr1_vgpr2
.LBB47_5435:
	s_and_not1_saveexec_b32 s29, s29
	s_cbranch_execz .LBB47_5437
; %bb.5436:
	v_cvt_f16_f32_e32 v3, v26
	s_delay_alu instid0(VALU_DEP_1)
	v_and_b32_e32 v3, 0xffff, v3
	flat_store_b32 v[1:2], v3
.LBB47_5437:
	s_or_b32 exec_lo, exec_lo, s29
                                        ; implicit-def: $vgpr26
                                        ; implicit-def: $vgpr1_vgpr2
                                        ; implicit-def: $vgpr3
.LBB47_5438:
	s_and_not1_saveexec_b32 s28, s28
	s_cbranch_execz .LBB47_5448
; %bb.5439:
	s_mov_b32 s29, exec_lo
	v_cmpx_lt_i16_e32 5, v3
	s_xor_b32 s29, exec_lo, s29
	s_cbranch_execz .LBB47_5445
; %bb.5440:
	v_cmp_lt_i16_e32 vcc_lo, 6, v3
	s_and_saveexec_b32 vcc_hi, vcc_lo
	s_delay_alu instid0(SALU_CYCLE_1)
	s_xor_b32 vcc_lo, exec_lo, vcc_hi
	s_cbranch_execz .LBB47_5442
; %bb.5441:
	v_cvt_f64_f32_e32 v[3:4], v26
                                        ; implicit-def: $vgpr26
	flat_store_b64 v[1:2], v[3:4]
                                        ; implicit-def: $vgpr1_vgpr2
.LBB47_5442:
	s_and_not1_saveexec_b32 vcc_lo, vcc_lo
	s_cbranch_execz .LBB47_5444
; %bb.5443:
	flat_store_b32 v[1:2], v26
.LBB47_5444:
	s_or_b32 exec_lo, exec_lo, vcc_lo
                                        ; implicit-def: $vgpr26
                                        ; implicit-def: $vgpr1_vgpr2
.LBB47_5445:
	s_and_not1_saveexec_b32 s29, s29
	s_cbranch_execz .LBB47_5447
; %bb.5446:
	v_cvt_f16_f32_e32 v3, v26
	flat_store_b16 v[1:2], v3
.LBB47_5447:
	s_or_b32 exec_lo, exec_lo, s29
.LBB47_5448:
	s_delay_alu instid0(SALU_CYCLE_1)
	s_or_b32 exec_lo, exec_lo, s28
                                        ; implicit-def: $vgpr3
                                        ; implicit-def: $vgpr26
                                        ; implicit-def: $vgpr1_vgpr2
.LBB47_5449:
	s_and_not1_saveexec_b32 s27, s27
	s_cbranch_execz .LBB47_5467
; %bb.5450:
	s_mov_b32 s28, exec_lo
	v_cmpx_lt_i16_e32 1, v3
	s_xor_b32 s28, exec_lo, s28
	s_cbranch_execz .LBB47_5460
; %bb.5451:
	s_mov_b32 s29, exec_lo
	v_cmpx_lt_i16_e32 2, v3
	s_xor_b32 s29, exec_lo, s29
	s_cbranch_execz .LBB47_5457
; %bb.5452:
	s_mov_b32 vcc_hi, exec_lo
	v_cmpx_lt_i16_e32 3, v3
	s_xor_b32 vcc_hi, exec_lo, vcc_hi
	s_cbranch_execz .LBB47_5454
; %bb.5453:
	v_trunc_f32_e32 v3, v26
                                        ; implicit-def: $vgpr26
	s_delay_alu instid0(VALU_DEP_1) | instskip(SKIP_1) | instid1(VALU_DEP_2)
	v_mul_f32_e64 v4, 0x2f800000, |v3|
	v_ashrrev_i32_e32 v10, 31, v3
	v_floor_f32_e32 v4, v4
	s_delay_alu instid0(VALU_DEP_1) | instskip(SKIP_1) | instid1(VALU_DEP_2)
	v_fma_f32 v5, 0xcf800000, v4, |v3|
	v_cvt_u32_f32_e32 v4, v4
	v_cvt_u32_f32_e32 v3, v5
	s_delay_alu instid0(VALU_DEP_2) | instskip(NEXT) | instid1(VALU_DEP_2)
	v_xor_b32_e32 v4, v4, v10
	v_xor_b32_e32 v3, v3, v10
	s_delay_alu instid0(VALU_DEP_1) | instskip(NEXT) | instid1(VALU_DEP_3)
	v_sub_co_u32 v3, vcc_lo, v3, v10
	v_sub_co_ci_u32_e32 v4, vcc_lo, v4, v10, vcc_lo
	flat_store_b64 v[1:2], v[3:4]
                                        ; implicit-def: $vgpr1_vgpr2
.LBB47_5454:
	s_and_not1_saveexec_b32 vcc_lo, vcc_hi
	s_cbranch_execz .LBB47_5456
; %bb.5455:
	v_cvt_i32_f32_e32 v3, v26
	flat_store_b32 v[1:2], v3
.LBB47_5456:
	s_or_b32 exec_lo, exec_lo, vcc_lo
                                        ; implicit-def: $vgpr26
                                        ; implicit-def: $vgpr1_vgpr2
.LBB47_5457:
	s_and_not1_saveexec_b32 s29, s29
	s_cbranch_execz .LBB47_5459
; %bb.5458:
	v_cvt_i32_f32_e32 v3, v26
	flat_store_b16 v[1:2], v3
.LBB47_5459:
	s_or_b32 exec_lo, exec_lo, s29
                                        ; implicit-def: $vgpr26
                                        ; implicit-def: $vgpr1_vgpr2
                                        ; implicit-def: $vgpr3
.LBB47_5460:
	s_and_not1_saveexec_b32 s28, s28
	s_cbranch_execz .LBB47_5466
; %bb.5461:
	s_mov_b32 s29, exec_lo
	v_cmpx_lt_i16_e32 0, v3
	s_xor_b32 s29, exec_lo, s29
	s_cbranch_execz .LBB47_5463
; %bb.5462:
	v_cvt_i32_f32_e32 v3, v26
                                        ; implicit-def: $vgpr26
	flat_store_b8 v[1:2], v3
                                        ; implicit-def: $vgpr1_vgpr2
.LBB47_5463:
	s_and_not1_saveexec_b32 s29, s29
	s_cbranch_execz .LBB47_5465
; %bb.5464:
	v_trunc_f32_e32 v3, v26
	s_delay_alu instid0(VALU_DEP_1) | instskip(NEXT) | instid1(VALU_DEP_1)
	v_mul_f32_e64 v4, 0x2f800000, |v3|
	v_floor_f32_e32 v4, v4
	s_delay_alu instid0(VALU_DEP_1) | instskip(SKIP_1) | instid1(VALU_DEP_2)
	v_fma_f32 v4, 0xcf800000, v4, |v3|
	v_ashrrev_i32_e32 v3, 31, v3
	v_cvt_u32_f32_e32 v4, v4
	s_delay_alu instid0(VALU_DEP_1) | instskip(NEXT) | instid1(VALU_DEP_1)
	v_xor_b32_e32 v4, v4, v3
	v_sub_nc_u32_e32 v3, v4, v3
	flat_store_b8 v[1:2], v3
.LBB47_5465:
	s_or_b32 exec_lo, exec_lo, s29
.LBB47_5466:
	s_delay_alu instid0(SALU_CYCLE_1)
	s_or_b32 exec_lo, exec_lo, s28
.LBB47_5467:
	s_delay_alu instid0(SALU_CYCLE_1) | instskip(NEXT) | instid1(SALU_CYCLE_1)
	s_or_b32 exec_lo, exec_lo, s27
	s_or_b32 s0, s0, exec_lo
	s_or_b32 exec_lo, exec_lo, s24
	s_mov_b32 s27, 0
	s_and_saveexec_b32 s24, s0
	s_cbranch_execnz .LBB47_3910
	s_branch .LBB47_3911
.LBB47_5468:
	v_bfe_u32 v3, v32, 21, 1
	s_mov_b32 s20, exec_lo
	s_delay_alu instid0(VALU_DEP_1) | instskip(NEXT) | instid1(VALU_DEP_1)
	v_add3_u32 v3, v32, v3, 0x88fffff
	v_lshrrev_b32_e32 v3, 21, v3
	s_or_saveexec_b32 s21, s21
                                        ; implicit-def: $sgpr22
	s_delay_alu instid0(SALU_CYCLE_1)
	s_xor_b32 exec_lo, exec_lo, s21
	s_cbranch_execz .LBB47_4639
.LBB47_5469:
	v_add_f32_e64 v3, 0x42800000, |v32|
	s_and_not1_b32 s20, s20, exec_lo
	s_mov_b32 s22, 0
	s_delay_alu instid0(VALU_DEP_1) | instskip(NEXT) | instid1(VALU_DEP_1)
	v_and_b32_e32 v3, 0xff, v3
	v_cmp_ne_u32_e32 vcc_lo, 0, v3
	s_and_b32 s23, vcc_lo, exec_lo
	s_delay_alu instid0(SALU_CYCLE_1)
	s_or_b32 s20, s20, s23
	s_or_b32 exec_lo, exec_lo, s21
	v_mov_b32_e32 v4, s22
	s_and_saveexec_b32 s21, s20
	s_cbranch_execnz .LBB47_4640
	s_branch .LBB47_4641
.LBB47_5470:
	v_bfe_u32 v3, v31, 20, 1
	s_mov_b32 s21, exec_lo
	s_delay_alu instid0(VALU_DEP_1) | instskip(NEXT) | instid1(VALU_DEP_1)
	v_add3_u32 v3, v31, v3, 0x487ffff
	v_lshrrev_b32_e32 v3, 20, v3
	s_or_saveexec_b32 s22, s22
                                        ; implicit-def: $sgpr23
	s_delay_alu instid0(SALU_CYCLE_1)
	s_xor_b32 exec_lo, exec_lo, s22
	s_cbranch_execz .LBB47_4750
.LBB47_5471:
	v_add_f32_e64 v3, 0x46000000, |v31|
	s_and_not1_b32 s21, s21, exec_lo
	s_mov_b32 s23, 0
	s_delay_alu instid0(VALU_DEP_1) | instskip(NEXT) | instid1(VALU_DEP_1)
	v_and_b32_e32 v3, 0xff, v3
	v_cmp_ne_u32_e32 vcc_lo, 0, v3
	s_and_b32 s24, vcc_lo, exec_lo
	s_delay_alu instid0(SALU_CYCLE_1)
	s_or_b32 s21, s21, s24
	s_or_b32 exec_lo, exec_lo, s22
	v_mov_b32_e32 v4, s23
	s_and_saveexec_b32 s22, s21
	s_cbranch_execnz .LBB47_4751
	s_branch .LBB47_4752
.LBB47_5472:
	s_mov_b32 s28, s24
	s_mov_b32 s29, exec_lo
	v_cmpx_lt_i16_e32 25, v3
	s_xor_b32 s29, exec_lo, s29
	s_cbranch_execz .LBB47_5508
; %bb.5473:
	s_mov_b32 vcc_hi, s24
	s_mov_b32 s28, exec_lo
	v_cmpx_lt_i16_e32 28, v3
	s_xor_b32 s28, exec_lo, s28
	s_cbranch_execz .LBB47_5491
; %bb.5474:
	s_mov_b32 s31, s24
	s_mov_b32 vcc_hi, exec_lo
	v_cmpx_lt_i16_e32 43, v3
	s_xor_b32 vcc_hi, exec_lo, vcc_hi
	s_cbranch_execz .LBB47_5486
; %bb.5475:
	s_mov_b32 s30, 0
	s_mov_b32 s31, s24
	s_mov_b32 s0, exec_lo
	v_cmpx_lt_i16_e32 45, v3
	s_xor_b32 s0, exec_lo, s0
	s_cbranch_execz .LBB47_5479
; %bb.5476:
	s_mov_b32 s34, -1
	s_mov_b32 s31, exec_lo
	v_cmpx_eq_u16_e32 46, v3
	s_cbranch_execz .LBB47_5478
; %bb.5477:
	v_bfe_u32 v3, v25, 16, 1
	v_cmp_o_f32_e32 vcc_lo, v25, v25
	s_mov_b32 s30, exec_lo
	s_xor_b32 s34, exec_lo, -1
	s_delay_alu instid0(VALU_DEP_2) | instskip(NEXT) | instid1(VALU_DEP_1)
	v_add3_u32 v3, v25, v3, 0x7fff
	v_lshrrev_b32_e32 v3, 16, v3
	s_delay_alu instid0(VALU_DEP_1)
	v_cndmask_b32_e32 v3, 0x7fc0, v3, vcc_lo
	flat_store_b32 v[1:2], v3
.LBB47_5478:
	s_or_b32 exec_lo, exec_lo, s31
	s_delay_alu instid0(SALU_CYCLE_1)
	s_and_not1_b32 vcc_lo, s24, exec_lo
	s_and_b32 s31, s34, exec_lo
	s_and_b32 s30, s30, exec_lo
	s_or_b32 s31, vcc_lo, s31
                                        ; implicit-def: $vgpr3
                                        ; implicit-def: $vgpr1_vgpr2
                                        ; implicit-def: $vgpr25
.LBB47_5479:
	s_and_not1_saveexec_b32 s34, s0
	s_cbranch_execz .LBB47_5485
; %bb.5480:
	s_mov_b32 s36, -1
	s_mov_b32 s0, s30
	s_mov_b32 s35, exec_lo
	v_cmpx_eq_u16_e32 44, v3
	s_cbranch_execz .LBB47_5484
; %bb.5481:
	v_bfe_u32 v4, v25, 23, 8
	v_mov_b32_e32 v3, 0xff
	s_mov_b32 s36, exec_lo
	s_delay_alu instid0(VALU_DEP_2)
	v_cmpx_ne_u32_e32 0xff, v4
; %bb.5482:
	v_and_b32_e32 v3, 0x400000, v25
	v_and_or_b32 v4, 0x3fffff, v25, v4
	s_delay_alu instid0(VALU_DEP_2) | instskip(NEXT) | instid1(VALU_DEP_2)
	v_cmp_ne_u32_e32 vcc_lo, 0, v3
	v_cmp_ne_u32_e64 s0, 0, v4
	v_lshrrev_b32_e32 v3, 23, v25
	s_delay_alu instid0(VALU_DEP_2) | instskip(NEXT) | instid1(SALU_CYCLE_1)
	s_and_b32 s0, vcc_lo, s0
	v_cndmask_b32_e64 v4, 0, 1, s0
	s_delay_alu instid0(VALU_DEP_1)
	v_add_nc_u32_e32 v3, v3, v4
; %bb.5483:
	s_or_b32 exec_lo, exec_lo, s36
	s_delay_alu instid0(SALU_CYCLE_1)
	s_xor_b32 s36, exec_lo, -1
	s_or_b32 s0, s30, exec_lo
	flat_store_b8 v[1:2], v3
.LBB47_5484:
	s_or_b32 exec_lo, exec_lo, s35
	s_delay_alu instid0(SALU_CYCLE_1)
	s_and_not1_b32 vcc_lo, s31, exec_lo
	s_and_b32 s31, s36, exec_lo
	s_and_not1_b32 s30, s30, exec_lo
	s_and_b32 s0, s0, exec_lo
	s_or_b32 s31, vcc_lo, s31
	s_or_b32 s30, s30, s0
.LBB47_5485:
	s_or_b32 exec_lo, exec_lo, s34
	s_delay_alu instid0(SALU_CYCLE_1) | instskip(SKIP_1) | instid1(SALU_CYCLE_1)
	s_and_not1_b32 s0, s24, exec_lo
	s_and_b32 vcc_lo, s31, exec_lo
                                        ; implicit-def: $vgpr3
                                        ; implicit-def: $vgpr25
                                        ; implicit-def: $vgpr1_vgpr2
	s_or_b32 s31, s0, vcc_lo
	s_and_b32 s0, s30, exec_lo
.LBB47_5486:
	s_and_not1_saveexec_b32 vcc_hi, vcc_hi
	s_cbranch_execz .LBB47_5490
; %bb.5487:
	s_mov_b32 s35, -1
	s_mov_b32 s34, s0
	s_mov_b32 s30, exec_lo
	v_cmpx_eq_u16_e32 29, v3
	s_cbranch_execz .LBB47_5489
; %bb.5488:
	v_trunc_f32_e32 v3, v25
	s_xor_b32 s35, exec_lo, -1
	s_or_b32 s34, s0, exec_lo
	s_delay_alu instid0(VALU_DEP_1) | instskip(NEXT) | instid1(VALU_DEP_1)
	v_mul_f32_e32 v4, 0x2f800000, v3
	v_floor_f32_e32 v4, v4
	s_delay_alu instid0(VALU_DEP_1) | instskip(SKIP_1) | instid1(VALU_DEP_2)
	v_fmamk_f32 v3, v4, 0xcf800000, v3
	v_cvt_u32_f32_e32 v4, v4
	v_cvt_u32_f32_e32 v3, v3
	flat_store_b64 v[1:2], v[3:4]
.LBB47_5489:
	s_or_b32 exec_lo, exec_lo, s30
	s_delay_alu instid0(SALU_CYCLE_1)
	s_and_not1_b32 vcc_lo, s31, exec_lo
	s_and_b32 s30, s35, exec_lo
	s_and_not1_b32 s0, s0, exec_lo
	s_and_b32 s34, s34, exec_lo
	s_or_b32 s31, vcc_lo, s30
	s_or_b32 s0, s0, s34
.LBB47_5490:
	s_or_b32 exec_lo, exec_lo, vcc_hi
	s_delay_alu instid0(SALU_CYCLE_1)
	s_and_not1_b32 vcc_lo, s24, exec_lo
	s_and_b32 vcc_hi, s31, exec_lo
	s_and_b32 s0, s0, exec_lo
	s_or_b32 vcc_hi, vcc_lo, vcc_hi
                                        ; implicit-def: $vgpr1_vgpr2
                                        ; implicit-def: $vgpr3
                                        ; implicit-def: $vgpr25
.LBB47_5491:
	s_and_not1_saveexec_b32 s28, s28
	s_cbranch_execz .LBB47_5507
; %bb.5492:
	s_mov_b32 s30, exec_lo
	v_cmpx_lt_i16_e32 26, v3
	s_xor_b32 s30, exec_lo, s30
	s_cbranch_execz .LBB47_5498
; %bb.5493:
	v_cmp_lt_i16_e32 vcc_lo, 27, v3
	v_cvt_u32_f32_e32 v3, v25
	s_and_saveexec_b32 s31, vcc_lo
	s_delay_alu instid0(SALU_CYCLE_1)
	s_xor_b32 vcc_lo, exec_lo, s31
	s_cbranch_execz .LBB47_5495
; %bb.5494:
	flat_store_b32 v[1:2], v3
                                        ; implicit-def: $vgpr1_vgpr2
                                        ; implicit-def: $vgpr3
.LBB47_5495:
	s_and_not1_saveexec_b32 vcc_lo, vcc_lo
	s_cbranch_execz .LBB47_5497
; %bb.5496:
	flat_store_b16 v[1:2], v3
.LBB47_5497:
	s_or_b32 exec_lo, exec_lo, vcc_lo
                                        ; implicit-def: $vgpr1_vgpr2
                                        ; implicit-def: $vgpr25
.LBB47_5498:
	s_and_not1_saveexec_b32 s30, s30
	s_cbranch_execz .LBB47_5506
; %bb.5499:
	v_and_b32_e32 v3, 0x7fffffff, v25
	v_mov_b32_e32 v4, 0x80
	s_mov_b32 s31, exec_lo
	s_delay_alu instid0(VALU_DEP_2)
	v_cmpx_gt_u32_e32 0x43800000, v3
	s_cbranch_execz .LBB47_5505
; %bb.5500:
	v_cmp_lt_u32_e32 vcc_lo, 0x3bffffff, v3
	s_mov_b32 s34, 0
                                        ; implicit-def: $vgpr3
	s_and_saveexec_b32 s35, vcc_lo
	s_delay_alu instid0(SALU_CYCLE_1)
	s_xor_b32 vcc_lo, exec_lo, s35
	s_cbranch_execnz .LBB47_6226
; %bb.5501:
	s_or_saveexec_b32 s35, vcc_lo
                                        ; implicit-def: $vcc_lo
	s_delay_alu instid0(SALU_CYCLE_1)
	s_xor_b32 exec_lo, exec_lo, s35
	s_cbranch_execnz .LBB47_6227
.LBB47_5502:
	s_or_b32 exec_lo, exec_lo, s35
	v_mov_b32_e32 v4, vcc_lo
	s_and_saveexec_b32 vcc_lo, s34
.LBB47_5503:
	v_lshrrev_b32_e32 v4, 24, v25
	s_delay_alu instid0(VALU_DEP_1)
	v_and_or_b32 v4, 0x80, v4, v3
.LBB47_5504:
	s_or_b32 exec_lo, exec_lo, vcc_lo
.LBB47_5505:
	s_delay_alu instid0(SALU_CYCLE_1)
	s_or_b32 exec_lo, exec_lo, s31
	flat_store_b8 v[1:2], v4
.LBB47_5506:
	s_or_b32 exec_lo, exec_lo, s30
	s_delay_alu instid0(SALU_CYCLE_1)
	s_or_b32 s0, s0, exec_lo
.LBB47_5507:
	s_or_b32 exec_lo, exec_lo, s28
	s_delay_alu instid0(SALU_CYCLE_1)
	s_and_not1_b32 s28, s24, exec_lo
	s_and_b32 vcc_lo, vcc_hi, exec_lo
	s_and_b32 s0, s0, exec_lo
	s_or_b32 s28, s28, vcc_lo
                                        ; implicit-def: $vgpr3
                                        ; implicit-def: $vgpr25
                                        ; implicit-def: $vgpr1_vgpr2
.LBB47_5508:
	s_and_not1_saveexec_b32 s29, s29
	s_cbranch_execz .LBB47_5552
; %bb.5509:
	s_mov_b32 s30, s0
	s_mov_b32 vcc_hi, exec_lo
	v_cmpx_lt_i16_e32 22, v3
	s_xor_b32 vcc_hi, exec_lo, vcc_hi
	s_cbranch_execz .LBB47_5541
; %bb.5510:
	s_mov_b32 s30, exec_lo
	v_cmpx_lt_i16_e32 23, v3
	s_xor_b32 s30, exec_lo, s30
	s_cbranch_execz .LBB47_5530
; %bb.5511:
	s_mov_b32 s31, exec_lo
	v_cmpx_lt_i16_e32 24, v3
	s_xor_b32 s31, exec_lo, s31
	s_cbranch_execz .LBB47_5519
; %bb.5512:
	v_and_b32_e32 v3, 0x7fffffff, v25
	v_mov_b32_e32 v4, 0x80
	s_mov_b32 s34, exec_lo
	s_delay_alu instid0(VALU_DEP_2)
	v_cmpx_gt_u32_e32 0x47800000, v3
	s_cbranch_execz .LBB47_5518
; %bb.5513:
	v_cmp_lt_u32_e32 vcc_lo, 0x37ffffff, v3
	s_mov_b32 s35, 0
                                        ; implicit-def: $vgpr3
	s_and_saveexec_b32 s36, vcc_lo
	s_delay_alu instid0(SALU_CYCLE_1)
	s_xor_b32 vcc_lo, exec_lo, s36
	s_cbranch_execnz .LBB47_6350
; %bb.5514:
	s_or_saveexec_b32 s36, vcc_lo
                                        ; implicit-def: $vcc_lo
	s_delay_alu instid0(SALU_CYCLE_1)
	s_xor_b32 exec_lo, exec_lo, s36
	s_cbranch_execnz .LBB47_6351
.LBB47_5515:
	s_or_b32 exec_lo, exec_lo, s36
	v_mov_b32_e32 v4, vcc_lo
	s_and_saveexec_b32 vcc_lo, s35
.LBB47_5516:
	v_lshrrev_b32_e32 v4, 24, v25
	s_delay_alu instid0(VALU_DEP_1)
	v_and_or_b32 v4, 0x80, v4, v3
.LBB47_5517:
	s_or_b32 exec_lo, exec_lo, vcc_lo
.LBB47_5518:
	s_delay_alu instid0(SALU_CYCLE_1)
	s_or_b32 exec_lo, exec_lo, s34
	flat_store_b8 v[1:2], v4
                                        ; implicit-def: $vgpr25
                                        ; implicit-def: $vgpr1_vgpr2
.LBB47_5519:
	s_and_not1_saveexec_b32 s31, s31
	s_cbranch_execz .LBB47_5529
; %bb.5520:
	v_and_b32_e32 v4, 0x7fffffff, v25
	s_mov_b32 s34, exec_lo
                                        ; implicit-def: $vgpr3
	s_delay_alu instid0(VALU_DEP_1)
	v_cmpx_gt_u32_e32 0x43f00000, v4
	s_xor_b32 s34, exec_lo, s34
	s_cbranch_execz .LBB47_5526
; %bb.5521:
	s_mov_b32 s35, exec_lo
                                        ; implicit-def: $vgpr3
	v_cmpx_lt_u32_e32 0x3c7fffff, v4
	s_xor_b32 s35, exec_lo, s35
; %bb.5522:
	v_bfe_u32 v3, v25, 20, 1
	s_delay_alu instid0(VALU_DEP_1) | instskip(NEXT) | instid1(VALU_DEP_1)
	v_add3_u32 v3, v25, v3, 0x407ffff
	v_and_b32_e32 v4, 0xff00000, v3
	v_lshrrev_b32_e32 v3, 20, v3
	s_delay_alu instid0(VALU_DEP_2) | instskip(NEXT) | instid1(VALU_DEP_2)
	v_cmp_ne_u32_e32 vcc_lo, 0x7f00000, v4
	v_cndmask_b32_e32 v3, 0x7e, v3, vcc_lo
; %bb.5523:
	s_and_not1_saveexec_b32 vcc_lo, s35
; %bb.5524:
	v_add_f32_e64 v3, 0x46800000, |v25|
; %bb.5525:
	s_or_b32 exec_lo, exec_lo, vcc_lo
                                        ; implicit-def: $vgpr4
.LBB47_5526:
	s_and_not1_saveexec_b32 s34, s34
; %bb.5527:
	v_mov_b32_e32 v3, 0x7f
	v_cmp_lt_u32_e32 vcc_lo, 0x7f800000, v4
	s_delay_alu instid0(VALU_DEP_2)
	v_cndmask_b32_e32 v3, 0x7e, v3, vcc_lo
; %bb.5528:
	s_or_b32 exec_lo, exec_lo, s34
	v_lshrrev_b32_e32 v4, 24, v25
	s_delay_alu instid0(VALU_DEP_1)
	v_and_or_b32 v3, 0x80, v4, v3
	flat_store_b8 v[1:2], v3
.LBB47_5529:
	s_or_b32 exec_lo, exec_lo, s31
                                        ; implicit-def: $vgpr25
                                        ; implicit-def: $vgpr1_vgpr2
.LBB47_5530:
	s_and_not1_saveexec_b32 s30, s30
	s_cbranch_execz .LBB47_5540
; %bb.5531:
	v_and_b32_e32 v4, 0x7fffffff, v25
	s_mov_b32 s31, exec_lo
                                        ; implicit-def: $vgpr3
	s_delay_alu instid0(VALU_DEP_1)
	v_cmpx_gt_u32_e32 0x47800000, v4
	s_xor_b32 s31, exec_lo, s31
	s_cbranch_execz .LBB47_5537
; %bb.5532:
	v_cmp_lt_u32_e32 vcc_lo, 0x387fffff, v4
                                        ; implicit-def: $vgpr3
	s_and_saveexec_b32 s34, vcc_lo
	s_delay_alu instid0(SALU_CYCLE_1)
	s_xor_b32 vcc_lo, exec_lo, s34
; %bb.5533:
	v_bfe_u32 v3, v25, 21, 1
	s_delay_alu instid0(VALU_DEP_1) | instskip(NEXT) | instid1(VALU_DEP_1)
	v_add3_u32 v3, v25, v3, 0x80fffff
	v_lshrrev_b32_e32 v3, 21, v3
; %bb.5534:
	s_and_not1_saveexec_b32 vcc_lo, vcc_lo
; %bb.5535:
	v_add_f32_e64 v3, 0x43000000, |v25|
; %bb.5536:
	s_or_b32 exec_lo, exec_lo, vcc_lo
                                        ; implicit-def: $vgpr4
.LBB47_5537:
	s_and_not1_saveexec_b32 s31, s31
; %bb.5538:
	v_mov_b32_e32 v3, 0x7f
	v_cmp_lt_u32_e32 vcc_lo, 0x7f800000, v4
	s_delay_alu instid0(VALU_DEP_2)
	v_cndmask_b32_e32 v3, 0x7c, v3, vcc_lo
; %bb.5539:
	s_or_b32 exec_lo, exec_lo, s31
	v_lshrrev_b32_e32 v4, 24, v25
	s_delay_alu instid0(VALU_DEP_1)
	v_and_or_b32 v3, 0x80, v4, v3
	flat_store_b8 v[1:2], v3
.LBB47_5540:
	s_or_b32 exec_lo, exec_lo, s30
	s_delay_alu instid0(SALU_CYCLE_1)
	s_or_b32 s30, s0, exec_lo
                                        ; implicit-def: $vgpr3
                                        ; implicit-def: $vgpr25
                                        ; implicit-def: $vgpr1_vgpr2
.LBB47_5541:
	s_or_saveexec_b32 vcc_hi, vcc_hi
	s_mov_b32 vcc_lo, s28
	s_xor_b32 exec_lo, exec_lo, vcc_hi
	s_cbranch_execz .LBB47_5551
; %bb.5542:
	s_mov_b32 s31, s30
	s_mov_b32 s34, s28
	s_mov_b32 s35, exec_lo
	v_cmpx_lt_i16_e32 14, v3
	s_xor_b32 s35, exec_lo, s35
	s_cbranch_execz .LBB47_5546
; %bb.5543:
	s_mov_b32 s36, -1
	s_mov_b32 s31, s30
	s_mov_b32 s34, exec_lo
	v_cmpx_eq_u16_e32 15, v3
	s_cbranch_execz .LBB47_5545
; %bb.5544:
	v_bfe_u32 v3, v25, 16, 1
	v_cmp_o_f32_e32 vcc_lo, v25, v25
	s_xor_b32 s36, exec_lo, -1
	s_or_b32 s31, s30, exec_lo
	s_delay_alu instid0(VALU_DEP_2) | instskip(NEXT) | instid1(VALU_DEP_1)
	v_add3_u32 v3, v25, v3, 0x7fff
	v_lshrrev_b32_e32 v3, 16, v3
	s_delay_alu instid0(VALU_DEP_1)
	v_cndmask_b32_e32 v3, 0x7fc0, v3, vcc_lo
	flat_store_b16 v[1:2], v3
.LBB47_5545:
	s_or_b32 exec_lo, exec_lo, s34
	s_delay_alu instid0(SALU_CYCLE_1)
	s_and_not1_b32 vcc_lo, s28, exec_lo
	s_and_b32 s34, s36, exec_lo
	s_and_not1_b32 s36, s30, exec_lo
	s_and_b32 s31, s31, exec_lo
	s_or_b32 s34, vcc_lo, s34
	s_or_b32 s31, s36, s31
                                        ; implicit-def: $vgpr3
                                        ; implicit-def: $vgpr25
                                        ; implicit-def: $vgpr1_vgpr2
.LBB47_5546:
	s_and_not1_saveexec_b32 s35, s35
	s_cbranch_execz .LBB47_5550
; %bb.5547:
	s_mov_b32 s37, -1
	s_mov_b32 s36, s31
	s_mov_b32 s38, exec_lo
	v_cmpx_eq_u16_e32 11, v3
	s_cbranch_execz .LBB47_5549
; %bb.5548:
	v_cmp_neq_f32_e32 vcc_lo, 0, v25
	s_xor_b32 s37, exec_lo, -1
	s_or_b32 s36, s31, exec_lo
	v_cndmask_b32_e64 v3, 0, 1, vcc_lo
	flat_store_b8 v[1:2], v3
.LBB47_5549:
	s_or_b32 exec_lo, exec_lo, s38
	s_delay_alu instid0(SALU_CYCLE_1)
	s_and_not1_b32 vcc_lo, s34, exec_lo
	s_and_b32 s34, s37, exec_lo
	s_and_not1_b32 s31, s31, exec_lo
	s_and_b32 s36, s36, exec_lo
	s_or_b32 s34, vcc_lo, s34
	s_or_b32 s31, s31, s36
.LBB47_5550:
	s_or_b32 exec_lo, exec_lo, s35
	s_delay_alu instid0(SALU_CYCLE_1)
	s_and_not1_b32 vcc_lo, s28, exec_lo
	s_and_b32 s34, s34, exec_lo
	s_and_not1_b32 s30, s30, exec_lo
	s_and_b32 s31, s31, exec_lo
	s_or_b32 vcc_lo, vcc_lo, s34
	s_or_b32 s30, s30, s31
.LBB47_5551:
	s_or_b32 exec_lo, exec_lo, vcc_hi
	s_delay_alu instid0(SALU_CYCLE_1)
	s_and_not1_b32 s28, s28, exec_lo
	s_and_b32 vcc_lo, vcc_lo, exec_lo
	s_and_not1_b32 s0, s0, exec_lo
	s_and_b32 vcc_hi, s30, exec_lo
	s_or_b32 s28, s28, vcc_lo
	s_or_b32 s0, s0, vcc_hi
.LBB47_5552:
	s_or_b32 exec_lo, exec_lo, s29
	s_delay_alu instid0(SALU_CYCLE_1)
	s_and_not1_b32 s29, s24, exec_lo
	s_and_b32 s28, s28, exec_lo
	s_and_b32 s0, s0, exec_lo
	s_or_b32 s28, s29, s28
                                        ; implicit-def: $vgpr3
                                        ; implicit-def: $vgpr25
                                        ; implicit-def: $vgpr1_vgpr2
	s_and_not1_saveexec_b32 s26, s26
	s_cbranch_execz .LBB47_3916
.LBB47_5553:
	s_mov_b32 s29, exec_lo
	v_cmpx_lt_i16_e32 4, v3
	s_xor_b32 s29, exec_lo, s29
	s_cbranch_execz .LBB47_5575
; %bb.5554:
	s_mov_b32 vcc_hi, exec_lo
	v_cmpx_lt_i16_e32 7, v3
	s_xor_b32 vcc_hi, exec_lo, vcc_hi
	s_cbranch_execz .LBB47_5564
; %bb.5555:
	s_mov_b32 s30, exec_lo
	v_cmpx_lt_i16_e32 8, v3
	s_xor_b32 s30, exec_lo, s30
	s_cbranch_execz .LBB47_5561
; %bb.5556:
	v_cmp_lt_i16_e32 vcc_lo, 9, v3
	s_and_saveexec_b32 s31, vcc_lo
	s_delay_alu instid0(SALU_CYCLE_1)
	s_xor_b32 vcc_lo, exec_lo, s31
	s_cbranch_execz .LBB47_5558
; %bb.5557:
	v_cvt_f64_f32_e32 v[25:26], v25
	v_mov_b32_e32 v27, 0
	s_delay_alu instid0(VALU_DEP_1)
	v_mov_b32_e32 v28, v27
	flat_store_b128 v[1:2], v[25:28]
                                        ; implicit-def: $vgpr25
                                        ; implicit-def: $vgpr1_vgpr2
.LBB47_5558:
	s_and_not1_saveexec_b32 vcc_lo, vcc_lo
	s_cbranch_execz .LBB47_5560
; %bb.5559:
	v_mov_b32_e32 v26, 0
	flat_store_b64 v[1:2], v[25:26]
.LBB47_5560:
	s_or_b32 exec_lo, exec_lo, vcc_lo
                                        ; implicit-def: $vgpr25
                                        ; implicit-def: $vgpr1_vgpr2
.LBB47_5561:
	s_and_not1_saveexec_b32 vcc_lo, s30
	s_cbranch_execz .LBB47_5563
; %bb.5562:
	v_cvt_f16_f32_e32 v3, v25
	s_delay_alu instid0(VALU_DEP_1)
	v_and_b32_e32 v3, 0xffff, v3
	flat_store_b32 v[1:2], v3
.LBB47_5563:
	s_or_b32 exec_lo, exec_lo, vcc_lo
                                        ; implicit-def: $vgpr25
                                        ; implicit-def: $vgpr1_vgpr2
                                        ; implicit-def: $vgpr3
.LBB47_5564:
	s_and_not1_saveexec_b32 vcc_hi, vcc_hi
	s_cbranch_execz .LBB47_5574
; %bb.5565:
	s_mov_b32 s30, exec_lo
	v_cmpx_lt_i16_e32 5, v3
	s_xor_b32 s30, exec_lo, s30
	s_cbranch_execz .LBB47_5571
; %bb.5566:
	v_cmp_lt_i16_e32 vcc_lo, 6, v3
	s_and_saveexec_b32 s31, vcc_lo
	s_delay_alu instid0(SALU_CYCLE_1)
	s_xor_b32 vcc_lo, exec_lo, s31
	s_cbranch_execz .LBB47_5568
; %bb.5567:
	v_cvt_f64_f32_e32 v[3:4], v25
                                        ; implicit-def: $vgpr25
	flat_store_b64 v[1:2], v[3:4]
                                        ; implicit-def: $vgpr1_vgpr2
.LBB47_5568:
	s_and_not1_saveexec_b32 vcc_lo, vcc_lo
	s_cbranch_execz .LBB47_5570
; %bb.5569:
	flat_store_b32 v[1:2], v25
.LBB47_5570:
	s_or_b32 exec_lo, exec_lo, vcc_lo
                                        ; implicit-def: $vgpr25
                                        ; implicit-def: $vgpr1_vgpr2
.LBB47_5571:
	s_and_not1_saveexec_b32 vcc_lo, s30
	s_cbranch_execz .LBB47_5573
; %bb.5572:
	v_cvt_f16_f32_e32 v3, v25
	flat_store_b16 v[1:2], v3
.LBB47_5573:
	s_or_b32 exec_lo, exec_lo, vcc_lo
.LBB47_5574:
	s_delay_alu instid0(SALU_CYCLE_1)
	s_or_b32 exec_lo, exec_lo, vcc_hi
                                        ; implicit-def: $vgpr3
                                        ; implicit-def: $vgpr25
                                        ; implicit-def: $vgpr1_vgpr2
.LBB47_5575:
	s_and_not1_saveexec_b32 s29, s29
	s_cbranch_execz .LBB47_5593
; %bb.5576:
	s_mov_b32 vcc_hi, exec_lo
	v_cmpx_lt_i16_e32 1, v3
	s_xor_b32 vcc_hi, exec_lo, vcc_hi
	s_cbranch_execz .LBB47_5586
; %bb.5577:
	s_mov_b32 s30, exec_lo
	v_cmpx_lt_i16_e32 2, v3
	s_xor_b32 s30, exec_lo, s30
	s_cbranch_execz .LBB47_5583
; %bb.5578:
	s_mov_b32 s31, exec_lo
	v_cmpx_lt_i16_e32 3, v3
	s_xor_b32 s31, exec_lo, s31
	s_cbranch_execz .LBB47_5580
; %bb.5579:
	v_trunc_f32_e32 v3, v25
                                        ; implicit-def: $vgpr25
	s_delay_alu instid0(VALU_DEP_1) | instskip(SKIP_1) | instid1(VALU_DEP_2)
	v_mul_f32_e64 v4, 0x2f800000, |v3|
	v_ashrrev_i32_e32 v10, 31, v3
	v_floor_f32_e32 v4, v4
	s_delay_alu instid0(VALU_DEP_1) | instskip(SKIP_1) | instid1(VALU_DEP_2)
	v_fma_f32 v5, 0xcf800000, v4, |v3|
	v_cvt_u32_f32_e32 v4, v4
	v_cvt_u32_f32_e32 v3, v5
	s_delay_alu instid0(VALU_DEP_2) | instskip(NEXT) | instid1(VALU_DEP_2)
	v_xor_b32_e32 v4, v4, v10
	v_xor_b32_e32 v3, v3, v10
	s_delay_alu instid0(VALU_DEP_1) | instskip(NEXT) | instid1(VALU_DEP_3)
	v_sub_co_u32 v3, vcc_lo, v3, v10
	v_sub_co_ci_u32_e32 v4, vcc_lo, v4, v10, vcc_lo
	flat_store_b64 v[1:2], v[3:4]
                                        ; implicit-def: $vgpr1_vgpr2
.LBB47_5580:
	s_and_not1_saveexec_b32 vcc_lo, s31
	s_cbranch_execz .LBB47_5582
; %bb.5581:
	v_cvt_i32_f32_e32 v3, v25
	flat_store_b32 v[1:2], v3
.LBB47_5582:
	s_or_b32 exec_lo, exec_lo, vcc_lo
                                        ; implicit-def: $vgpr25
                                        ; implicit-def: $vgpr1_vgpr2
.LBB47_5583:
	s_and_not1_saveexec_b32 vcc_lo, s30
	s_cbranch_execz .LBB47_5585
; %bb.5584:
	v_cvt_i32_f32_e32 v3, v25
	flat_store_b16 v[1:2], v3
.LBB47_5585:
	s_or_b32 exec_lo, exec_lo, vcc_lo
                                        ; implicit-def: $vgpr25
                                        ; implicit-def: $vgpr1_vgpr2
                                        ; implicit-def: $vgpr3
.LBB47_5586:
	s_and_not1_saveexec_b32 vcc_hi, vcc_hi
	s_cbranch_execz .LBB47_5592
; %bb.5587:
	v_cmp_lt_i16_e32 vcc_lo, 0, v3
	s_and_saveexec_b32 s30, vcc_lo
	s_delay_alu instid0(SALU_CYCLE_1)
	s_xor_b32 vcc_lo, exec_lo, s30
	s_cbranch_execz .LBB47_5589
; %bb.5588:
	v_cvt_i32_f32_e32 v3, v25
                                        ; implicit-def: $vgpr25
	flat_store_b8 v[1:2], v3
                                        ; implicit-def: $vgpr1_vgpr2
.LBB47_5589:
	s_and_not1_saveexec_b32 vcc_lo, vcc_lo
	s_cbranch_execz .LBB47_5591
; %bb.5590:
	v_trunc_f32_e32 v3, v25
	s_delay_alu instid0(VALU_DEP_1) | instskip(NEXT) | instid1(VALU_DEP_1)
	v_mul_f32_e64 v4, 0x2f800000, |v3|
	v_floor_f32_e32 v4, v4
	s_delay_alu instid0(VALU_DEP_1) | instskip(SKIP_1) | instid1(VALU_DEP_2)
	v_fma_f32 v4, 0xcf800000, v4, |v3|
	v_ashrrev_i32_e32 v3, 31, v3
	v_cvt_u32_f32_e32 v4, v4
	s_delay_alu instid0(VALU_DEP_1) | instskip(NEXT) | instid1(VALU_DEP_1)
	v_xor_b32_e32 v4, v4, v3
	v_sub_nc_u32_e32 v3, v4, v3
	flat_store_b8 v[1:2], v3
.LBB47_5591:
	s_or_b32 exec_lo, exec_lo, vcc_lo
.LBB47_5592:
	s_delay_alu instid0(SALU_CYCLE_1)
	s_or_b32 exec_lo, exec_lo, vcc_hi
.LBB47_5593:
	s_delay_alu instid0(SALU_CYCLE_1) | instskip(NEXT) | instid1(SALU_CYCLE_1)
	s_or_b32 exec_lo, exec_lo, s29
	s_or_b32 s0, s0, exec_lo
	s_or_b32 exec_lo, exec_lo, s26
	s_mov_b32 s29, 0
	s_and_saveexec_b32 s26, s0
	s_cbranch_execnz .LBB47_3917
	s_branch .LBB47_3918
.LBB47_5594:
	v_bfe_u32 v3, v31, 21, 1
	s_mov_b32 s22, exec_lo
	s_delay_alu instid0(VALU_DEP_1) | instskip(NEXT) | instid1(VALU_DEP_1)
	v_add3_u32 v3, v31, v3, 0x88fffff
	v_lshrrev_b32_e32 v3, 21, v3
	s_or_saveexec_b32 s23, s23
                                        ; implicit-def: $sgpr24
	s_delay_alu instid0(SALU_CYCLE_1)
	s_xor_b32 exec_lo, exec_lo, s23
	s_cbranch_execz .LBB47_4763
.LBB47_5595:
	v_add_f32_e64 v3, 0x42800000, |v31|
	s_and_not1_b32 s22, s22, exec_lo
	s_mov_b32 s24, 0
	s_delay_alu instid0(VALU_DEP_1) | instskip(NEXT) | instid1(VALU_DEP_1)
	v_and_b32_e32 v3, 0xff, v3
	v_cmp_ne_u32_e32 vcc_lo, 0, v3
	s_and_b32 s25, vcc_lo, exec_lo
	s_delay_alu instid0(SALU_CYCLE_1)
	s_or_b32 s22, s22, s25
	s_or_b32 exec_lo, exec_lo, s23
	v_mov_b32_e32 v4, s24
	s_and_saveexec_b32 s23, s22
	s_cbranch_execnz .LBB47_4764
	s_branch .LBB47_4765
.LBB47_5596:
	v_bfe_u32 v3, v30, 20, 1
	s_mov_b32 s23, exec_lo
	s_delay_alu instid0(VALU_DEP_1) | instskip(NEXT) | instid1(VALU_DEP_1)
	v_add3_u32 v3, v30, v3, 0x487ffff
	v_lshrrev_b32_e32 v3, 20, v3
	s_or_saveexec_b32 s24, s24
                                        ; implicit-def: $sgpr25
	s_delay_alu instid0(SALU_CYCLE_1)
	s_xor_b32 exec_lo, exec_lo, s24
	s_cbranch_execz .LBB47_4874
.LBB47_5597:
	v_add_f32_e64 v3, 0x46000000, |v30|
	s_and_not1_b32 s23, s23, exec_lo
	s_mov_b32 s25, 0
	s_delay_alu instid0(VALU_DEP_1) | instskip(NEXT) | instid1(VALU_DEP_1)
	v_and_b32_e32 v3, 0xff, v3
	v_cmp_ne_u32_e32 vcc_lo, 0, v3
	s_and_b32 s26, vcc_lo, exec_lo
	s_delay_alu instid0(SALU_CYCLE_1)
	s_or_b32 s23, s23, s26
	s_or_b32 exec_lo, exec_lo, s24
	v_mov_b32_e32 v4, s25
	s_and_saveexec_b32 s24, s23
	s_cbranch_execnz .LBB47_4875
	s_branch .LBB47_4876
.LBB47_5598:
	s_mov_b32 vcc_hi, s26
	s_mov_b32 s30, exec_lo
	v_cmpx_lt_i16_e32 25, v3
	s_xor_b32 s30, exec_lo, s30
	s_cbranch_execz .LBB47_5634
; %bb.5599:
	s_mov_b32 s31, s26
	s_mov_b32 vcc_hi, exec_lo
	v_cmpx_lt_i16_e32 28, v3
	s_xor_b32 vcc_hi, exec_lo, vcc_hi
	s_cbranch_execz .LBB47_5617
; %bb.5600:
	s_mov_b32 s35, s26
	s_mov_b32 s31, exec_lo
	v_cmpx_lt_i16_e32 43, v3
	s_xor_b32 s31, exec_lo, s31
	s_cbranch_execz .LBB47_5612
; %bb.5601:
	s_mov_b32 s34, 0
	s_mov_b32 s35, s26
	s_mov_b32 s0, exec_lo
	v_cmpx_lt_i16_e32 45, v3
	s_xor_b32 s0, exec_lo, s0
	s_cbranch_execz .LBB47_5605
; %bb.5602:
	s_mov_b32 s36, -1
	s_mov_b32 s35, exec_lo
	v_cmpx_eq_u16_e32 46, v3
	s_cbranch_execz .LBB47_5604
; %bb.5603:
	v_bfe_u32 v3, v24, 16, 1
	v_cmp_o_f32_e32 vcc_lo, v24, v24
	s_mov_b32 s34, exec_lo
	s_xor_b32 s36, exec_lo, -1
	s_delay_alu instid0(VALU_DEP_2) | instskip(NEXT) | instid1(VALU_DEP_1)
	v_add3_u32 v3, v24, v3, 0x7fff
	v_lshrrev_b32_e32 v3, 16, v3
	s_delay_alu instid0(VALU_DEP_1)
	v_cndmask_b32_e32 v3, 0x7fc0, v3, vcc_lo
	flat_store_b32 v[1:2], v3
.LBB47_5604:
	s_or_b32 exec_lo, exec_lo, s35
	s_delay_alu instid0(SALU_CYCLE_1)
	s_and_not1_b32 vcc_lo, s26, exec_lo
	s_and_b32 s35, s36, exec_lo
	s_and_b32 s34, s34, exec_lo
	s_or_b32 s35, vcc_lo, s35
                                        ; implicit-def: $vgpr3
                                        ; implicit-def: $vgpr1_vgpr2
                                        ; implicit-def: $vgpr24
.LBB47_5605:
	s_and_not1_saveexec_b32 s36, s0
	s_cbranch_execz .LBB47_5611
; %bb.5606:
	s_mov_b32 s38, -1
	s_mov_b32 s0, s34
	s_mov_b32 s37, exec_lo
	v_cmpx_eq_u16_e32 44, v3
	s_cbranch_execz .LBB47_5610
; %bb.5607:
	v_bfe_u32 v4, v24, 23, 8
	v_mov_b32_e32 v3, 0xff
	s_mov_b32 s38, exec_lo
	s_delay_alu instid0(VALU_DEP_2)
	v_cmpx_ne_u32_e32 0xff, v4
; %bb.5608:
	v_and_b32_e32 v3, 0x400000, v24
	v_and_or_b32 v4, 0x3fffff, v24, v4
	s_delay_alu instid0(VALU_DEP_2) | instskip(NEXT) | instid1(VALU_DEP_2)
	v_cmp_ne_u32_e32 vcc_lo, 0, v3
	v_cmp_ne_u32_e64 s0, 0, v4
	v_lshrrev_b32_e32 v3, 23, v24
	s_delay_alu instid0(VALU_DEP_2) | instskip(NEXT) | instid1(SALU_CYCLE_1)
	s_and_b32 s0, vcc_lo, s0
	v_cndmask_b32_e64 v4, 0, 1, s0
	s_delay_alu instid0(VALU_DEP_1)
	v_add_nc_u32_e32 v3, v3, v4
; %bb.5609:
	s_or_b32 exec_lo, exec_lo, s38
	s_delay_alu instid0(SALU_CYCLE_1)
	s_xor_b32 s38, exec_lo, -1
	s_or_b32 s0, s34, exec_lo
	flat_store_b8 v[1:2], v3
.LBB47_5610:
	s_or_b32 exec_lo, exec_lo, s37
	s_delay_alu instid0(SALU_CYCLE_1)
	s_and_not1_b32 vcc_lo, s35, exec_lo
	s_and_b32 s35, s38, exec_lo
	s_and_not1_b32 s34, s34, exec_lo
	s_and_b32 s0, s0, exec_lo
	s_or_b32 s35, vcc_lo, s35
	s_or_b32 s34, s34, s0
.LBB47_5611:
	s_or_b32 exec_lo, exec_lo, s36
	s_delay_alu instid0(SALU_CYCLE_1) | instskip(SKIP_1) | instid1(SALU_CYCLE_1)
	s_and_not1_b32 s0, s26, exec_lo
	s_and_b32 vcc_lo, s35, exec_lo
                                        ; implicit-def: $vgpr3
                                        ; implicit-def: $vgpr24
                                        ; implicit-def: $vgpr1_vgpr2
	s_or_b32 s35, s0, vcc_lo
	s_and_b32 s0, s34, exec_lo
.LBB47_5612:
	s_and_not1_saveexec_b32 s31, s31
	s_cbranch_execz .LBB47_5616
; %bb.5613:
	s_mov_b32 s37, -1
	s_mov_b32 s36, s0
	s_mov_b32 s34, exec_lo
	v_cmpx_eq_u16_e32 29, v3
	s_cbranch_execz .LBB47_5615
; %bb.5614:
	v_trunc_f32_e32 v3, v24
	s_xor_b32 s37, exec_lo, -1
	s_or_b32 s36, s0, exec_lo
	s_delay_alu instid0(VALU_DEP_1) | instskip(NEXT) | instid1(VALU_DEP_1)
	v_mul_f32_e32 v4, 0x2f800000, v3
	v_floor_f32_e32 v4, v4
	s_delay_alu instid0(VALU_DEP_1) | instskip(SKIP_1) | instid1(VALU_DEP_2)
	v_fmamk_f32 v3, v4, 0xcf800000, v3
	v_cvt_u32_f32_e32 v4, v4
	v_cvt_u32_f32_e32 v3, v3
	flat_store_b64 v[1:2], v[3:4]
.LBB47_5615:
	s_or_b32 exec_lo, exec_lo, s34
	s_delay_alu instid0(SALU_CYCLE_1)
	s_and_not1_b32 vcc_lo, s35, exec_lo
	s_and_b32 s34, s37, exec_lo
	s_and_not1_b32 s0, s0, exec_lo
	s_and_b32 s36, s36, exec_lo
	s_or_b32 s35, vcc_lo, s34
	s_or_b32 s0, s0, s36
.LBB47_5616:
	s_or_b32 exec_lo, exec_lo, s31
	s_delay_alu instid0(SALU_CYCLE_1)
	s_and_not1_b32 vcc_lo, s26, exec_lo
	s_and_b32 s31, s35, exec_lo
	s_and_b32 s0, s0, exec_lo
	s_or_b32 s31, vcc_lo, s31
                                        ; implicit-def: $vgpr1_vgpr2
                                        ; implicit-def: $vgpr3
                                        ; implicit-def: $vgpr24
.LBB47_5617:
	s_and_not1_saveexec_b32 vcc_hi, vcc_hi
	s_cbranch_execz .LBB47_5633
; %bb.5618:
	s_mov_b32 s34, exec_lo
	v_cmpx_lt_i16_e32 26, v3
	s_xor_b32 s34, exec_lo, s34
	s_cbranch_execz .LBB47_5624
; %bb.5619:
	v_cmp_lt_i16_e32 vcc_lo, 27, v3
	v_cvt_u32_f32_e32 v3, v24
	s_and_saveexec_b32 s35, vcc_lo
	s_delay_alu instid0(SALU_CYCLE_1)
	s_xor_b32 vcc_lo, exec_lo, s35
	s_cbranch_execz .LBB47_5621
; %bb.5620:
	flat_store_b32 v[1:2], v3
                                        ; implicit-def: $vgpr1_vgpr2
                                        ; implicit-def: $vgpr3
.LBB47_5621:
	s_and_not1_saveexec_b32 vcc_lo, vcc_lo
	s_cbranch_execz .LBB47_5623
; %bb.5622:
	flat_store_b16 v[1:2], v3
.LBB47_5623:
	s_or_b32 exec_lo, exec_lo, vcc_lo
                                        ; implicit-def: $vgpr1_vgpr2
                                        ; implicit-def: $vgpr24
.LBB47_5624:
	s_and_not1_saveexec_b32 s34, s34
	s_cbranch_execz .LBB47_5632
; %bb.5625:
	v_and_b32_e32 v3, 0x7fffffff, v24
	v_mov_b32_e32 v4, 0x80
	s_mov_b32 s35, exec_lo
	s_delay_alu instid0(VALU_DEP_2)
	v_cmpx_gt_u32_e32 0x43800000, v3
	s_cbranch_execz .LBB47_5631
; %bb.5626:
	v_cmp_lt_u32_e32 vcc_lo, 0x3bffffff, v3
	s_mov_b32 s36, 0
                                        ; implicit-def: $vgpr3
	s_and_saveexec_b32 s37, vcc_lo
	s_delay_alu instid0(SALU_CYCLE_1)
	s_xor_b32 vcc_lo, exec_lo, s37
	s_cbranch_execnz .LBB47_6352
; %bb.5627:
	s_or_saveexec_b32 s37, vcc_lo
                                        ; implicit-def: $vcc_lo
	s_delay_alu instid0(SALU_CYCLE_1)
	s_xor_b32 exec_lo, exec_lo, s37
	s_cbranch_execnz .LBB47_6353
.LBB47_5628:
	s_or_b32 exec_lo, exec_lo, s37
	v_mov_b32_e32 v4, vcc_lo
	s_and_saveexec_b32 vcc_lo, s36
.LBB47_5629:
	v_lshrrev_b32_e32 v4, 24, v24
	s_delay_alu instid0(VALU_DEP_1)
	v_and_or_b32 v4, 0x80, v4, v3
.LBB47_5630:
	s_or_b32 exec_lo, exec_lo, vcc_lo
.LBB47_5631:
	s_delay_alu instid0(SALU_CYCLE_1)
	s_or_b32 exec_lo, exec_lo, s35
	flat_store_b8 v[1:2], v4
.LBB47_5632:
	s_or_b32 exec_lo, exec_lo, s34
	s_delay_alu instid0(SALU_CYCLE_1)
	s_or_b32 s0, s0, exec_lo
.LBB47_5633:
	s_or_b32 exec_lo, exec_lo, vcc_hi
	s_delay_alu instid0(SALU_CYCLE_1)
	s_and_not1_b32 vcc_lo, s26, exec_lo
	s_and_b32 vcc_hi, s31, exec_lo
	s_and_b32 s0, s0, exec_lo
	s_or_b32 vcc_hi, vcc_lo, vcc_hi
                                        ; implicit-def: $vgpr3
                                        ; implicit-def: $vgpr24
                                        ; implicit-def: $vgpr1_vgpr2
.LBB47_5634:
	s_and_not1_saveexec_b32 s30, s30
	s_cbranch_execz .LBB47_5678
; %bb.5635:
	s_mov_b32 s34, s0
	s_mov_b32 s31, exec_lo
	v_cmpx_lt_i16_e32 22, v3
	s_xor_b32 s31, exec_lo, s31
	s_cbranch_execz .LBB47_5667
; %bb.5636:
	s_mov_b32 s34, exec_lo
	v_cmpx_lt_i16_e32 23, v3
	s_xor_b32 s34, exec_lo, s34
	s_cbranch_execz .LBB47_5656
; %bb.5637:
	;; [unrolled: 5-line block ×3, first 2 shown]
	v_and_b32_e32 v3, 0x7fffffff, v24
	v_mov_b32_e32 v4, 0x80
	s_mov_b32 s36, exec_lo
	s_delay_alu instid0(VALU_DEP_2)
	v_cmpx_gt_u32_e32 0x47800000, v3
	s_cbranch_execz .LBB47_5644
; %bb.5639:
	v_cmp_lt_u32_e32 vcc_lo, 0x37ffffff, v3
	s_mov_b32 s37, 0
                                        ; implicit-def: $vgpr3
	s_and_saveexec_b32 s38, vcc_lo
	s_delay_alu instid0(SALU_CYCLE_1)
	s_xor_b32 vcc_lo, exec_lo, s38
	s_cbranch_execnz .LBB47_6476
; %bb.5640:
	s_or_saveexec_b32 s38, vcc_lo
                                        ; implicit-def: $vcc_lo
	s_delay_alu instid0(SALU_CYCLE_1)
	s_xor_b32 exec_lo, exec_lo, s38
	s_cbranch_execnz .LBB47_6477
.LBB47_5641:
	s_or_b32 exec_lo, exec_lo, s38
	v_mov_b32_e32 v4, vcc_lo
	s_and_saveexec_b32 vcc_lo, s37
.LBB47_5642:
	v_lshrrev_b32_e32 v4, 24, v24
	s_delay_alu instid0(VALU_DEP_1)
	v_and_or_b32 v4, 0x80, v4, v3
.LBB47_5643:
	s_or_b32 exec_lo, exec_lo, vcc_lo
.LBB47_5644:
	s_delay_alu instid0(SALU_CYCLE_1)
	s_or_b32 exec_lo, exec_lo, s36
	flat_store_b8 v[1:2], v4
                                        ; implicit-def: $vgpr24
                                        ; implicit-def: $vgpr1_vgpr2
.LBB47_5645:
	s_and_not1_saveexec_b32 s35, s35
	s_cbranch_execz .LBB47_5655
; %bb.5646:
	v_and_b32_e32 v4, 0x7fffffff, v24
	s_mov_b32 s36, exec_lo
                                        ; implicit-def: $vgpr3
	s_delay_alu instid0(VALU_DEP_1)
	v_cmpx_gt_u32_e32 0x43f00000, v4
	s_xor_b32 s36, exec_lo, s36
	s_cbranch_execz .LBB47_5652
; %bb.5647:
	s_mov_b32 s37, exec_lo
                                        ; implicit-def: $vgpr3
	v_cmpx_lt_u32_e32 0x3c7fffff, v4
	s_xor_b32 s37, exec_lo, s37
; %bb.5648:
	v_bfe_u32 v3, v24, 20, 1
	s_delay_alu instid0(VALU_DEP_1) | instskip(NEXT) | instid1(VALU_DEP_1)
	v_add3_u32 v3, v24, v3, 0x407ffff
	v_and_b32_e32 v4, 0xff00000, v3
	v_lshrrev_b32_e32 v3, 20, v3
	s_delay_alu instid0(VALU_DEP_2) | instskip(NEXT) | instid1(VALU_DEP_2)
	v_cmp_ne_u32_e32 vcc_lo, 0x7f00000, v4
	v_cndmask_b32_e32 v3, 0x7e, v3, vcc_lo
; %bb.5649:
	s_and_not1_saveexec_b32 vcc_lo, s37
; %bb.5650:
	v_add_f32_e64 v3, 0x46800000, |v24|
; %bb.5651:
	s_or_b32 exec_lo, exec_lo, vcc_lo
                                        ; implicit-def: $vgpr4
.LBB47_5652:
	s_and_not1_saveexec_b32 s36, s36
; %bb.5653:
	v_mov_b32_e32 v3, 0x7f
	v_cmp_lt_u32_e32 vcc_lo, 0x7f800000, v4
	s_delay_alu instid0(VALU_DEP_2)
	v_cndmask_b32_e32 v3, 0x7e, v3, vcc_lo
; %bb.5654:
	s_or_b32 exec_lo, exec_lo, s36
	v_lshrrev_b32_e32 v4, 24, v24
	s_delay_alu instid0(VALU_DEP_1)
	v_and_or_b32 v3, 0x80, v4, v3
	flat_store_b8 v[1:2], v3
.LBB47_5655:
	s_or_b32 exec_lo, exec_lo, s35
                                        ; implicit-def: $vgpr24
                                        ; implicit-def: $vgpr1_vgpr2
.LBB47_5656:
	s_and_not1_saveexec_b32 s34, s34
	s_cbranch_execz .LBB47_5666
; %bb.5657:
	v_and_b32_e32 v4, 0x7fffffff, v24
	s_mov_b32 s35, exec_lo
                                        ; implicit-def: $vgpr3
	s_delay_alu instid0(VALU_DEP_1)
	v_cmpx_gt_u32_e32 0x47800000, v4
	s_xor_b32 s35, exec_lo, s35
	s_cbranch_execz .LBB47_5663
; %bb.5658:
	v_cmp_lt_u32_e32 vcc_lo, 0x387fffff, v4
                                        ; implicit-def: $vgpr3
	s_and_saveexec_b32 s36, vcc_lo
	s_delay_alu instid0(SALU_CYCLE_1)
	s_xor_b32 vcc_lo, exec_lo, s36
; %bb.5659:
	v_bfe_u32 v3, v24, 21, 1
	s_delay_alu instid0(VALU_DEP_1) | instskip(NEXT) | instid1(VALU_DEP_1)
	v_add3_u32 v3, v24, v3, 0x80fffff
	v_lshrrev_b32_e32 v3, 21, v3
; %bb.5660:
	s_and_not1_saveexec_b32 vcc_lo, vcc_lo
; %bb.5661:
	v_add_f32_e64 v3, 0x43000000, |v24|
; %bb.5662:
	s_or_b32 exec_lo, exec_lo, vcc_lo
                                        ; implicit-def: $vgpr4
.LBB47_5663:
	s_and_not1_saveexec_b32 s35, s35
; %bb.5664:
	v_mov_b32_e32 v3, 0x7f
	v_cmp_lt_u32_e32 vcc_lo, 0x7f800000, v4
	s_delay_alu instid0(VALU_DEP_2)
	v_cndmask_b32_e32 v3, 0x7c, v3, vcc_lo
; %bb.5665:
	s_or_b32 exec_lo, exec_lo, s35
	v_lshrrev_b32_e32 v4, 24, v24
	s_delay_alu instid0(VALU_DEP_1)
	v_and_or_b32 v3, 0x80, v4, v3
	flat_store_b8 v[1:2], v3
.LBB47_5666:
	s_or_b32 exec_lo, exec_lo, s34
	s_delay_alu instid0(SALU_CYCLE_1)
	s_or_b32 s34, s0, exec_lo
                                        ; implicit-def: $vgpr3
                                        ; implicit-def: $vgpr24
                                        ; implicit-def: $vgpr1_vgpr2
.LBB47_5667:
	s_or_saveexec_b32 s31, s31
	s_mov_b32 vcc_lo, vcc_hi
	s_xor_b32 exec_lo, exec_lo, s31
	s_cbranch_execz .LBB47_5677
; %bb.5668:
	s_mov_b32 s35, s34
	s_mov_b32 s36, vcc_hi
	s_mov_b32 s37, exec_lo
	v_cmpx_lt_i16_e32 14, v3
	s_xor_b32 s37, exec_lo, s37
	s_cbranch_execz .LBB47_5672
; %bb.5669:
	s_mov_b32 s38, -1
	s_mov_b32 s35, s34
	s_mov_b32 s36, exec_lo
	v_cmpx_eq_u16_e32 15, v3
	s_cbranch_execz .LBB47_5671
; %bb.5670:
	v_bfe_u32 v3, v24, 16, 1
	v_cmp_o_f32_e32 vcc_lo, v24, v24
	s_xor_b32 s38, exec_lo, -1
	s_or_b32 s35, s34, exec_lo
	s_delay_alu instid0(VALU_DEP_2) | instskip(NEXT) | instid1(VALU_DEP_1)
	v_add3_u32 v3, v24, v3, 0x7fff
	v_lshrrev_b32_e32 v3, 16, v3
	s_delay_alu instid0(VALU_DEP_1)
	v_cndmask_b32_e32 v3, 0x7fc0, v3, vcc_lo
	flat_store_b16 v[1:2], v3
.LBB47_5671:
	s_or_b32 exec_lo, exec_lo, s36
	s_delay_alu instid0(SALU_CYCLE_1)
	s_and_not1_b32 vcc_lo, vcc_hi, exec_lo
	s_and_b32 s36, s38, exec_lo
	s_and_not1_b32 s38, s34, exec_lo
	s_and_b32 s35, s35, exec_lo
	s_or_b32 s36, vcc_lo, s36
	s_or_b32 s35, s38, s35
                                        ; implicit-def: $vgpr3
                                        ; implicit-def: $vgpr24
                                        ; implicit-def: $vgpr1_vgpr2
.LBB47_5672:
	s_and_not1_saveexec_b32 s37, s37
	s_cbranch_execz .LBB47_5676
; %bb.5673:
	s_mov_b32 s39, -1
	s_mov_b32 s38, s35
	s_mov_b32 s40, exec_lo
	v_cmpx_eq_u16_e32 11, v3
	s_cbranch_execz .LBB47_5675
; %bb.5674:
	v_cmp_neq_f32_e32 vcc_lo, 0, v24
	s_xor_b32 s39, exec_lo, -1
	s_or_b32 s38, s35, exec_lo
	v_cndmask_b32_e64 v3, 0, 1, vcc_lo
	flat_store_b8 v[1:2], v3
.LBB47_5675:
	s_or_b32 exec_lo, exec_lo, s40
	s_delay_alu instid0(SALU_CYCLE_1)
	s_and_not1_b32 vcc_lo, s36, exec_lo
	s_and_b32 s36, s39, exec_lo
	s_and_not1_b32 s35, s35, exec_lo
	s_and_b32 s38, s38, exec_lo
	s_or_b32 s36, vcc_lo, s36
	s_or_b32 s35, s35, s38
.LBB47_5676:
	s_or_b32 exec_lo, exec_lo, s37
	s_delay_alu instid0(SALU_CYCLE_1)
	s_and_not1_b32 vcc_lo, vcc_hi, exec_lo
	s_and_b32 s36, s36, exec_lo
	s_and_not1_b32 s34, s34, exec_lo
	s_and_b32 s35, s35, exec_lo
	s_or_b32 vcc_lo, vcc_lo, s36
	s_or_b32 s34, s34, s35
.LBB47_5677:
	s_or_b32 exec_lo, exec_lo, s31
	s_delay_alu instid0(SALU_CYCLE_1)
	s_and_not1_b32 vcc_hi, vcc_hi, exec_lo
	s_and_b32 vcc_lo, vcc_lo, exec_lo
	s_and_not1_b32 s0, s0, exec_lo
	s_and_b32 s31, s34, exec_lo
	s_or_b32 vcc_hi, vcc_hi, vcc_lo
	s_or_b32 s0, s0, s31
.LBB47_5678:
	s_or_b32 exec_lo, exec_lo, s30
	s_delay_alu instid0(SALU_CYCLE_1)
	s_and_not1_b32 vcc_lo, s26, exec_lo
	s_and_b32 vcc_hi, vcc_hi, exec_lo
	s_and_b32 s0, s0, exec_lo
	s_or_b32 vcc_hi, vcc_lo, vcc_hi
                                        ; implicit-def: $vgpr3
                                        ; implicit-def: $vgpr24
                                        ; implicit-def: $vgpr1_vgpr2
	s_and_not1_saveexec_b32 s28, s28
	s_cbranch_execz .LBB47_3923
.LBB47_5679:
	s_mov_b32 s30, exec_lo
	v_cmpx_lt_i16_e32 4, v3
	s_xor_b32 s30, exec_lo, s30
	s_cbranch_execz .LBB47_5701
; %bb.5680:
	s_mov_b32 s31, exec_lo
	v_cmpx_lt_i16_e32 7, v3
	s_xor_b32 s31, exec_lo, s31
	s_cbranch_execz .LBB47_5690
; %bb.5681:
	;; [unrolled: 5-line block ×3, first 2 shown]
	v_cmp_lt_i16_e32 vcc_lo, 9, v3
	s_and_saveexec_b32 s35, vcc_lo
	s_delay_alu instid0(SALU_CYCLE_1)
	s_xor_b32 vcc_lo, exec_lo, s35
	s_cbranch_execz .LBB47_5684
; %bb.5683:
	v_cvt_f64_f32_e32 v[24:25], v24
	v_mov_b32_e32 v26, 0
	s_delay_alu instid0(VALU_DEP_1)
	v_mov_b32_e32 v27, v26
	flat_store_b128 v[1:2], v[24:27]
                                        ; implicit-def: $vgpr24
                                        ; implicit-def: $vgpr1_vgpr2
.LBB47_5684:
	s_and_not1_saveexec_b32 vcc_lo, vcc_lo
	s_cbranch_execz .LBB47_5686
; %bb.5685:
	v_mov_b32_e32 v25, 0
	flat_store_b64 v[1:2], v[24:25]
.LBB47_5686:
	s_or_b32 exec_lo, exec_lo, vcc_lo
                                        ; implicit-def: $vgpr24
                                        ; implicit-def: $vgpr1_vgpr2
.LBB47_5687:
	s_and_not1_saveexec_b32 vcc_lo, s34
	s_cbranch_execz .LBB47_5689
; %bb.5688:
	v_cvt_f16_f32_e32 v3, v24
	s_delay_alu instid0(VALU_DEP_1)
	v_and_b32_e32 v3, 0xffff, v3
	flat_store_b32 v[1:2], v3
.LBB47_5689:
	s_or_b32 exec_lo, exec_lo, vcc_lo
                                        ; implicit-def: $vgpr24
                                        ; implicit-def: $vgpr1_vgpr2
                                        ; implicit-def: $vgpr3
.LBB47_5690:
	s_and_not1_saveexec_b32 s31, s31
	s_cbranch_execz .LBB47_5700
; %bb.5691:
	s_mov_b32 s34, exec_lo
	v_cmpx_lt_i16_e32 5, v3
	s_xor_b32 s34, exec_lo, s34
	s_cbranch_execz .LBB47_5697
; %bb.5692:
	v_cmp_lt_i16_e32 vcc_lo, 6, v3
	s_and_saveexec_b32 s35, vcc_lo
	s_delay_alu instid0(SALU_CYCLE_1)
	s_xor_b32 vcc_lo, exec_lo, s35
	s_cbranch_execz .LBB47_5694
; %bb.5693:
	v_cvt_f64_f32_e32 v[3:4], v24
                                        ; implicit-def: $vgpr24
	flat_store_b64 v[1:2], v[3:4]
                                        ; implicit-def: $vgpr1_vgpr2
.LBB47_5694:
	s_and_not1_saveexec_b32 vcc_lo, vcc_lo
	s_cbranch_execz .LBB47_5696
; %bb.5695:
	flat_store_b32 v[1:2], v24
.LBB47_5696:
	s_or_b32 exec_lo, exec_lo, vcc_lo
                                        ; implicit-def: $vgpr24
                                        ; implicit-def: $vgpr1_vgpr2
.LBB47_5697:
	s_and_not1_saveexec_b32 vcc_lo, s34
	s_cbranch_execz .LBB47_5699
; %bb.5698:
	v_cvt_f16_f32_e32 v3, v24
	flat_store_b16 v[1:2], v3
.LBB47_5699:
	s_or_b32 exec_lo, exec_lo, vcc_lo
.LBB47_5700:
	s_delay_alu instid0(SALU_CYCLE_1)
	s_or_b32 exec_lo, exec_lo, s31
                                        ; implicit-def: $vgpr3
                                        ; implicit-def: $vgpr24
                                        ; implicit-def: $vgpr1_vgpr2
.LBB47_5701:
	s_and_not1_saveexec_b32 s30, s30
	s_cbranch_execz .LBB47_5719
; %bb.5702:
	s_mov_b32 s31, exec_lo
	v_cmpx_lt_i16_e32 1, v3
	s_xor_b32 s31, exec_lo, s31
	s_cbranch_execz .LBB47_5712
; %bb.5703:
	s_mov_b32 s34, exec_lo
	v_cmpx_lt_i16_e32 2, v3
	s_xor_b32 s34, exec_lo, s34
	;; [unrolled: 5-line block ×3, first 2 shown]
	s_cbranch_execz .LBB47_5706
; %bb.5705:
	v_trunc_f32_e32 v3, v24
                                        ; implicit-def: $vgpr24
	s_delay_alu instid0(VALU_DEP_1) | instskip(SKIP_1) | instid1(VALU_DEP_2)
	v_mul_f32_e64 v4, 0x2f800000, |v3|
	v_ashrrev_i32_e32 v10, 31, v3
	v_floor_f32_e32 v4, v4
	s_delay_alu instid0(VALU_DEP_1) | instskip(SKIP_1) | instid1(VALU_DEP_2)
	v_fma_f32 v5, 0xcf800000, v4, |v3|
	v_cvt_u32_f32_e32 v4, v4
	v_cvt_u32_f32_e32 v3, v5
	s_delay_alu instid0(VALU_DEP_2) | instskip(NEXT) | instid1(VALU_DEP_2)
	v_xor_b32_e32 v4, v4, v10
	v_xor_b32_e32 v3, v3, v10
	s_delay_alu instid0(VALU_DEP_1) | instskip(NEXT) | instid1(VALU_DEP_3)
	v_sub_co_u32 v3, vcc_lo, v3, v10
	v_sub_co_ci_u32_e32 v4, vcc_lo, v4, v10, vcc_lo
	flat_store_b64 v[1:2], v[3:4]
                                        ; implicit-def: $vgpr1_vgpr2
.LBB47_5706:
	s_and_not1_saveexec_b32 vcc_lo, s35
	s_cbranch_execz .LBB47_5708
; %bb.5707:
	v_cvt_i32_f32_e32 v3, v24
	flat_store_b32 v[1:2], v3
.LBB47_5708:
	s_or_b32 exec_lo, exec_lo, vcc_lo
                                        ; implicit-def: $vgpr24
                                        ; implicit-def: $vgpr1_vgpr2
.LBB47_5709:
	s_and_not1_saveexec_b32 vcc_lo, s34
	s_cbranch_execz .LBB47_5711
; %bb.5710:
	v_cvt_i32_f32_e32 v3, v24
	flat_store_b16 v[1:2], v3
.LBB47_5711:
	s_or_b32 exec_lo, exec_lo, vcc_lo
                                        ; implicit-def: $vgpr24
                                        ; implicit-def: $vgpr1_vgpr2
                                        ; implicit-def: $vgpr3
.LBB47_5712:
	s_and_not1_saveexec_b32 s31, s31
	s_cbranch_execz .LBB47_5718
; %bb.5713:
	v_cmp_lt_i16_e32 vcc_lo, 0, v3
	s_and_saveexec_b32 s34, vcc_lo
	s_delay_alu instid0(SALU_CYCLE_1)
	s_xor_b32 vcc_lo, exec_lo, s34
	s_cbranch_execz .LBB47_5715
; %bb.5714:
	v_cvt_i32_f32_e32 v3, v24
                                        ; implicit-def: $vgpr24
	flat_store_b8 v[1:2], v3
                                        ; implicit-def: $vgpr1_vgpr2
.LBB47_5715:
	s_and_not1_saveexec_b32 vcc_lo, vcc_lo
	s_cbranch_execz .LBB47_5717
; %bb.5716:
	v_trunc_f32_e32 v3, v24
	s_delay_alu instid0(VALU_DEP_1) | instskip(NEXT) | instid1(VALU_DEP_1)
	v_mul_f32_e64 v4, 0x2f800000, |v3|
	v_floor_f32_e32 v4, v4
	s_delay_alu instid0(VALU_DEP_1) | instskip(SKIP_1) | instid1(VALU_DEP_2)
	v_fma_f32 v4, 0xcf800000, v4, |v3|
	v_ashrrev_i32_e32 v3, 31, v3
	v_cvt_u32_f32_e32 v4, v4
	s_delay_alu instid0(VALU_DEP_1) | instskip(NEXT) | instid1(VALU_DEP_1)
	v_xor_b32_e32 v4, v4, v3
	v_sub_nc_u32_e32 v3, v4, v3
	flat_store_b8 v[1:2], v3
.LBB47_5717:
	s_or_b32 exec_lo, exec_lo, vcc_lo
.LBB47_5718:
	s_delay_alu instid0(SALU_CYCLE_1)
	s_or_b32 exec_lo, exec_lo, s31
.LBB47_5719:
	s_delay_alu instid0(SALU_CYCLE_1) | instskip(NEXT) | instid1(SALU_CYCLE_1)
	s_or_b32 exec_lo, exec_lo, s30
	s_or_b32 s0, s0, exec_lo
	s_or_b32 exec_lo, exec_lo, s28
	s_mov_b32 vcc_lo, 0
	s_and_saveexec_b32 s28, s0
	s_cbranch_execnz .LBB47_3924
	s_branch .LBB47_3925
.LBB47_5720:
	v_bfe_u32 v3, v30, 21, 1
	s_mov_b32 s24, exec_lo
	s_delay_alu instid0(VALU_DEP_1) | instskip(NEXT) | instid1(VALU_DEP_1)
	v_add3_u32 v3, v30, v3, 0x88fffff
	v_lshrrev_b32_e32 v3, 21, v3
	s_or_saveexec_b32 s25, s25
                                        ; implicit-def: $sgpr26
	s_delay_alu instid0(SALU_CYCLE_1)
	s_xor_b32 exec_lo, exec_lo, s25
	s_cbranch_execz .LBB47_4887
.LBB47_5721:
	v_add_f32_e64 v3, 0x42800000, |v30|
	s_and_not1_b32 s24, s24, exec_lo
	s_mov_b32 s26, 0
	s_delay_alu instid0(VALU_DEP_1) | instskip(NEXT) | instid1(VALU_DEP_1)
	v_and_b32_e32 v3, 0xff, v3
	v_cmp_ne_u32_e32 vcc_lo, 0, v3
	s_and_b32 s27, vcc_lo, exec_lo
	s_delay_alu instid0(SALU_CYCLE_1)
	s_or_b32 s24, s24, s27
	s_or_b32 exec_lo, exec_lo, s25
	v_mov_b32_e32 v4, s26
	s_and_saveexec_b32 s25, s24
	s_cbranch_execnz .LBB47_4888
	s_branch .LBB47_4889
.LBB47_5722:
	v_bfe_u32 v3, v29, 20, 1
	s_mov_b32 s25, exec_lo
	s_delay_alu instid0(VALU_DEP_1) | instskip(NEXT) | instid1(VALU_DEP_1)
	v_add3_u32 v3, v29, v3, 0x487ffff
	v_lshrrev_b32_e32 v3, 20, v3
	s_or_saveexec_b32 s26, s26
                                        ; implicit-def: $sgpr27
	s_delay_alu instid0(SALU_CYCLE_1)
	s_xor_b32 exec_lo, exec_lo, s26
	s_cbranch_execz .LBB47_4998
.LBB47_5723:
	v_add_f32_e64 v3, 0x46000000, |v29|
	s_and_not1_b32 s25, s25, exec_lo
	s_mov_b32 s27, 0
	s_delay_alu instid0(VALU_DEP_1) | instskip(NEXT) | instid1(VALU_DEP_1)
	v_and_b32_e32 v3, 0xff, v3
	v_cmp_ne_u32_e32 vcc_lo, 0, v3
	s_and_b32 s28, vcc_lo, exec_lo
	s_delay_alu instid0(SALU_CYCLE_1)
	s_or_b32 s25, s25, s28
	s_or_b32 exec_lo, exec_lo, s26
	v_mov_b32_e32 v4, s27
	s_and_saveexec_b32 s26, s25
	s_cbranch_execnz .LBB47_4999
	s_branch .LBB47_5000
.LBB47_5724:
	s_mov_b32 s31, s28
	s_mov_b32 s34, exec_lo
	v_cmpx_lt_i16_e32 25, v3
	s_xor_b32 s34, exec_lo, s34
	s_cbranch_execz .LBB47_5760
; %bb.5725:
	s_mov_b32 s35, s28
	s_mov_b32 s31, exec_lo
	v_cmpx_lt_i16_e32 28, v3
	s_xor_b32 s31, exec_lo, s31
	s_cbranch_execz .LBB47_5743
; %bb.5726:
	;; [unrolled: 6-line block ×3, first 2 shown]
	s_mov_b32 s36, 0
	s_mov_b32 s37, s28
	s_mov_b32 s0, exec_lo
	v_cmpx_lt_i16_e32 45, v3
	s_xor_b32 s0, exec_lo, s0
	s_cbranch_execz .LBB47_5731
; %bb.5728:
	s_mov_b32 s38, -1
	s_mov_b32 s37, exec_lo
	v_cmpx_eq_u16_e32 46, v3
	s_cbranch_execz .LBB47_5730
; %bb.5729:
	v_bfe_u32 v3, v23, 16, 1
	v_cmp_o_f32_e32 vcc_lo, v23, v23
	s_mov_b32 s36, exec_lo
	s_xor_b32 s38, exec_lo, -1
	s_delay_alu instid0(VALU_DEP_2) | instskip(NEXT) | instid1(VALU_DEP_1)
	v_add3_u32 v3, v23, v3, 0x7fff
	v_lshrrev_b32_e32 v3, 16, v3
	s_delay_alu instid0(VALU_DEP_1)
	v_cndmask_b32_e32 v3, 0x7fc0, v3, vcc_lo
	flat_store_b32 v[1:2], v3
.LBB47_5730:
	s_or_b32 exec_lo, exec_lo, s37
	s_delay_alu instid0(SALU_CYCLE_1)
	s_and_not1_b32 vcc_lo, s28, exec_lo
	s_and_b32 s37, s38, exec_lo
	s_and_b32 s36, s36, exec_lo
	s_or_b32 s37, vcc_lo, s37
                                        ; implicit-def: $vgpr3
                                        ; implicit-def: $vgpr1_vgpr2
                                        ; implicit-def: $vgpr23
.LBB47_5731:
	s_and_not1_saveexec_b32 s38, s0
	s_cbranch_execz .LBB47_5737
; %bb.5732:
	s_mov_b32 s40, -1
	s_mov_b32 s0, s36
	s_mov_b32 s39, exec_lo
	v_cmpx_eq_u16_e32 44, v3
	s_cbranch_execz .LBB47_5736
; %bb.5733:
	v_bfe_u32 v4, v23, 23, 8
	v_mov_b32_e32 v3, 0xff
	s_mov_b32 s40, exec_lo
	s_delay_alu instid0(VALU_DEP_2)
	v_cmpx_ne_u32_e32 0xff, v4
; %bb.5734:
	v_and_b32_e32 v3, 0x400000, v23
	v_and_or_b32 v4, 0x3fffff, v23, v4
	s_delay_alu instid0(VALU_DEP_2) | instskip(NEXT) | instid1(VALU_DEP_2)
	v_cmp_ne_u32_e32 vcc_lo, 0, v3
	v_cmp_ne_u32_e64 s0, 0, v4
	v_lshrrev_b32_e32 v3, 23, v23
	s_delay_alu instid0(VALU_DEP_2) | instskip(NEXT) | instid1(SALU_CYCLE_1)
	s_and_b32 s0, vcc_lo, s0
	v_cndmask_b32_e64 v4, 0, 1, s0
	s_delay_alu instid0(VALU_DEP_1)
	v_add_nc_u32_e32 v3, v3, v4
; %bb.5735:
	s_or_b32 exec_lo, exec_lo, s40
	s_delay_alu instid0(SALU_CYCLE_1)
	s_xor_b32 s40, exec_lo, -1
	s_or_b32 s0, s36, exec_lo
	flat_store_b8 v[1:2], v3
.LBB47_5736:
	s_or_b32 exec_lo, exec_lo, s39
	s_delay_alu instid0(SALU_CYCLE_1)
	s_and_not1_b32 vcc_lo, s37, exec_lo
	s_and_b32 s37, s40, exec_lo
	s_and_not1_b32 s36, s36, exec_lo
	s_and_b32 s0, s0, exec_lo
	s_or_b32 s37, vcc_lo, s37
	s_or_b32 s36, s36, s0
.LBB47_5737:
	s_or_b32 exec_lo, exec_lo, s38
	s_delay_alu instid0(SALU_CYCLE_1) | instskip(SKIP_1) | instid1(SALU_CYCLE_1)
	s_and_not1_b32 s0, s28, exec_lo
	s_and_b32 vcc_lo, s37, exec_lo
                                        ; implicit-def: $vgpr3
                                        ; implicit-def: $vgpr23
                                        ; implicit-def: $vgpr1_vgpr2
	s_or_b32 s37, s0, vcc_lo
	s_and_b32 s0, s36, exec_lo
.LBB47_5738:
	s_and_not1_saveexec_b32 s35, s35
	s_cbranch_execz .LBB47_5742
; %bb.5739:
	s_mov_b32 s39, -1
	s_mov_b32 s38, s0
	s_mov_b32 s36, exec_lo
	v_cmpx_eq_u16_e32 29, v3
	s_cbranch_execz .LBB47_5741
; %bb.5740:
	v_trunc_f32_e32 v3, v23
	s_xor_b32 s39, exec_lo, -1
	s_or_b32 s38, s0, exec_lo
	s_delay_alu instid0(VALU_DEP_1) | instskip(NEXT) | instid1(VALU_DEP_1)
	v_mul_f32_e32 v4, 0x2f800000, v3
	v_floor_f32_e32 v4, v4
	s_delay_alu instid0(VALU_DEP_1) | instskip(SKIP_1) | instid1(VALU_DEP_2)
	v_fmamk_f32 v3, v4, 0xcf800000, v3
	v_cvt_u32_f32_e32 v4, v4
	v_cvt_u32_f32_e32 v3, v3
	flat_store_b64 v[1:2], v[3:4]
.LBB47_5741:
	s_or_b32 exec_lo, exec_lo, s36
	s_delay_alu instid0(SALU_CYCLE_1)
	s_and_not1_b32 vcc_lo, s37, exec_lo
	s_and_b32 s36, s39, exec_lo
	s_and_not1_b32 s0, s0, exec_lo
	s_and_b32 s38, s38, exec_lo
	s_or_b32 s37, vcc_lo, s36
	s_or_b32 s0, s0, s38
.LBB47_5742:
	s_or_b32 exec_lo, exec_lo, s35
	s_delay_alu instid0(SALU_CYCLE_1)
	s_and_not1_b32 vcc_lo, s28, exec_lo
	s_and_b32 s35, s37, exec_lo
	s_and_b32 s0, s0, exec_lo
	s_or_b32 s35, vcc_lo, s35
                                        ; implicit-def: $vgpr1_vgpr2
                                        ; implicit-def: $vgpr3
                                        ; implicit-def: $vgpr23
.LBB47_5743:
	s_and_not1_saveexec_b32 s31, s31
	s_cbranch_execz .LBB47_5759
; %bb.5744:
	s_mov_b32 s36, exec_lo
	v_cmpx_lt_i16_e32 26, v3
	s_xor_b32 s36, exec_lo, s36
	s_cbranch_execz .LBB47_5750
; %bb.5745:
	v_cmp_lt_i16_e32 vcc_lo, 27, v3
	s_and_saveexec_b32 s37, vcc_lo
	s_delay_alu instid0(SALU_CYCLE_1)
	s_xor_b32 vcc_lo, exec_lo, s37
	s_cbranch_execz .LBB47_5747
; %bb.5746:
	v_cvt_u32_f32_e32 v3, v23
                                        ; implicit-def: $vgpr23
	flat_store_b32 v[1:2], v3
                                        ; implicit-def: $vgpr1_vgpr2
.LBB47_5747:
	s_and_not1_saveexec_b32 vcc_lo, vcc_lo
	s_cbranch_execz .LBB47_5749
; %bb.5748:
	v_cvt_u32_f32_e32 v3, v23
	flat_store_b16 v[1:2], v3
.LBB47_5749:
	s_or_b32 exec_lo, exec_lo, vcc_lo
                                        ; implicit-def: $vgpr1_vgpr2
                                        ; implicit-def: $vgpr23
.LBB47_5750:
	s_and_not1_saveexec_b32 s36, s36
	s_cbranch_execz .LBB47_5758
; %bb.5751:
	v_and_b32_e32 v3, 0x7fffffff, v23
	v_mov_b32_e32 v4, 0x80
	s_mov_b32 s37, exec_lo
	s_delay_alu instid0(VALU_DEP_2)
	v_cmpx_gt_u32_e32 0x43800000, v3
	s_cbranch_execz .LBB47_5757
; %bb.5752:
	v_cmp_lt_u32_e32 vcc_lo, 0x3bffffff, v3
	s_mov_b32 s38, 0
                                        ; implicit-def: $vgpr3
	s_and_saveexec_b32 s39, vcc_lo
	s_delay_alu instid0(SALU_CYCLE_1)
	s_xor_b32 vcc_lo, exec_lo, s39
	s_cbranch_execnz .LBB47_6478
; %bb.5753:
	s_or_saveexec_b32 s39, vcc_lo
                                        ; implicit-def: $vcc_lo
	s_delay_alu instid0(SALU_CYCLE_1)
	s_xor_b32 exec_lo, exec_lo, s39
	s_cbranch_execnz .LBB47_6479
.LBB47_5754:
	s_or_b32 exec_lo, exec_lo, s39
	v_mov_b32_e32 v4, vcc_lo
	s_and_saveexec_b32 vcc_lo, s38
.LBB47_5755:
	v_lshrrev_b32_e32 v4, 24, v23
	s_delay_alu instid0(VALU_DEP_1)
	v_and_or_b32 v4, 0x80, v4, v3
.LBB47_5756:
	s_or_b32 exec_lo, exec_lo, vcc_lo
.LBB47_5757:
	s_delay_alu instid0(SALU_CYCLE_1)
	s_or_b32 exec_lo, exec_lo, s37
	flat_store_b8 v[1:2], v4
.LBB47_5758:
	s_or_b32 exec_lo, exec_lo, s36
	s_delay_alu instid0(SALU_CYCLE_1)
	s_or_b32 s0, s0, exec_lo
.LBB47_5759:
	s_or_b32 exec_lo, exec_lo, s31
	s_delay_alu instid0(SALU_CYCLE_1)
	s_and_not1_b32 vcc_lo, s28, exec_lo
	s_and_b32 s31, s35, exec_lo
	s_and_b32 s0, s0, exec_lo
	s_or_b32 s31, vcc_lo, s31
                                        ; implicit-def: $vgpr3
                                        ; implicit-def: $vgpr23
                                        ; implicit-def: $vgpr1_vgpr2
.LBB47_5760:
	s_and_not1_saveexec_b32 s34, s34
	s_cbranch_execz .LBB47_5804
; %bb.5761:
	s_mov_b32 s36, s0
	s_mov_b32 s35, exec_lo
	v_cmpx_lt_i16_e32 22, v3
	s_xor_b32 s35, exec_lo, s35
	s_cbranch_execz .LBB47_5793
; %bb.5762:
	s_mov_b32 s36, exec_lo
	v_cmpx_lt_i16_e32 23, v3
	s_xor_b32 s36, exec_lo, s36
	s_cbranch_execz .LBB47_5782
; %bb.5763:
	;; [unrolled: 5-line block ×3, first 2 shown]
	v_and_b32_e32 v3, 0x7fffffff, v23
	v_mov_b32_e32 v4, 0x80
	s_mov_b32 s38, exec_lo
	s_delay_alu instid0(VALU_DEP_2)
	v_cmpx_gt_u32_e32 0x47800000, v3
	s_cbranch_execz .LBB47_5770
; %bb.5765:
	v_cmp_lt_u32_e32 vcc_lo, 0x37ffffff, v3
	s_mov_b32 s39, 0
                                        ; implicit-def: $vgpr3
	s_and_saveexec_b32 s40, vcc_lo
	s_delay_alu instid0(SALU_CYCLE_1)
	s_xor_b32 vcc_lo, exec_lo, s40
	s_cbranch_execnz .LBB47_6602
; %bb.5766:
	s_or_saveexec_b32 s40, vcc_lo
                                        ; implicit-def: $vcc_lo
	s_delay_alu instid0(SALU_CYCLE_1)
	s_xor_b32 exec_lo, exec_lo, s40
	s_cbranch_execnz .LBB47_6603
.LBB47_5767:
	s_or_b32 exec_lo, exec_lo, s40
	v_mov_b32_e32 v4, vcc_lo
	s_and_saveexec_b32 vcc_lo, s39
.LBB47_5768:
	v_lshrrev_b32_e32 v4, 24, v23
	s_delay_alu instid0(VALU_DEP_1)
	v_and_or_b32 v4, 0x80, v4, v3
.LBB47_5769:
	s_or_b32 exec_lo, exec_lo, vcc_lo
.LBB47_5770:
	s_delay_alu instid0(SALU_CYCLE_1)
	s_or_b32 exec_lo, exec_lo, s38
	flat_store_b8 v[1:2], v4
                                        ; implicit-def: $vgpr23
                                        ; implicit-def: $vgpr1_vgpr2
.LBB47_5771:
	s_and_not1_saveexec_b32 s37, s37
	s_cbranch_execz .LBB47_5781
; %bb.5772:
	v_and_b32_e32 v4, 0x7fffffff, v23
	s_mov_b32 s38, exec_lo
                                        ; implicit-def: $vgpr3
	s_delay_alu instid0(VALU_DEP_1)
	v_cmpx_gt_u32_e32 0x43f00000, v4
	s_xor_b32 s38, exec_lo, s38
	s_cbranch_execz .LBB47_5778
; %bb.5773:
	s_mov_b32 s39, exec_lo
                                        ; implicit-def: $vgpr3
	v_cmpx_lt_u32_e32 0x3c7fffff, v4
	s_xor_b32 s39, exec_lo, s39
; %bb.5774:
	v_bfe_u32 v3, v23, 20, 1
	s_delay_alu instid0(VALU_DEP_1) | instskip(NEXT) | instid1(VALU_DEP_1)
	v_add3_u32 v3, v23, v3, 0x407ffff
	v_and_b32_e32 v4, 0xff00000, v3
	v_lshrrev_b32_e32 v3, 20, v3
	s_delay_alu instid0(VALU_DEP_2) | instskip(NEXT) | instid1(VALU_DEP_2)
	v_cmp_ne_u32_e32 vcc_lo, 0x7f00000, v4
	v_cndmask_b32_e32 v3, 0x7e, v3, vcc_lo
; %bb.5775:
	s_and_not1_saveexec_b32 vcc_lo, s39
; %bb.5776:
	v_add_f32_e64 v3, 0x46800000, |v23|
; %bb.5777:
	s_or_b32 exec_lo, exec_lo, vcc_lo
                                        ; implicit-def: $vgpr4
.LBB47_5778:
	s_and_not1_saveexec_b32 s38, s38
; %bb.5779:
	v_mov_b32_e32 v3, 0x7f
	v_cmp_lt_u32_e32 vcc_lo, 0x7f800000, v4
	s_delay_alu instid0(VALU_DEP_2)
	v_cndmask_b32_e32 v3, 0x7e, v3, vcc_lo
; %bb.5780:
	s_or_b32 exec_lo, exec_lo, s38
	v_lshrrev_b32_e32 v4, 24, v23
	s_delay_alu instid0(VALU_DEP_1)
	v_and_or_b32 v3, 0x80, v4, v3
	flat_store_b8 v[1:2], v3
.LBB47_5781:
	s_or_b32 exec_lo, exec_lo, s37
                                        ; implicit-def: $vgpr23
                                        ; implicit-def: $vgpr1_vgpr2
.LBB47_5782:
	s_and_not1_saveexec_b32 s36, s36
	s_cbranch_execz .LBB47_5792
; %bb.5783:
	v_and_b32_e32 v4, 0x7fffffff, v23
	s_mov_b32 s37, exec_lo
                                        ; implicit-def: $vgpr3
	s_delay_alu instid0(VALU_DEP_1)
	v_cmpx_gt_u32_e32 0x47800000, v4
	s_xor_b32 s37, exec_lo, s37
	s_cbranch_execz .LBB47_5789
; %bb.5784:
	v_cmp_lt_u32_e32 vcc_lo, 0x387fffff, v4
                                        ; implicit-def: $vgpr3
	s_and_saveexec_b32 s38, vcc_lo
	s_delay_alu instid0(SALU_CYCLE_1)
	s_xor_b32 vcc_lo, exec_lo, s38
; %bb.5785:
	v_bfe_u32 v3, v23, 21, 1
	s_delay_alu instid0(VALU_DEP_1) | instskip(NEXT) | instid1(VALU_DEP_1)
	v_add3_u32 v3, v23, v3, 0x80fffff
	v_lshrrev_b32_e32 v3, 21, v3
; %bb.5786:
	s_and_not1_saveexec_b32 vcc_lo, vcc_lo
; %bb.5787:
	v_add_f32_e64 v3, 0x43000000, |v23|
; %bb.5788:
	s_or_b32 exec_lo, exec_lo, vcc_lo
                                        ; implicit-def: $vgpr4
.LBB47_5789:
	s_and_not1_saveexec_b32 s37, s37
; %bb.5790:
	v_mov_b32_e32 v3, 0x7f
	v_cmp_lt_u32_e32 vcc_lo, 0x7f800000, v4
	s_delay_alu instid0(VALU_DEP_2)
	v_cndmask_b32_e32 v3, 0x7c, v3, vcc_lo
; %bb.5791:
	s_or_b32 exec_lo, exec_lo, s37
	v_lshrrev_b32_e32 v4, 24, v23
	s_delay_alu instid0(VALU_DEP_1)
	v_and_or_b32 v3, 0x80, v4, v3
	flat_store_b8 v[1:2], v3
.LBB47_5792:
	s_or_b32 exec_lo, exec_lo, s36
	s_delay_alu instid0(SALU_CYCLE_1)
	s_or_b32 s36, s0, exec_lo
                                        ; implicit-def: $vgpr3
                                        ; implicit-def: $vgpr23
                                        ; implicit-def: $vgpr1_vgpr2
.LBB47_5793:
	s_or_saveexec_b32 s35, s35
	s_mov_b32 vcc_lo, s31
	s_xor_b32 exec_lo, exec_lo, s35
	s_cbranch_execz .LBB47_5803
; %bb.5794:
	s_mov_b32 s37, s36
	s_mov_b32 s38, s31
	s_mov_b32 s39, exec_lo
	v_cmpx_lt_i16_e32 14, v3
	s_xor_b32 s39, exec_lo, s39
	s_cbranch_execz .LBB47_5798
; %bb.5795:
	s_mov_b32 s40, -1
	s_mov_b32 s37, s36
	s_mov_b32 s38, exec_lo
	v_cmpx_eq_u16_e32 15, v3
	s_cbranch_execz .LBB47_5797
; %bb.5796:
	v_bfe_u32 v3, v23, 16, 1
	v_cmp_o_f32_e32 vcc_lo, v23, v23
	s_xor_b32 s40, exec_lo, -1
	s_or_b32 s37, s36, exec_lo
	s_delay_alu instid0(VALU_DEP_2) | instskip(NEXT) | instid1(VALU_DEP_1)
	v_add3_u32 v3, v23, v3, 0x7fff
	v_lshrrev_b32_e32 v3, 16, v3
	s_delay_alu instid0(VALU_DEP_1)
	v_cndmask_b32_e32 v3, 0x7fc0, v3, vcc_lo
	flat_store_b16 v[1:2], v3
.LBB47_5797:
	s_or_b32 exec_lo, exec_lo, s38
	s_delay_alu instid0(SALU_CYCLE_1)
	s_and_not1_b32 vcc_lo, s31, exec_lo
	s_and_b32 s38, s40, exec_lo
	s_and_not1_b32 s40, s36, exec_lo
	s_and_b32 s37, s37, exec_lo
	s_or_b32 s38, vcc_lo, s38
	s_or_b32 s37, s40, s37
                                        ; implicit-def: $vgpr3
                                        ; implicit-def: $vgpr23
                                        ; implicit-def: $vgpr1_vgpr2
.LBB47_5798:
	s_and_not1_saveexec_b32 s39, s39
	s_cbranch_execz .LBB47_5802
; %bb.5799:
	s_mov_b32 s41, -1
	s_mov_b32 s40, s37
	s_mov_b32 s42, exec_lo
	v_cmpx_eq_u16_e32 11, v3
	s_cbranch_execz .LBB47_5801
; %bb.5800:
	v_cmp_neq_f32_e32 vcc_lo, 0, v23
	s_xor_b32 s41, exec_lo, -1
	s_or_b32 s40, s37, exec_lo
	v_cndmask_b32_e64 v3, 0, 1, vcc_lo
	flat_store_b8 v[1:2], v3
.LBB47_5801:
	s_or_b32 exec_lo, exec_lo, s42
	s_delay_alu instid0(SALU_CYCLE_1)
	s_and_not1_b32 vcc_lo, s38, exec_lo
	s_and_b32 s38, s41, exec_lo
	s_and_not1_b32 s37, s37, exec_lo
	s_and_b32 s40, s40, exec_lo
	s_or_b32 s38, vcc_lo, s38
	s_or_b32 s37, s37, s40
.LBB47_5802:
	s_or_b32 exec_lo, exec_lo, s39
	s_delay_alu instid0(SALU_CYCLE_1)
	s_and_not1_b32 vcc_lo, s31, exec_lo
	s_and_b32 s38, s38, exec_lo
	s_and_not1_b32 s36, s36, exec_lo
	s_and_b32 s37, s37, exec_lo
	s_or_b32 vcc_lo, vcc_lo, s38
	s_or_b32 s36, s36, s37
.LBB47_5803:
	s_or_b32 exec_lo, exec_lo, s35
	s_delay_alu instid0(SALU_CYCLE_1)
	s_and_not1_b32 s31, s31, exec_lo
	s_and_b32 vcc_lo, vcc_lo, exec_lo
	s_and_not1_b32 s0, s0, exec_lo
	s_and_b32 s35, s36, exec_lo
	s_or_b32 s31, s31, vcc_lo
	s_or_b32 s0, s0, s35
.LBB47_5804:
	s_or_b32 exec_lo, exec_lo, s34
	s_delay_alu instid0(SALU_CYCLE_1)
	s_and_not1_b32 vcc_lo, s28, exec_lo
	s_and_b32 s31, s31, exec_lo
	s_and_b32 s0, s0, exec_lo
	s_or_b32 s31, vcc_lo, s31
                                        ; implicit-def: $vgpr3
                                        ; implicit-def: $vgpr23
                                        ; implicit-def: $vgpr1_vgpr2
	s_and_not1_saveexec_b32 vcc_hi, vcc_hi
	s_cbranch_execz .LBB47_3930
.LBB47_5805:
	s_mov_b32 s34, exec_lo
	v_cmpx_lt_i16_e32 4, v3
	s_xor_b32 s34, exec_lo, s34
	s_cbranch_execz .LBB47_5827
; %bb.5806:
	s_mov_b32 s35, exec_lo
	v_cmpx_lt_i16_e32 7, v3
	s_xor_b32 s35, exec_lo, s35
	s_cbranch_execz .LBB47_5816
; %bb.5807:
	s_mov_b32 s36, exec_lo
	v_cmpx_lt_i16_e32 8, v3
	s_xor_b32 s36, exec_lo, s36
	s_cbranch_execz .LBB47_5813
; %bb.5808:
	v_cmp_lt_i16_e32 vcc_lo, 9, v3
	s_and_saveexec_b32 s37, vcc_lo
	s_delay_alu instid0(SALU_CYCLE_1)
	s_xor_b32 vcc_lo, exec_lo, s37
	s_cbranch_execz .LBB47_5810
; %bb.5809:
	v_cvt_f64_f32_e32 v[23:24], v23
	v_mov_b32_e32 v25, 0
	s_delay_alu instid0(VALU_DEP_1)
	v_mov_b32_e32 v26, v25
	flat_store_b128 v[1:2], v[23:26]
                                        ; implicit-def: $vgpr23
                                        ; implicit-def: $vgpr1_vgpr2
.LBB47_5810:
	s_and_not1_saveexec_b32 vcc_lo, vcc_lo
	s_cbranch_execz .LBB47_5812
; %bb.5811:
	v_mov_b32_e32 v24, 0
	flat_store_b64 v[1:2], v[23:24]
.LBB47_5812:
	s_or_b32 exec_lo, exec_lo, vcc_lo
                                        ; implicit-def: $vgpr23
                                        ; implicit-def: $vgpr1_vgpr2
.LBB47_5813:
	s_and_not1_saveexec_b32 vcc_lo, s36
	s_cbranch_execz .LBB47_5815
; %bb.5814:
	v_cvt_f16_f32_e32 v3, v23
	s_delay_alu instid0(VALU_DEP_1)
	v_and_b32_e32 v3, 0xffff, v3
	flat_store_b32 v[1:2], v3
.LBB47_5815:
	s_or_b32 exec_lo, exec_lo, vcc_lo
                                        ; implicit-def: $vgpr23
                                        ; implicit-def: $vgpr1_vgpr2
                                        ; implicit-def: $vgpr3
.LBB47_5816:
	s_and_not1_saveexec_b32 s35, s35
	s_cbranch_execz .LBB47_5826
; %bb.5817:
	s_mov_b32 s36, exec_lo
	v_cmpx_lt_i16_e32 5, v3
	s_xor_b32 s36, exec_lo, s36
	s_cbranch_execz .LBB47_5823
; %bb.5818:
	v_cmp_lt_i16_e32 vcc_lo, 6, v3
	s_and_saveexec_b32 s37, vcc_lo
	s_delay_alu instid0(SALU_CYCLE_1)
	s_xor_b32 vcc_lo, exec_lo, s37
	s_cbranch_execz .LBB47_5820
; %bb.5819:
	v_cvt_f64_f32_e32 v[3:4], v23
                                        ; implicit-def: $vgpr23
	flat_store_b64 v[1:2], v[3:4]
                                        ; implicit-def: $vgpr1_vgpr2
.LBB47_5820:
	s_and_not1_saveexec_b32 vcc_lo, vcc_lo
	s_cbranch_execz .LBB47_5822
; %bb.5821:
	flat_store_b32 v[1:2], v23
.LBB47_5822:
	s_or_b32 exec_lo, exec_lo, vcc_lo
                                        ; implicit-def: $vgpr23
                                        ; implicit-def: $vgpr1_vgpr2
.LBB47_5823:
	s_and_not1_saveexec_b32 vcc_lo, s36
	s_cbranch_execz .LBB47_5825
; %bb.5824:
	v_cvt_f16_f32_e32 v3, v23
	flat_store_b16 v[1:2], v3
.LBB47_5825:
	s_or_b32 exec_lo, exec_lo, vcc_lo
.LBB47_5826:
	s_delay_alu instid0(SALU_CYCLE_1)
	s_or_b32 exec_lo, exec_lo, s35
                                        ; implicit-def: $vgpr3
                                        ; implicit-def: $vgpr23
                                        ; implicit-def: $vgpr1_vgpr2
.LBB47_5827:
	s_and_not1_saveexec_b32 s34, s34
	s_cbranch_execz .LBB47_5845
; %bb.5828:
	s_mov_b32 s35, exec_lo
	v_cmpx_lt_i16_e32 1, v3
	s_xor_b32 s35, exec_lo, s35
	s_cbranch_execz .LBB47_5838
; %bb.5829:
	s_mov_b32 s36, exec_lo
	v_cmpx_lt_i16_e32 2, v3
	s_xor_b32 s36, exec_lo, s36
	;; [unrolled: 5-line block ×3, first 2 shown]
	s_cbranch_execz .LBB47_5832
; %bb.5831:
	v_trunc_f32_e32 v3, v23
                                        ; implicit-def: $vgpr23
	s_delay_alu instid0(VALU_DEP_1) | instskip(SKIP_1) | instid1(VALU_DEP_2)
	v_mul_f32_e64 v4, 0x2f800000, |v3|
	v_ashrrev_i32_e32 v10, 31, v3
	v_floor_f32_e32 v4, v4
	s_delay_alu instid0(VALU_DEP_1) | instskip(SKIP_1) | instid1(VALU_DEP_2)
	v_fma_f32 v5, 0xcf800000, v4, |v3|
	v_cvt_u32_f32_e32 v4, v4
	v_cvt_u32_f32_e32 v3, v5
	s_delay_alu instid0(VALU_DEP_2) | instskip(NEXT) | instid1(VALU_DEP_2)
	v_xor_b32_e32 v4, v4, v10
	v_xor_b32_e32 v3, v3, v10
	s_delay_alu instid0(VALU_DEP_1) | instskip(NEXT) | instid1(VALU_DEP_3)
	v_sub_co_u32 v3, vcc_lo, v3, v10
	v_sub_co_ci_u32_e32 v4, vcc_lo, v4, v10, vcc_lo
	flat_store_b64 v[1:2], v[3:4]
                                        ; implicit-def: $vgpr1_vgpr2
.LBB47_5832:
	s_and_not1_saveexec_b32 vcc_lo, s37
	s_cbranch_execz .LBB47_5834
; %bb.5833:
	v_cvt_i32_f32_e32 v3, v23
	flat_store_b32 v[1:2], v3
.LBB47_5834:
	s_or_b32 exec_lo, exec_lo, vcc_lo
                                        ; implicit-def: $vgpr23
                                        ; implicit-def: $vgpr1_vgpr2
.LBB47_5835:
	s_and_not1_saveexec_b32 vcc_lo, s36
	s_cbranch_execz .LBB47_5837
; %bb.5836:
	v_cvt_i32_f32_e32 v3, v23
	flat_store_b16 v[1:2], v3
.LBB47_5837:
	s_or_b32 exec_lo, exec_lo, vcc_lo
                                        ; implicit-def: $vgpr23
                                        ; implicit-def: $vgpr1_vgpr2
                                        ; implicit-def: $vgpr3
.LBB47_5838:
	s_and_not1_saveexec_b32 s35, s35
	s_cbranch_execz .LBB47_5844
; %bb.5839:
	v_cmp_lt_i16_e32 vcc_lo, 0, v3
	s_and_saveexec_b32 s36, vcc_lo
	s_delay_alu instid0(SALU_CYCLE_1)
	s_xor_b32 vcc_lo, exec_lo, s36
	s_cbranch_execz .LBB47_5841
; %bb.5840:
	v_cvt_i32_f32_e32 v3, v23
                                        ; implicit-def: $vgpr23
	flat_store_b8 v[1:2], v3
                                        ; implicit-def: $vgpr1_vgpr2
.LBB47_5841:
	s_and_not1_saveexec_b32 vcc_lo, vcc_lo
	s_cbranch_execz .LBB47_5843
; %bb.5842:
	v_trunc_f32_e32 v3, v23
	s_delay_alu instid0(VALU_DEP_1) | instskip(NEXT) | instid1(VALU_DEP_1)
	v_mul_f32_e64 v4, 0x2f800000, |v3|
	v_floor_f32_e32 v4, v4
	s_delay_alu instid0(VALU_DEP_1) | instskip(SKIP_1) | instid1(VALU_DEP_2)
	v_fma_f32 v4, 0xcf800000, v4, |v3|
	v_ashrrev_i32_e32 v3, 31, v3
	v_cvt_u32_f32_e32 v4, v4
	s_delay_alu instid0(VALU_DEP_1) | instskip(NEXT) | instid1(VALU_DEP_1)
	v_xor_b32_e32 v4, v4, v3
	v_sub_nc_u32_e32 v3, v4, v3
	flat_store_b8 v[1:2], v3
.LBB47_5843:
	s_or_b32 exec_lo, exec_lo, vcc_lo
.LBB47_5844:
	s_delay_alu instid0(SALU_CYCLE_1)
	s_or_b32 exec_lo, exec_lo, s35
.LBB47_5845:
	s_delay_alu instid0(SALU_CYCLE_1) | instskip(NEXT) | instid1(SALU_CYCLE_1)
	s_or_b32 exec_lo, exec_lo, s34
	s_or_b32 s0, s0, exec_lo
	s_or_b32 exec_lo, exec_lo, vcc_hi
	s_mov_b32 vcc_lo, 0
	s_and_saveexec_b32 vcc_hi, s0
	s_cbranch_execnz .LBB47_3931
	s_branch .LBB47_3932
.LBB47_5846:
	v_bfe_u32 v3, v29, 21, 1
	s_mov_b32 s26, exec_lo
	s_delay_alu instid0(VALU_DEP_1) | instskip(NEXT) | instid1(VALU_DEP_1)
	v_add3_u32 v3, v29, v3, 0x88fffff
	v_lshrrev_b32_e32 v3, 21, v3
	s_or_saveexec_b32 s27, s27
                                        ; implicit-def: $sgpr28
	s_delay_alu instid0(SALU_CYCLE_1)
	s_xor_b32 exec_lo, exec_lo, s27
	s_cbranch_execz .LBB47_5011
.LBB47_5847:
	v_add_f32_e64 v3, 0x42800000, |v29|
	s_and_not1_b32 s26, s26, exec_lo
	s_mov_b32 s28, 0
	s_delay_alu instid0(VALU_DEP_1) | instskip(NEXT) | instid1(VALU_DEP_1)
	v_and_b32_e32 v3, 0xff, v3
	v_cmp_ne_u32_e32 vcc_lo, 0, v3
	s_and_b32 s29, vcc_lo, exec_lo
	s_delay_alu instid0(SALU_CYCLE_1)
	s_or_b32 s26, s26, s29
	s_or_b32 exec_lo, exec_lo, s27
	v_mov_b32_e32 v4, s28
	s_and_saveexec_b32 s27, s26
	s_cbranch_execnz .LBB47_5012
	s_branch .LBB47_5013
.LBB47_5848:
	v_bfe_u32 v3, v28, 20, 1
	s_mov_b32 s27, exec_lo
	s_delay_alu instid0(VALU_DEP_1) | instskip(NEXT) | instid1(VALU_DEP_1)
	v_add3_u32 v3, v28, v3, 0x487ffff
	v_lshrrev_b32_e32 v3, 20, v3
	s_or_saveexec_b32 s28, s28
                                        ; implicit-def: $sgpr29
	s_delay_alu instid0(SALU_CYCLE_1)
	s_xor_b32 exec_lo, exec_lo, s28
	s_cbranch_execz .LBB47_5124
.LBB47_5849:
	v_add_f32_e64 v3, 0x46000000, |v28|
	s_and_not1_b32 s27, s27, exec_lo
	s_mov_b32 s29, 0
	s_delay_alu instid0(VALU_DEP_1) | instskip(NEXT) | instid1(VALU_DEP_1)
	v_and_b32_e32 v3, 0xff, v3
	v_cmp_ne_u32_e32 vcc_lo, 0, v3
	s_and_b32 vcc_lo, vcc_lo, exec_lo
	s_delay_alu instid0(SALU_CYCLE_1)
	s_or_b32 s27, s27, vcc_lo
	s_or_b32 exec_lo, exec_lo, s28
	v_mov_b32_e32 v4, s29
	s_and_saveexec_b32 s28, s27
	s_cbranch_execnz .LBB47_5125
	s_branch .LBB47_5126
.LBB47_5850:
	s_mov_b32 s35, vcc_hi
	s_mov_b32 s36, exec_lo
	v_cmpx_lt_i16_e32 25, v3
	s_xor_b32 s36, exec_lo, s36
	s_cbranch_execz .LBB47_5886
; %bb.5851:
	s_mov_b32 s37, vcc_hi
	s_mov_b32 s35, exec_lo
	v_cmpx_lt_i16_e32 28, v3
	s_xor_b32 s35, exec_lo, s35
	s_cbranch_execz .LBB47_5869
; %bb.5852:
	s_mov_b32 s39, vcc_hi
	s_mov_b32 s37, exec_lo
	v_cmpx_lt_i16_e32 43, v3
	s_xor_b32 s37, exec_lo, s37
	s_cbranch_execz .LBB47_5864
; %bb.5853:
	s_mov_b32 s38, 0
	s_mov_b32 s39, vcc_hi
	s_mov_b32 s0, exec_lo
	v_cmpx_lt_i16_e32 45, v3
	s_xor_b32 s0, exec_lo, s0
	s_cbranch_execz .LBB47_5857
; %bb.5854:
	s_mov_b32 s40, -1
	s_mov_b32 s39, exec_lo
	v_cmpx_eq_u16_e32 46, v3
	s_cbranch_execz .LBB47_5856
; %bb.5855:
	v_bfe_u32 v3, v22, 16, 1
	v_cmp_o_f32_e32 vcc_lo, v22, v22
	s_mov_b32 s38, exec_lo
	s_xor_b32 s40, exec_lo, -1
	s_delay_alu instid0(VALU_DEP_2) | instskip(NEXT) | instid1(VALU_DEP_1)
	v_add3_u32 v3, v22, v3, 0x7fff
	v_lshrrev_b32_e32 v3, 16, v3
	s_delay_alu instid0(VALU_DEP_1)
	v_cndmask_b32_e32 v3, 0x7fc0, v3, vcc_lo
	flat_store_b32 v[1:2], v3
.LBB47_5856:
	s_or_b32 exec_lo, exec_lo, s39
	s_delay_alu instid0(SALU_CYCLE_1)
	s_and_not1_b32 vcc_lo, vcc_hi, exec_lo
	s_and_b32 s39, s40, exec_lo
	s_and_b32 s38, s38, exec_lo
	s_or_b32 s39, vcc_lo, s39
                                        ; implicit-def: $vgpr3
                                        ; implicit-def: $vgpr1_vgpr2
                                        ; implicit-def: $vgpr22
.LBB47_5857:
	s_and_not1_saveexec_b32 s40, s0
	s_cbranch_execz .LBB47_5863
; %bb.5858:
	s_mov_b32 s42, -1
	s_mov_b32 s0, s38
	s_mov_b32 s41, exec_lo
	v_cmpx_eq_u16_e32 44, v3
	s_cbranch_execz .LBB47_5862
; %bb.5859:
	v_bfe_u32 v4, v22, 23, 8
	v_mov_b32_e32 v3, 0xff
	s_mov_b32 s42, exec_lo
	s_delay_alu instid0(VALU_DEP_2)
	v_cmpx_ne_u32_e32 0xff, v4
; %bb.5860:
	v_and_b32_e32 v3, 0x400000, v22
	v_and_or_b32 v4, 0x3fffff, v22, v4
	s_delay_alu instid0(VALU_DEP_2) | instskip(NEXT) | instid1(VALU_DEP_2)
	v_cmp_ne_u32_e32 vcc_lo, 0, v3
	v_cmp_ne_u32_e64 s0, 0, v4
	v_lshrrev_b32_e32 v3, 23, v22
	s_delay_alu instid0(VALU_DEP_2) | instskip(NEXT) | instid1(SALU_CYCLE_1)
	s_and_b32 s0, vcc_lo, s0
	v_cndmask_b32_e64 v4, 0, 1, s0
	s_delay_alu instid0(VALU_DEP_1)
	v_add_nc_u32_e32 v3, v3, v4
; %bb.5861:
	s_or_b32 exec_lo, exec_lo, s42
	s_delay_alu instid0(SALU_CYCLE_1)
	s_xor_b32 s42, exec_lo, -1
	s_or_b32 s0, s38, exec_lo
	flat_store_b8 v[1:2], v3
.LBB47_5862:
	s_or_b32 exec_lo, exec_lo, s41
	s_delay_alu instid0(SALU_CYCLE_1)
	s_and_not1_b32 vcc_lo, s39, exec_lo
	s_and_b32 s39, s42, exec_lo
	s_and_not1_b32 s38, s38, exec_lo
	s_and_b32 s0, s0, exec_lo
	s_or_b32 s39, vcc_lo, s39
	s_or_b32 s38, s38, s0
.LBB47_5863:
	s_or_b32 exec_lo, exec_lo, s40
	s_delay_alu instid0(SALU_CYCLE_1) | instskip(SKIP_1) | instid1(SALU_CYCLE_1)
	s_and_not1_b32 s0, vcc_hi, exec_lo
	s_and_b32 vcc_lo, s39, exec_lo
                                        ; implicit-def: $vgpr3
                                        ; implicit-def: $vgpr22
                                        ; implicit-def: $vgpr1_vgpr2
	s_or_b32 s39, s0, vcc_lo
	s_and_b32 s0, s38, exec_lo
.LBB47_5864:
	s_and_not1_saveexec_b32 s37, s37
	s_cbranch_execz .LBB47_5868
; %bb.5865:
	s_mov_b32 s41, -1
	s_mov_b32 s40, s0
	s_mov_b32 s38, exec_lo
	v_cmpx_eq_u16_e32 29, v3
	s_cbranch_execz .LBB47_5867
; %bb.5866:
	v_trunc_f32_e32 v3, v22
	s_xor_b32 s41, exec_lo, -1
	s_or_b32 s40, s0, exec_lo
	s_delay_alu instid0(VALU_DEP_1) | instskip(NEXT) | instid1(VALU_DEP_1)
	v_mul_f32_e32 v4, 0x2f800000, v3
	v_floor_f32_e32 v4, v4
	s_delay_alu instid0(VALU_DEP_1) | instskip(SKIP_1) | instid1(VALU_DEP_2)
	v_fmamk_f32 v3, v4, 0xcf800000, v3
	v_cvt_u32_f32_e32 v4, v4
	v_cvt_u32_f32_e32 v3, v3
	flat_store_b64 v[1:2], v[3:4]
.LBB47_5867:
	s_or_b32 exec_lo, exec_lo, s38
	s_delay_alu instid0(SALU_CYCLE_1)
	s_and_not1_b32 vcc_lo, s39, exec_lo
	s_and_b32 s38, s41, exec_lo
	s_and_not1_b32 s0, s0, exec_lo
	s_and_b32 s40, s40, exec_lo
	s_or_b32 s39, vcc_lo, s38
	s_or_b32 s0, s0, s40
.LBB47_5868:
	s_or_b32 exec_lo, exec_lo, s37
	s_delay_alu instid0(SALU_CYCLE_1)
	s_and_not1_b32 vcc_lo, vcc_hi, exec_lo
	s_and_b32 s37, s39, exec_lo
	s_and_b32 s0, s0, exec_lo
	s_or_b32 s37, vcc_lo, s37
                                        ; implicit-def: $vgpr1_vgpr2
                                        ; implicit-def: $vgpr3
                                        ; implicit-def: $vgpr22
.LBB47_5869:
	s_and_not1_saveexec_b32 s35, s35
	s_cbranch_execz .LBB47_5885
; %bb.5870:
	s_mov_b32 s38, exec_lo
	v_cmpx_lt_i16_e32 26, v3
	s_xor_b32 s38, exec_lo, s38
	s_cbranch_execz .LBB47_5876
; %bb.5871:
	v_cmp_lt_i16_e32 vcc_lo, 27, v3
	s_and_saveexec_b32 s39, vcc_lo
	s_delay_alu instid0(SALU_CYCLE_1)
	s_xor_b32 vcc_lo, exec_lo, s39
	s_cbranch_execz .LBB47_5873
; %bb.5872:
	v_cvt_u32_f32_e32 v3, v22
                                        ; implicit-def: $vgpr22
	flat_store_b32 v[1:2], v3
                                        ; implicit-def: $vgpr1_vgpr2
.LBB47_5873:
	s_and_not1_saveexec_b32 vcc_lo, vcc_lo
	s_cbranch_execz .LBB47_5875
; %bb.5874:
	v_cvt_u32_f32_e32 v3, v22
	flat_store_b16 v[1:2], v3
.LBB47_5875:
	s_or_b32 exec_lo, exec_lo, vcc_lo
                                        ; implicit-def: $vgpr1_vgpr2
                                        ; implicit-def: $vgpr22
.LBB47_5876:
	s_and_not1_saveexec_b32 s38, s38
	s_cbranch_execz .LBB47_5884
; %bb.5877:
	v_and_b32_e32 v3, 0x7fffffff, v22
	v_mov_b32_e32 v4, 0x80
	s_mov_b32 s39, exec_lo
	s_delay_alu instid0(VALU_DEP_2)
	v_cmpx_gt_u32_e32 0x43800000, v3
	s_cbranch_execz .LBB47_5883
; %bb.5878:
	v_cmp_lt_u32_e32 vcc_lo, 0x3bffffff, v3
	s_mov_b32 s40, 0
                                        ; implicit-def: $vgpr3
	s_and_saveexec_b32 s41, vcc_lo
	s_delay_alu instid0(SALU_CYCLE_1)
	s_xor_b32 vcc_lo, exec_lo, s41
	s_cbranch_execnz .LBB47_6604
; %bb.5879:
	s_or_saveexec_b32 s41, vcc_lo
                                        ; implicit-def: $vcc_lo
	s_delay_alu instid0(SALU_CYCLE_1)
	s_xor_b32 exec_lo, exec_lo, s41
	s_cbranch_execnz .LBB47_6605
.LBB47_5880:
	s_or_b32 exec_lo, exec_lo, s41
	v_mov_b32_e32 v4, vcc_lo
	s_and_saveexec_b32 vcc_lo, s40
.LBB47_5881:
	v_lshrrev_b32_e32 v4, 24, v22
	s_delay_alu instid0(VALU_DEP_1)
	v_and_or_b32 v4, 0x80, v4, v3
.LBB47_5882:
	s_or_b32 exec_lo, exec_lo, vcc_lo
.LBB47_5883:
	s_delay_alu instid0(SALU_CYCLE_1)
	s_or_b32 exec_lo, exec_lo, s39
	flat_store_b8 v[1:2], v4
.LBB47_5884:
	s_or_b32 exec_lo, exec_lo, s38
	s_delay_alu instid0(SALU_CYCLE_1)
	s_or_b32 s0, s0, exec_lo
.LBB47_5885:
	s_or_b32 exec_lo, exec_lo, s35
	s_delay_alu instid0(SALU_CYCLE_1)
	s_and_not1_b32 vcc_lo, vcc_hi, exec_lo
	s_and_b32 s35, s37, exec_lo
	s_and_b32 s0, s0, exec_lo
	s_or_b32 s35, vcc_lo, s35
                                        ; implicit-def: $vgpr3
                                        ; implicit-def: $vgpr22
                                        ; implicit-def: $vgpr1_vgpr2
.LBB47_5886:
	s_and_not1_saveexec_b32 s36, s36
	s_cbranch_execz .LBB47_5930
; %bb.5887:
	s_mov_b32 s38, s0
	s_mov_b32 s37, exec_lo
	v_cmpx_lt_i16_e32 22, v3
	s_xor_b32 s37, exec_lo, s37
	s_cbranch_execz .LBB47_5919
; %bb.5888:
	s_mov_b32 s38, exec_lo
	v_cmpx_lt_i16_e32 23, v3
	s_xor_b32 s38, exec_lo, s38
	s_cbranch_execz .LBB47_5908
; %bb.5889:
	;; [unrolled: 5-line block ×3, first 2 shown]
	v_and_b32_e32 v3, 0x7fffffff, v22
	v_mov_b32_e32 v4, 0x80
	s_mov_b32 s40, exec_lo
	s_delay_alu instid0(VALU_DEP_2)
	v_cmpx_gt_u32_e32 0x47800000, v3
	s_cbranch_execz .LBB47_5896
; %bb.5891:
	v_cmp_lt_u32_e32 vcc_lo, 0x37ffffff, v3
	s_mov_b32 s41, 0
                                        ; implicit-def: $vgpr3
	s_and_saveexec_b32 s42, vcc_lo
	s_delay_alu instid0(SALU_CYCLE_1)
	s_xor_b32 vcc_lo, exec_lo, s42
	s_cbranch_execnz .LBB47_6728
; %bb.5892:
	s_or_saveexec_b32 s42, vcc_lo
                                        ; implicit-def: $vcc_lo
	s_delay_alu instid0(SALU_CYCLE_1)
	s_xor_b32 exec_lo, exec_lo, s42
	s_cbranch_execnz .LBB47_6729
.LBB47_5893:
	s_or_b32 exec_lo, exec_lo, s42
	v_mov_b32_e32 v4, vcc_lo
	s_and_saveexec_b32 vcc_lo, s41
.LBB47_5894:
	v_lshrrev_b32_e32 v4, 24, v22
	s_delay_alu instid0(VALU_DEP_1)
	v_and_or_b32 v4, 0x80, v4, v3
.LBB47_5895:
	s_or_b32 exec_lo, exec_lo, vcc_lo
.LBB47_5896:
	s_delay_alu instid0(SALU_CYCLE_1)
	s_or_b32 exec_lo, exec_lo, s40
	flat_store_b8 v[1:2], v4
                                        ; implicit-def: $vgpr22
                                        ; implicit-def: $vgpr1_vgpr2
.LBB47_5897:
	s_and_not1_saveexec_b32 s39, s39
	s_cbranch_execz .LBB47_5907
; %bb.5898:
	v_and_b32_e32 v4, 0x7fffffff, v22
	s_mov_b32 s40, exec_lo
                                        ; implicit-def: $vgpr3
	s_delay_alu instid0(VALU_DEP_1)
	v_cmpx_gt_u32_e32 0x43f00000, v4
	s_xor_b32 s40, exec_lo, s40
	s_cbranch_execz .LBB47_5904
; %bb.5899:
	s_mov_b32 s41, exec_lo
                                        ; implicit-def: $vgpr3
	v_cmpx_lt_u32_e32 0x3c7fffff, v4
	s_xor_b32 s41, exec_lo, s41
; %bb.5900:
	v_bfe_u32 v3, v22, 20, 1
	s_delay_alu instid0(VALU_DEP_1) | instskip(NEXT) | instid1(VALU_DEP_1)
	v_add3_u32 v3, v22, v3, 0x407ffff
	v_and_b32_e32 v4, 0xff00000, v3
	v_lshrrev_b32_e32 v3, 20, v3
	s_delay_alu instid0(VALU_DEP_2) | instskip(NEXT) | instid1(VALU_DEP_2)
	v_cmp_ne_u32_e32 vcc_lo, 0x7f00000, v4
	v_cndmask_b32_e32 v3, 0x7e, v3, vcc_lo
; %bb.5901:
	s_and_not1_saveexec_b32 vcc_lo, s41
; %bb.5902:
	v_add_f32_e64 v3, 0x46800000, |v22|
; %bb.5903:
	s_or_b32 exec_lo, exec_lo, vcc_lo
                                        ; implicit-def: $vgpr4
.LBB47_5904:
	s_and_not1_saveexec_b32 s40, s40
; %bb.5905:
	v_mov_b32_e32 v3, 0x7f
	v_cmp_lt_u32_e32 vcc_lo, 0x7f800000, v4
	s_delay_alu instid0(VALU_DEP_2)
	v_cndmask_b32_e32 v3, 0x7e, v3, vcc_lo
; %bb.5906:
	s_or_b32 exec_lo, exec_lo, s40
	v_lshrrev_b32_e32 v4, 24, v22
	s_delay_alu instid0(VALU_DEP_1)
	v_and_or_b32 v3, 0x80, v4, v3
	flat_store_b8 v[1:2], v3
.LBB47_5907:
	s_or_b32 exec_lo, exec_lo, s39
                                        ; implicit-def: $vgpr22
                                        ; implicit-def: $vgpr1_vgpr2
.LBB47_5908:
	s_and_not1_saveexec_b32 s38, s38
	s_cbranch_execz .LBB47_5918
; %bb.5909:
	v_and_b32_e32 v4, 0x7fffffff, v22
	s_mov_b32 s39, exec_lo
                                        ; implicit-def: $vgpr3
	s_delay_alu instid0(VALU_DEP_1)
	v_cmpx_gt_u32_e32 0x47800000, v4
	s_xor_b32 s39, exec_lo, s39
	s_cbranch_execz .LBB47_5915
; %bb.5910:
	v_cmp_lt_u32_e32 vcc_lo, 0x387fffff, v4
                                        ; implicit-def: $vgpr3
	s_and_saveexec_b32 s40, vcc_lo
	s_delay_alu instid0(SALU_CYCLE_1)
	s_xor_b32 vcc_lo, exec_lo, s40
; %bb.5911:
	v_bfe_u32 v3, v22, 21, 1
	s_delay_alu instid0(VALU_DEP_1) | instskip(NEXT) | instid1(VALU_DEP_1)
	v_add3_u32 v3, v22, v3, 0x80fffff
	v_lshrrev_b32_e32 v3, 21, v3
; %bb.5912:
	s_and_not1_saveexec_b32 vcc_lo, vcc_lo
; %bb.5913:
	v_add_f32_e64 v3, 0x43000000, |v22|
; %bb.5914:
	s_or_b32 exec_lo, exec_lo, vcc_lo
                                        ; implicit-def: $vgpr4
.LBB47_5915:
	s_and_not1_saveexec_b32 s39, s39
; %bb.5916:
	v_mov_b32_e32 v3, 0x7f
	v_cmp_lt_u32_e32 vcc_lo, 0x7f800000, v4
	s_delay_alu instid0(VALU_DEP_2)
	v_cndmask_b32_e32 v3, 0x7c, v3, vcc_lo
; %bb.5917:
	s_or_b32 exec_lo, exec_lo, s39
	v_lshrrev_b32_e32 v4, 24, v22
	s_delay_alu instid0(VALU_DEP_1)
	v_and_or_b32 v3, 0x80, v4, v3
	flat_store_b8 v[1:2], v3
.LBB47_5918:
	s_or_b32 exec_lo, exec_lo, s38
	s_delay_alu instid0(SALU_CYCLE_1)
	s_or_b32 s38, s0, exec_lo
                                        ; implicit-def: $vgpr3
                                        ; implicit-def: $vgpr22
                                        ; implicit-def: $vgpr1_vgpr2
.LBB47_5919:
	s_or_saveexec_b32 s37, s37
	s_mov_b32 vcc_lo, s35
	s_xor_b32 exec_lo, exec_lo, s37
	s_cbranch_execz .LBB47_5929
; %bb.5920:
	s_mov_b32 s39, s38
	s_mov_b32 s40, s35
	s_mov_b32 s41, exec_lo
	v_cmpx_lt_i16_e32 14, v3
	s_xor_b32 s41, exec_lo, s41
	s_cbranch_execz .LBB47_5924
; %bb.5921:
	s_mov_b32 s42, -1
	s_mov_b32 s39, s38
	s_mov_b32 s40, exec_lo
	v_cmpx_eq_u16_e32 15, v3
	s_cbranch_execz .LBB47_5923
; %bb.5922:
	v_bfe_u32 v3, v22, 16, 1
	v_cmp_o_f32_e32 vcc_lo, v22, v22
	s_xor_b32 s42, exec_lo, -1
	s_or_b32 s39, s38, exec_lo
	s_delay_alu instid0(VALU_DEP_2) | instskip(NEXT) | instid1(VALU_DEP_1)
	v_add3_u32 v3, v22, v3, 0x7fff
	v_lshrrev_b32_e32 v3, 16, v3
	s_delay_alu instid0(VALU_DEP_1)
	v_cndmask_b32_e32 v3, 0x7fc0, v3, vcc_lo
	flat_store_b16 v[1:2], v3
.LBB47_5923:
	s_or_b32 exec_lo, exec_lo, s40
	s_delay_alu instid0(SALU_CYCLE_1)
	s_and_not1_b32 vcc_lo, s35, exec_lo
	s_and_b32 s40, s42, exec_lo
	s_and_not1_b32 s42, s38, exec_lo
	s_and_b32 s39, s39, exec_lo
	s_or_b32 s40, vcc_lo, s40
	s_or_b32 s39, s42, s39
                                        ; implicit-def: $vgpr3
                                        ; implicit-def: $vgpr22
                                        ; implicit-def: $vgpr1_vgpr2
.LBB47_5924:
	s_and_not1_saveexec_b32 s41, s41
	s_cbranch_execz .LBB47_5928
; %bb.5925:
	s_mov_b32 s43, -1
	s_mov_b32 s42, s39
	s_mov_b32 s44, exec_lo
	v_cmpx_eq_u16_e32 11, v3
	s_cbranch_execz .LBB47_5927
; %bb.5926:
	v_cmp_neq_f32_e32 vcc_lo, 0, v22
	s_xor_b32 s43, exec_lo, -1
	s_or_b32 s42, s39, exec_lo
	v_cndmask_b32_e64 v3, 0, 1, vcc_lo
	flat_store_b8 v[1:2], v3
.LBB47_5927:
	s_or_b32 exec_lo, exec_lo, s44
	s_delay_alu instid0(SALU_CYCLE_1)
	s_and_not1_b32 vcc_lo, s40, exec_lo
	s_and_b32 s40, s43, exec_lo
	s_and_not1_b32 s39, s39, exec_lo
	s_and_b32 s42, s42, exec_lo
	s_or_b32 s40, vcc_lo, s40
	s_or_b32 s39, s39, s42
.LBB47_5928:
	s_or_b32 exec_lo, exec_lo, s41
	s_delay_alu instid0(SALU_CYCLE_1)
	s_and_not1_b32 vcc_lo, s35, exec_lo
	s_and_b32 s40, s40, exec_lo
	s_and_not1_b32 s38, s38, exec_lo
	s_and_b32 s39, s39, exec_lo
	s_or_b32 vcc_lo, vcc_lo, s40
	s_or_b32 s38, s38, s39
.LBB47_5929:
	s_or_b32 exec_lo, exec_lo, s37
	s_delay_alu instid0(SALU_CYCLE_1)
	s_and_not1_b32 s35, s35, exec_lo
	s_and_b32 vcc_lo, vcc_lo, exec_lo
	s_and_not1_b32 s0, s0, exec_lo
	s_and_b32 s37, s38, exec_lo
	s_or_b32 s35, s35, vcc_lo
	s_or_b32 s0, s0, s37
.LBB47_5930:
	s_or_b32 exec_lo, exec_lo, s36
	s_delay_alu instid0(SALU_CYCLE_1)
	s_and_not1_b32 vcc_lo, vcc_hi, exec_lo
	s_and_b32 s35, s35, exec_lo
	s_and_b32 s0, s0, exec_lo
	s_or_b32 s35, vcc_lo, s35
                                        ; implicit-def: $vgpr3
                                        ; implicit-def: $vgpr22
                                        ; implicit-def: $vgpr1_vgpr2
	s_and_not1_saveexec_b32 s31, s31
	s_cbranch_execz .LBB47_3937
.LBB47_5931:
	s_mov_b32 s36, exec_lo
	v_cmpx_lt_i16_e32 4, v3
	s_xor_b32 s36, exec_lo, s36
	s_cbranch_execz .LBB47_5953
; %bb.5932:
	s_mov_b32 s37, exec_lo
	v_cmpx_lt_i16_e32 7, v3
	s_xor_b32 s37, exec_lo, s37
	s_cbranch_execz .LBB47_5942
; %bb.5933:
	;; [unrolled: 5-line block ×3, first 2 shown]
	v_cmp_lt_i16_e32 vcc_lo, 9, v3
	s_and_saveexec_b32 s39, vcc_lo
	s_delay_alu instid0(SALU_CYCLE_1)
	s_xor_b32 vcc_lo, exec_lo, s39
	s_cbranch_execz .LBB47_5936
; %bb.5935:
	v_cvt_f64_f32_e32 v[22:23], v22
	v_mov_b32_e32 v24, 0
	s_delay_alu instid0(VALU_DEP_1)
	v_mov_b32_e32 v25, v24
	flat_store_b128 v[1:2], v[22:25]
                                        ; implicit-def: $vgpr22
                                        ; implicit-def: $vgpr1_vgpr2
.LBB47_5936:
	s_and_not1_saveexec_b32 vcc_lo, vcc_lo
	s_cbranch_execz .LBB47_5938
; %bb.5937:
	v_mov_b32_e32 v23, 0
	flat_store_b64 v[1:2], v[22:23]
.LBB47_5938:
	s_or_b32 exec_lo, exec_lo, vcc_lo
                                        ; implicit-def: $vgpr22
                                        ; implicit-def: $vgpr1_vgpr2
.LBB47_5939:
	s_and_not1_saveexec_b32 vcc_lo, s38
	s_cbranch_execz .LBB47_5941
; %bb.5940:
	v_cvt_f16_f32_e32 v3, v22
	s_delay_alu instid0(VALU_DEP_1)
	v_and_b32_e32 v3, 0xffff, v3
	flat_store_b32 v[1:2], v3
.LBB47_5941:
	s_or_b32 exec_lo, exec_lo, vcc_lo
                                        ; implicit-def: $vgpr22
                                        ; implicit-def: $vgpr1_vgpr2
                                        ; implicit-def: $vgpr3
.LBB47_5942:
	s_and_not1_saveexec_b32 s37, s37
	s_cbranch_execz .LBB47_5952
; %bb.5943:
	s_mov_b32 s38, exec_lo
	v_cmpx_lt_i16_e32 5, v3
	s_xor_b32 s38, exec_lo, s38
	s_cbranch_execz .LBB47_5949
; %bb.5944:
	v_cmp_lt_i16_e32 vcc_lo, 6, v3
	s_and_saveexec_b32 s39, vcc_lo
	s_delay_alu instid0(SALU_CYCLE_1)
	s_xor_b32 vcc_lo, exec_lo, s39
	s_cbranch_execz .LBB47_5946
; %bb.5945:
	v_cvt_f64_f32_e32 v[3:4], v22
                                        ; implicit-def: $vgpr22
	flat_store_b64 v[1:2], v[3:4]
                                        ; implicit-def: $vgpr1_vgpr2
.LBB47_5946:
	s_and_not1_saveexec_b32 vcc_lo, vcc_lo
	s_cbranch_execz .LBB47_5948
; %bb.5947:
	flat_store_b32 v[1:2], v22
.LBB47_5948:
	s_or_b32 exec_lo, exec_lo, vcc_lo
                                        ; implicit-def: $vgpr22
                                        ; implicit-def: $vgpr1_vgpr2
.LBB47_5949:
	s_and_not1_saveexec_b32 vcc_lo, s38
	s_cbranch_execz .LBB47_5951
; %bb.5950:
	v_cvt_f16_f32_e32 v3, v22
	flat_store_b16 v[1:2], v3
.LBB47_5951:
	s_or_b32 exec_lo, exec_lo, vcc_lo
.LBB47_5952:
	s_delay_alu instid0(SALU_CYCLE_1)
	s_or_b32 exec_lo, exec_lo, s37
                                        ; implicit-def: $vgpr3
                                        ; implicit-def: $vgpr22
                                        ; implicit-def: $vgpr1_vgpr2
.LBB47_5953:
	s_and_not1_saveexec_b32 s36, s36
	s_cbranch_execz .LBB47_5971
; %bb.5954:
	s_mov_b32 s37, exec_lo
	v_cmpx_lt_i16_e32 1, v3
	s_xor_b32 s37, exec_lo, s37
	s_cbranch_execz .LBB47_5964
; %bb.5955:
	s_mov_b32 s38, exec_lo
	v_cmpx_lt_i16_e32 2, v3
	s_xor_b32 s38, exec_lo, s38
	;; [unrolled: 5-line block ×3, first 2 shown]
	s_cbranch_execz .LBB47_5958
; %bb.5957:
	v_trunc_f32_e32 v3, v22
                                        ; implicit-def: $vgpr22
	s_delay_alu instid0(VALU_DEP_1) | instskip(SKIP_1) | instid1(VALU_DEP_2)
	v_mul_f32_e64 v4, 0x2f800000, |v3|
	v_ashrrev_i32_e32 v10, 31, v3
	v_floor_f32_e32 v4, v4
	s_delay_alu instid0(VALU_DEP_1) | instskip(SKIP_1) | instid1(VALU_DEP_2)
	v_fma_f32 v5, 0xcf800000, v4, |v3|
	v_cvt_u32_f32_e32 v4, v4
	v_cvt_u32_f32_e32 v3, v5
	s_delay_alu instid0(VALU_DEP_2) | instskip(NEXT) | instid1(VALU_DEP_2)
	v_xor_b32_e32 v4, v4, v10
	v_xor_b32_e32 v3, v3, v10
	s_delay_alu instid0(VALU_DEP_1) | instskip(NEXT) | instid1(VALU_DEP_3)
	v_sub_co_u32 v3, vcc_lo, v3, v10
	v_sub_co_ci_u32_e32 v4, vcc_lo, v4, v10, vcc_lo
	flat_store_b64 v[1:2], v[3:4]
                                        ; implicit-def: $vgpr1_vgpr2
.LBB47_5958:
	s_and_not1_saveexec_b32 vcc_lo, s39
	s_cbranch_execz .LBB47_5960
; %bb.5959:
	v_cvt_i32_f32_e32 v3, v22
	flat_store_b32 v[1:2], v3
.LBB47_5960:
	s_or_b32 exec_lo, exec_lo, vcc_lo
                                        ; implicit-def: $vgpr22
                                        ; implicit-def: $vgpr1_vgpr2
.LBB47_5961:
	s_and_not1_saveexec_b32 vcc_lo, s38
	s_cbranch_execz .LBB47_5963
; %bb.5962:
	v_cvt_i32_f32_e32 v3, v22
	flat_store_b16 v[1:2], v3
.LBB47_5963:
	s_or_b32 exec_lo, exec_lo, vcc_lo
                                        ; implicit-def: $vgpr22
                                        ; implicit-def: $vgpr1_vgpr2
                                        ; implicit-def: $vgpr3
.LBB47_5964:
	s_and_not1_saveexec_b32 s37, s37
	s_cbranch_execz .LBB47_5970
; %bb.5965:
	v_cmp_lt_i16_e32 vcc_lo, 0, v3
	s_and_saveexec_b32 s38, vcc_lo
	s_delay_alu instid0(SALU_CYCLE_1)
	s_xor_b32 vcc_lo, exec_lo, s38
	s_cbranch_execz .LBB47_5967
; %bb.5966:
	v_cvt_i32_f32_e32 v3, v22
                                        ; implicit-def: $vgpr22
	flat_store_b8 v[1:2], v3
                                        ; implicit-def: $vgpr1_vgpr2
.LBB47_5967:
	s_and_not1_saveexec_b32 vcc_lo, vcc_lo
	s_cbranch_execz .LBB47_5969
; %bb.5968:
	v_trunc_f32_e32 v3, v22
	s_delay_alu instid0(VALU_DEP_1) | instskip(NEXT) | instid1(VALU_DEP_1)
	v_mul_f32_e64 v4, 0x2f800000, |v3|
	v_floor_f32_e32 v4, v4
	s_delay_alu instid0(VALU_DEP_1) | instskip(SKIP_1) | instid1(VALU_DEP_2)
	v_fma_f32 v4, 0xcf800000, v4, |v3|
	v_ashrrev_i32_e32 v3, 31, v3
	v_cvt_u32_f32_e32 v4, v4
	s_delay_alu instid0(VALU_DEP_1) | instskip(NEXT) | instid1(VALU_DEP_1)
	v_xor_b32_e32 v4, v4, v3
	v_sub_nc_u32_e32 v3, v4, v3
	flat_store_b8 v[1:2], v3
.LBB47_5969:
	s_or_b32 exec_lo, exec_lo, vcc_lo
.LBB47_5970:
	s_delay_alu instid0(SALU_CYCLE_1)
	s_or_b32 exec_lo, exec_lo, s37
.LBB47_5971:
	s_delay_alu instid0(SALU_CYCLE_1) | instskip(NEXT) | instid1(SALU_CYCLE_1)
	s_or_b32 exec_lo, exec_lo, s36
	s_or_b32 s0, s0, exec_lo
	s_or_b32 exec_lo, exec_lo, s31
	s_mov_b32 vcc_lo, 0
	s_and_saveexec_b32 s31, s0
	s_cbranch_execnz .LBB47_3938
	s_branch .LBB47_3939
.LBB47_5972:
	v_bfe_u32 v3, v28, 21, 1
	s_mov_b32 s28, exec_lo
	s_delay_alu instid0(VALU_DEP_1) | instskip(NEXT) | instid1(VALU_DEP_1)
	v_add3_u32 v3, v28, v3, 0x88fffff
	v_lshrrev_b32_e32 v3, 21, v3
	s_or_saveexec_b32 s29, s29
                                        ; implicit-def: $vcc_lo
	s_delay_alu instid0(SALU_CYCLE_1)
	s_xor_b32 exec_lo, exec_lo, s29
	s_cbranch_execz .LBB47_5137
.LBB47_5973:
	v_add_f32_e64 v3, 0x42800000, |v28|
	s_and_not1_b32 s28, s28, exec_lo
	s_delay_alu instid0(VALU_DEP_1) | instskip(NEXT) | instid1(VALU_DEP_1)
	v_and_b32_e32 v3, 0xff, v3
	v_cmp_ne_u32_e32 vcc_lo, 0, v3
	s_and_b32 vcc_hi, vcc_lo, exec_lo
	s_mov_b32 vcc_lo, 0
	s_or_b32 s28, s28, vcc_hi
	s_or_b32 exec_lo, exec_lo, s29
	v_mov_b32_e32 v4, vcc_lo
	s_and_saveexec_b32 s29, s28
	s_cbranch_execnz .LBB47_5138
	s_branch .LBB47_5139
.LBB47_5974:
	v_bfe_u32 v3, v27, 20, 1
	s_mov_b32 s29, exec_lo
	s_delay_alu instid0(VALU_DEP_1) | instskip(NEXT) | instid1(VALU_DEP_1)
	v_add3_u32 v3, v27, v3, 0x487ffff
	v_lshrrev_b32_e32 v3, 20, v3
	s_or_saveexec_b32 vcc_hi, vcc_lo
                                        ; implicit-def: $vcc_lo
	s_delay_alu instid0(SALU_CYCLE_1)
	s_xor_b32 exec_lo, exec_lo, vcc_hi
	s_cbranch_execz .LBB47_5250
.LBB47_5975:
	v_add_f32_e64 v3, 0x46000000, |v27|
	s_and_not1_b32 s29, s29, exec_lo
	s_delay_alu instid0(VALU_DEP_1) | instskip(NEXT) | instid1(VALU_DEP_1)
	v_and_b32_e32 v3, 0xff, v3
	v_cmp_ne_u32_e32 vcc_lo, 0, v3
	s_and_b32 s30, vcc_lo, exec_lo
	s_mov_b32 vcc_lo, 0
	s_or_b32 s29, s29, s30
	s_or_b32 exec_lo, exec_lo, vcc_hi
	v_mov_b32_e32 v4, vcc_lo
	s_and_saveexec_b32 vcc_lo, s29
	s_cbranch_execnz .LBB47_5251
	s_branch .LBB47_5252
.LBB47_5976:
	s_mov_b32 s37, s31
	s_mov_b32 s38, exec_lo
	v_cmpx_lt_i16_e32 25, v3
	s_xor_b32 s38, exec_lo, s38
	s_cbranch_execz .LBB47_6012
; %bb.5977:
	s_mov_b32 s39, s31
	s_mov_b32 s37, exec_lo
	v_cmpx_lt_i16_e32 28, v3
	s_xor_b32 s37, exec_lo, s37
	s_cbranch_execz .LBB47_5995
; %bb.5978:
	;; [unrolled: 6-line block ×3, first 2 shown]
	s_mov_b32 s40, 0
	s_mov_b32 s41, s31
	s_mov_b32 s0, exec_lo
	v_cmpx_lt_i16_e32 45, v3
	s_xor_b32 s0, exec_lo, s0
	s_cbranch_execz .LBB47_5983
; %bb.5980:
	s_mov_b32 s42, -1
	s_mov_b32 s41, exec_lo
	v_cmpx_eq_u16_e32 46, v3
	s_cbranch_execz .LBB47_5982
; %bb.5981:
	v_bfe_u32 v3, v21, 16, 1
	v_cmp_o_f32_e32 vcc_lo, v21, v21
	s_mov_b32 s40, exec_lo
	s_xor_b32 s42, exec_lo, -1
	s_delay_alu instid0(VALU_DEP_2) | instskip(NEXT) | instid1(VALU_DEP_1)
	v_add3_u32 v3, v21, v3, 0x7fff
	v_lshrrev_b32_e32 v3, 16, v3
	s_delay_alu instid0(VALU_DEP_1)
	v_cndmask_b32_e32 v3, 0x7fc0, v3, vcc_lo
	flat_store_b32 v[1:2], v3
.LBB47_5982:
	s_or_b32 exec_lo, exec_lo, s41
	s_delay_alu instid0(SALU_CYCLE_1)
	s_and_not1_b32 vcc_lo, s31, exec_lo
	s_and_b32 s41, s42, exec_lo
	s_and_b32 s40, s40, exec_lo
	s_or_b32 s41, vcc_lo, s41
                                        ; implicit-def: $vgpr3
                                        ; implicit-def: $vgpr1_vgpr2
                                        ; implicit-def: $vgpr21
.LBB47_5983:
	s_and_not1_saveexec_b32 s42, s0
	s_cbranch_execz .LBB47_5989
; %bb.5984:
	s_mov_b32 s44, -1
	s_mov_b32 s0, s40
	s_mov_b32 s43, exec_lo
	v_cmpx_eq_u16_e32 44, v3
	s_cbranch_execz .LBB47_5988
; %bb.5985:
	v_bfe_u32 v4, v21, 23, 8
	v_mov_b32_e32 v3, 0xff
	s_mov_b32 s44, exec_lo
	s_delay_alu instid0(VALU_DEP_2)
	v_cmpx_ne_u32_e32 0xff, v4
; %bb.5986:
	v_and_b32_e32 v3, 0x400000, v21
	v_and_or_b32 v4, 0x3fffff, v21, v4
	s_delay_alu instid0(VALU_DEP_2) | instskip(NEXT) | instid1(VALU_DEP_2)
	v_cmp_ne_u32_e32 vcc_lo, 0, v3
	v_cmp_ne_u32_e64 s0, 0, v4
	v_lshrrev_b32_e32 v3, 23, v21
	s_delay_alu instid0(VALU_DEP_2) | instskip(NEXT) | instid1(SALU_CYCLE_1)
	s_and_b32 s0, vcc_lo, s0
	v_cndmask_b32_e64 v4, 0, 1, s0
	s_delay_alu instid0(VALU_DEP_1)
	v_add_nc_u32_e32 v3, v3, v4
; %bb.5987:
	s_or_b32 exec_lo, exec_lo, s44
	s_delay_alu instid0(SALU_CYCLE_1)
	s_xor_b32 s44, exec_lo, -1
	s_or_b32 s0, s40, exec_lo
	flat_store_b8 v[1:2], v3
.LBB47_5988:
	s_or_b32 exec_lo, exec_lo, s43
	s_delay_alu instid0(SALU_CYCLE_1)
	s_and_not1_b32 vcc_lo, s41, exec_lo
	s_and_b32 s41, s44, exec_lo
	s_and_not1_b32 s40, s40, exec_lo
	s_and_b32 s0, s0, exec_lo
	s_or_b32 s41, vcc_lo, s41
	s_or_b32 s40, s40, s0
.LBB47_5989:
	s_or_b32 exec_lo, exec_lo, s42
	s_delay_alu instid0(SALU_CYCLE_1) | instskip(SKIP_1) | instid1(SALU_CYCLE_1)
	s_and_not1_b32 s0, s31, exec_lo
	s_and_b32 vcc_lo, s41, exec_lo
                                        ; implicit-def: $vgpr3
                                        ; implicit-def: $vgpr21
                                        ; implicit-def: $vgpr1_vgpr2
	s_or_b32 s41, s0, vcc_lo
	s_and_b32 s0, s40, exec_lo
.LBB47_5990:
	s_and_not1_saveexec_b32 s39, s39
	s_cbranch_execz .LBB47_5994
; %bb.5991:
	s_mov_b32 s43, -1
	s_mov_b32 s42, s0
	s_mov_b32 s40, exec_lo
	v_cmpx_eq_u16_e32 29, v3
	s_cbranch_execz .LBB47_5993
; %bb.5992:
	v_trunc_f32_e32 v3, v21
	s_xor_b32 s43, exec_lo, -1
	s_or_b32 s42, s0, exec_lo
	s_delay_alu instid0(VALU_DEP_1) | instskip(NEXT) | instid1(VALU_DEP_1)
	v_mul_f32_e32 v4, 0x2f800000, v3
	v_floor_f32_e32 v4, v4
	s_delay_alu instid0(VALU_DEP_1) | instskip(SKIP_1) | instid1(VALU_DEP_2)
	v_fmamk_f32 v3, v4, 0xcf800000, v3
	v_cvt_u32_f32_e32 v4, v4
	v_cvt_u32_f32_e32 v3, v3
	flat_store_b64 v[1:2], v[3:4]
.LBB47_5993:
	s_or_b32 exec_lo, exec_lo, s40
	s_delay_alu instid0(SALU_CYCLE_1)
	s_and_not1_b32 vcc_lo, s41, exec_lo
	s_and_b32 s40, s43, exec_lo
	s_and_not1_b32 s0, s0, exec_lo
	s_and_b32 s42, s42, exec_lo
	s_or_b32 s41, vcc_lo, s40
	s_or_b32 s0, s0, s42
.LBB47_5994:
	s_or_b32 exec_lo, exec_lo, s39
	s_delay_alu instid0(SALU_CYCLE_1)
	s_and_not1_b32 vcc_lo, s31, exec_lo
	s_and_b32 s39, s41, exec_lo
	s_and_b32 s0, s0, exec_lo
	s_or_b32 s39, vcc_lo, s39
                                        ; implicit-def: $vgpr1_vgpr2
                                        ; implicit-def: $vgpr3
                                        ; implicit-def: $vgpr21
.LBB47_5995:
	s_and_not1_saveexec_b32 s37, s37
	s_cbranch_execz .LBB47_6011
; %bb.5996:
	s_mov_b32 s40, exec_lo
	v_cmpx_lt_i16_e32 26, v3
	s_xor_b32 s40, exec_lo, s40
	s_cbranch_execz .LBB47_6002
; %bb.5997:
	v_cmp_lt_i16_e32 vcc_lo, 27, v3
	v_cvt_u32_f32_e32 v3, v21
	s_and_saveexec_b32 s41, vcc_lo
	s_delay_alu instid0(SALU_CYCLE_1)
	s_xor_b32 vcc_lo, exec_lo, s41
	s_cbranch_execz .LBB47_5999
; %bb.5998:
	flat_store_b32 v[1:2], v3
                                        ; implicit-def: $vgpr1_vgpr2
                                        ; implicit-def: $vgpr3
.LBB47_5999:
	s_and_not1_saveexec_b32 vcc_lo, vcc_lo
	s_cbranch_execz .LBB47_6001
; %bb.6000:
	flat_store_b16 v[1:2], v3
.LBB47_6001:
	s_or_b32 exec_lo, exec_lo, vcc_lo
                                        ; implicit-def: $vgpr1_vgpr2
                                        ; implicit-def: $vgpr21
.LBB47_6002:
	s_and_not1_saveexec_b32 s40, s40
	s_cbranch_execz .LBB47_6010
; %bb.6003:
	v_and_b32_e32 v3, 0x7fffffff, v21
	v_mov_b32_e32 v4, 0x80
	s_mov_b32 s41, exec_lo
	s_delay_alu instid0(VALU_DEP_2)
	v_cmpx_gt_u32_e32 0x43800000, v3
	s_cbranch_execz .LBB47_6009
; %bb.6004:
	v_cmp_lt_u32_e32 vcc_lo, 0x3bffffff, v3
	s_mov_b32 s42, 0
                                        ; implicit-def: $vgpr3
	s_and_saveexec_b32 s43, vcc_lo
	s_delay_alu instid0(SALU_CYCLE_1)
	s_xor_b32 vcc_lo, exec_lo, s43
	s_cbranch_execnz .LBB47_6730
; %bb.6005:
	s_or_saveexec_b32 s43, vcc_lo
                                        ; implicit-def: $vcc_lo
	s_delay_alu instid0(SALU_CYCLE_1)
	s_xor_b32 exec_lo, exec_lo, s43
	s_cbranch_execnz .LBB47_6731
.LBB47_6006:
	s_or_b32 exec_lo, exec_lo, s43
	v_mov_b32_e32 v4, vcc_lo
	s_and_saveexec_b32 vcc_lo, s42
.LBB47_6007:
	v_lshrrev_b32_e32 v4, 24, v21
	s_delay_alu instid0(VALU_DEP_1)
	v_and_or_b32 v4, 0x80, v4, v3
.LBB47_6008:
	s_or_b32 exec_lo, exec_lo, vcc_lo
.LBB47_6009:
	s_delay_alu instid0(SALU_CYCLE_1)
	s_or_b32 exec_lo, exec_lo, s41
	flat_store_b8 v[1:2], v4
.LBB47_6010:
	s_or_b32 exec_lo, exec_lo, s40
	s_delay_alu instid0(SALU_CYCLE_1)
	s_or_b32 s0, s0, exec_lo
.LBB47_6011:
	s_or_b32 exec_lo, exec_lo, s37
	s_delay_alu instid0(SALU_CYCLE_1)
	s_and_not1_b32 vcc_lo, s31, exec_lo
	s_and_b32 s37, s39, exec_lo
	s_and_b32 s0, s0, exec_lo
	s_or_b32 s37, vcc_lo, s37
                                        ; implicit-def: $vgpr3
                                        ; implicit-def: $vgpr21
                                        ; implicit-def: $vgpr1_vgpr2
.LBB47_6012:
	s_and_not1_saveexec_b32 s38, s38
	s_cbranch_execz .LBB47_6056
; %bb.6013:
	s_mov_b32 s40, s0
	s_mov_b32 s39, exec_lo
	v_cmpx_lt_i16_e32 22, v3
	s_xor_b32 s39, exec_lo, s39
	s_cbranch_execz .LBB47_6045
; %bb.6014:
	s_mov_b32 s40, exec_lo
	v_cmpx_lt_i16_e32 23, v3
	s_xor_b32 s40, exec_lo, s40
	s_cbranch_execz .LBB47_6034
; %bb.6015:
	;; [unrolled: 5-line block ×3, first 2 shown]
	v_and_b32_e32 v3, 0x7fffffff, v21
	v_mov_b32_e32 v4, 0x80
	s_mov_b32 s42, exec_lo
	s_delay_alu instid0(VALU_DEP_2)
	v_cmpx_gt_u32_e32 0x47800000, v3
	s_cbranch_execz .LBB47_6022
; %bb.6017:
	v_cmp_lt_u32_e32 vcc_lo, 0x37ffffff, v3
	s_mov_b32 s43, 0
                                        ; implicit-def: $vgpr3
	s_and_saveexec_b32 s44, vcc_lo
	s_delay_alu instid0(SALU_CYCLE_1)
	s_xor_b32 vcc_lo, exec_lo, s44
	s_cbranch_execnz .LBB47_6854
; %bb.6018:
	s_or_saveexec_b32 s44, vcc_lo
                                        ; implicit-def: $vcc_lo
	s_delay_alu instid0(SALU_CYCLE_1)
	s_xor_b32 exec_lo, exec_lo, s44
	s_cbranch_execnz .LBB47_6855
.LBB47_6019:
	s_or_b32 exec_lo, exec_lo, s44
	v_mov_b32_e32 v4, vcc_lo
	s_and_saveexec_b32 vcc_lo, s43
.LBB47_6020:
	v_lshrrev_b32_e32 v4, 24, v21
	s_delay_alu instid0(VALU_DEP_1)
	v_and_or_b32 v4, 0x80, v4, v3
.LBB47_6021:
	s_or_b32 exec_lo, exec_lo, vcc_lo
.LBB47_6022:
	s_delay_alu instid0(SALU_CYCLE_1)
	s_or_b32 exec_lo, exec_lo, s42
	flat_store_b8 v[1:2], v4
                                        ; implicit-def: $vgpr21
                                        ; implicit-def: $vgpr1_vgpr2
.LBB47_6023:
	s_and_not1_saveexec_b32 s41, s41
	s_cbranch_execz .LBB47_6033
; %bb.6024:
	v_and_b32_e32 v4, 0x7fffffff, v21
	s_mov_b32 s42, exec_lo
                                        ; implicit-def: $vgpr3
	s_delay_alu instid0(VALU_DEP_1)
	v_cmpx_gt_u32_e32 0x43f00000, v4
	s_xor_b32 s42, exec_lo, s42
	s_cbranch_execz .LBB47_6030
; %bb.6025:
	s_mov_b32 s43, exec_lo
                                        ; implicit-def: $vgpr3
	v_cmpx_lt_u32_e32 0x3c7fffff, v4
	s_xor_b32 s43, exec_lo, s43
; %bb.6026:
	v_bfe_u32 v3, v21, 20, 1
	s_delay_alu instid0(VALU_DEP_1) | instskip(NEXT) | instid1(VALU_DEP_1)
	v_add3_u32 v3, v21, v3, 0x407ffff
	v_and_b32_e32 v4, 0xff00000, v3
	v_lshrrev_b32_e32 v3, 20, v3
	s_delay_alu instid0(VALU_DEP_2) | instskip(NEXT) | instid1(VALU_DEP_2)
	v_cmp_ne_u32_e32 vcc_lo, 0x7f00000, v4
	v_cndmask_b32_e32 v3, 0x7e, v3, vcc_lo
; %bb.6027:
	s_and_not1_saveexec_b32 vcc_lo, s43
; %bb.6028:
	v_add_f32_e64 v3, 0x46800000, |v21|
; %bb.6029:
	s_or_b32 exec_lo, exec_lo, vcc_lo
                                        ; implicit-def: $vgpr4
.LBB47_6030:
	s_and_not1_saveexec_b32 s42, s42
; %bb.6031:
	v_mov_b32_e32 v3, 0x7f
	v_cmp_lt_u32_e32 vcc_lo, 0x7f800000, v4
	s_delay_alu instid0(VALU_DEP_2)
	v_cndmask_b32_e32 v3, 0x7e, v3, vcc_lo
; %bb.6032:
	s_or_b32 exec_lo, exec_lo, s42
	v_lshrrev_b32_e32 v4, 24, v21
	s_delay_alu instid0(VALU_DEP_1)
	v_and_or_b32 v3, 0x80, v4, v3
	flat_store_b8 v[1:2], v3
.LBB47_6033:
	s_or_b32 exec_lo, exec_lo, s41
                                        ; implicit-def: $vgpr21
                                        ; implicit-def: $vgpr1_vgpr2
.LBB47_6034:
	s_and_not1_saveexec_b32 s40, s40
	s_cbranch_execz .LBB47_6044
; %bb.6035:
	v_and_b32_e32 v4, 0x7fffffff, v21
	s_mov_b32 s41, exec_lo
                                        ; implicit-def: $vgpr3
	s_delay_alu instid0(VALU_DEP_1)
	v_cmpx_gt_u32_e32 0x47800000, v4
	s_xor_b32 s41, exec_lo, s41
	s_cbranch_execz .LBB47_6041
; %bb.6036:
	v_cmp_lt_u32_e32 vcc_lo, 0x387fffff, v4
                                        ; implicit-def: $vgpr3
	s_and_saveexec_b32 s42, vcc_lo
	s_delay_alu instid0(SALU_CYCLE_1)
	s_xor_b32 vcc_lo, exec_lo, s42
; %bb.6037:
	v_bfe_u32 v3, v21, 21, 1
	s_delay_alu instid0(VALU_DEP_1) | instskip(NEXT) | instid1(VALU_DEP_1)
	v_add3_u32 v3, v21, v3, 0x80fffff
	v_lshrrev_b32_e32 v3, 21, v3
; %bb.6038:
	s_and_not1_saveexec_b32 vcc_lo, vcc_lo
; %bb.6039:
	v_add_f32_e64 v3, 0x43000000, |v21|
; %bb.6040:
	s_or_b32 exec_lo, exec_lo, vcc_lo
                                        ; implicit-def: $vgpr4
.LBB47_6041:
	s_and_not1_saveexec_b32 s41, s41
; %bb.6042:
	v_mov_b32_e32 v3, 0x7f
	v_cmp_lt_u32_e32 vcc_lo, 0x7f800000, v4
	s_delay_alu instid0(VALU_DEP_2)
	v_cndmask_b32_e32 v3, 0x7c, v3, vcc_lo
; %bb.6043:
	s_or_b32 exec_lo, exec_lo, s41
	v_lshrrev_b32_e32 v4, 24, v21
	s_delay_alu instid0(VALU_DEP_1)
	v_and_or_b32 v3, 0x80, v4, v3
	flat_store_b8 v[1:2], v3
.LBB47_6044:
	s_or_b32 exec_lo, exec_lo, s40
	s_delay_alu instid0(SALU_CYCLE_1)
	s_or_b32 s40, s0, exec_lo
                                        ; implicit-def: $vgpr3
                                        ; implicit-def: $vgpr21
                                        ; implicit-def: $vgpr1_vgpr2
.LBB47_6045:
	s_or_saveexec_b32 s39, s39
	s_mov_b32 vcc_lo, s37
	s_xor_b32 exec_lo, exec_lo, s39
	s_cbranch_execz .LBB47_6055
; %bb.6046:
	s_mov_b32 s41, s40
	s_mov_b32 s42, s37
	s_mov_b32 s43, exec_lo
	v_cmpx_lt_i16_e32 14, v3
	s_xor_b32 s43, exec_lo, s43
	s_cbranch_execz .LBB47_6050
; %bb.6047:
	s_mov_b32 s44, -1
	s_mov_b32 s41, s40
	s_mov_b32 s42, exec_lo
	v_cmpx_eq_u16_e32 15, v3
	s_cbranch_execz .LBB47_6049
; %bb.6048:
	v_bfe_u32 v3, v21, 16, 1
	v_cmp_o_f32_e32 vcc_lo, v21, v21
	s_xor_b32 s44, exec_lo, -1
	s_or_b32 s41, s40, exec_lo
	s_delay_alu instid0(VALU_DEP_2) | instskip(NEXT) | instid1(VALU_DEP_1)
	v_add3_u32 v3, v21, v3, 0x7fff
	v_lshrrev_b32_e32 v3, 16, v3
	s_delay_alu instid0(VALU_DEP_1)
	v_cndmask_b32_e32 v3, 0x7fc0, v3, vcc_lo
	flat_store_b16 v[1:2], v3
.LBB47_6049:
	s_or_b32 exec_lo, exec_lo, s42
	s_delay_alu instid0(SALU_CYCLE_1)
	s_and_not1_b32 vcc_lo, s37, exec_lo
	s_and_b32 s42, s44, exec_lo
	s_and_not1_b32 s44, s40, exec_lo
	s_and_b32 s41, s41, exec_lo
	s_or_b32 s42, vcc_lo, s42
	s_or_b32 s41, s44, s41
                                        ; implicit-def: $vgpr3
                                        ; implicit-def: $vgpr21
                                        ; implicit-def: $vgpr1_vgpr2
.LBB47_6050:
	s_and_not1_saveexec_b32 s43, s43
	s_cbranch_execz .LBB47_6054
; %bb.6051:
	s_mov_b32 s45, -1
	s_mov_b32 s44, s41
	s_mov_b32 s46, exec_lo
	v_cmpx_eq_u16_e32 11, v3
	s_cbranch_execz .LBB47_6053
; %bb.6052:
	v_cmp_neq_f32_e32 vcc_lo, 0, v21
	s_xor_b32 s45, exec_lo, -1
	s_or_b32 s44, s41, exec_lo
	v_cndmask_b32_e64 v3, 0, 1, vcc_lo
	flat_store_b8 v[1:2], v3
.LBB47_6053:
	s_or_b32 exec_lo, exec_lo, s46
	s_delay_alu instid0(SALU_CYCLE_1)
	s_and_not1_b32 vcc_lo, s42, exec_lo
	s_and_b32 s42, s45, exec_lo
	s_and_not1_b32 s41, s41, exec_lo
	s_and_b32 s44, s44, exec_lo
	s_or_b32 s42, vcc_lo, s42
	s_or_b32 s41, s41, s44
.LBB47_6054:
	s_or_b32 exec_lo, exec_lo, s43
	s_delay_alu instid0(SALU_CYCLE_1)
	s_and_not1_b32 vcc_lo, s37, exec_lo
	s_and_b32 s42, s42, exec_lo
	s_and_not1_b32 s40, s40, exec_lo
	s_and_b32 s41, s41, exec_lo
	s_or_b32 vcc_lo, vcc_lo, s42
	s_or_b32 s40, s40, s41
.LBB47_6055:
	s_or_b32 exec_lo, exec_lo, s39
	s_delay_alu instid0(SALU_CYCLE_1)
	s_and_not1_b32 s37, s37, exec_lo
	s_and_b32 vcc_lo, vcc_lo, exec_lo
	s_and_not1_b32 s0, s0, exec_lo
	s_and_b32 s39, s40, exec_lo
	s_or_b32 s37, s37, vcc_lo
	s_or_b32 s0, s0, s39
.LBB47_6056:
	s_or_b32 exec_lo, exec_lo, s38
	s_delay_alu instid0(SALU_CYCLE_1)
	s_and_not1_b32 vcc_lo, s31, exec_lo
	s_and_b32 s37, s37, exec_lo
	s_and_b32 s0, s0, exec_lo
	s_or_b32 s37, vcc_lo, s37
                                        ; implicit-def: $vgpr3
                                        ; implicit-def: $vgpr21
                                        ; implicit-def: $vgpr1_vgpr2
	s_and_not1_saveexec_b32 s35, s35
	s_cbranch_execz .LBB47_3944
.LBB47_6057:
	s_mov_b32 s38, exec_lo
	v_cmpx_lt_i16_e32 4, v3
	s_xor_b32 s38, exec_lo, s38
	s_cbranch_execz .LBB47_6079
; %bb.6058:
	s_mov_b32 s39, exec_lo
	v_cmpx_lt_i16_e32 7, v3
	s_xor_b32 s39, exec_lo, s39
	s_cbranch_execz .LBB47_6068
; %bb.6059:
	;; [unrolled: 5-line block ×3, first 2 shown]
	v_cmp_lt_i16_e32 vcc_lo, 9, v3
	s_and_saveexec_b32 s41, vcc_lo
	s_delay_alu instid0(SALU_CYCLE_1)
	s_xor_b32 vcc_lo, exec_lo, s41
	s_cbranch_execz .LBB47_6062
; %bb.6061:
	v_cvt_f64_f32_e32 v[21:22], v21
	v_mov_b32_e32 v23, 0
	s_delay_alu instid0(VALU_DEP_1)
	v_mov_b32_e32 v24, v23
	flat_store_b128 v[1:2], v[21:24]
                                        ; implicit-def: $vgpr21
                                        ; implicit-def: $vgpr1_vgpr2
.LBB47_6062:
	s_and_not1_saveexec_b32 vcc_lo, vcc_lo
	s_cbranch_execz .LBB47_6064
; %bb.6063:
	v_mov_b32_e32 v22, 0
	flat_store_b64 v[1:2], v[21:22]
.LBB47_6064:
	s_or_b32 exec_lo, exec_lo, vcc_lo
                                        ; implicit-def: $vgpr21
                                        ; implicit-def: $vgpr1_vgpr2
.LBB47_6065:
	s_and_not1_saveexec_b32 vcc_lo, s40
	s_cbranch_execz .LBB47_6067
; %bb.6066:
	v_cvt_f16_f32_e32 v3, v21
	s_delay_alu instid0(VALU_DEP_1)
	v_and_b32_e32 v3, 0xffff, v3
	flat_store_b32 v[1:2], v3
.LBB47_6067:
	s_or_b32 exec_lo, exec_lo, vcc_lo
                                        ; implicit-def: $vgpr21
                                        ; implicit-def: $vgpr1_vgpr2
                                        ; implicit-def: $vgpr3
.LBB47_6068:
	s_and_not1_saveexec_b32 s39, s39
	s_cbranch_execz .LBB47_6078
; %bb.6069:
	s_mov_b32 s40, exec_lo
	v_cmpx_lt_i16_e32 5, v3
	s_xor_b32 s40, exec_lo, s40
	s_cbranch_execz .LBB47_6075
; %bb.6070:
	v_cmp_lt_i16_e32 vcc_lo, 6, v3
	s_and_saveexec_b32 s41, vcc_lo
	s_delay_alu instid0(SALU_CYCLE_1)
	s_xor_b32 vcc_lo, exec_lo, s41
	s_cbranch_execz .LBB47_6072
; %bb.6071:
	v_cvt_f64_f32_e32 v[3:4], v21
                                        ; implicit-def: $vgpr21
	flat_store_b64 v[1:2], v[3:4]
                                        ; implicit-def: $vgpr1_vgpr2
.LBB47_6072:
	s_and_not1_saveexec_b32 vcc_lo, vcc_lo
	s_cbranch_execz .LBB47_6074
; %bb.6073:
	flat_store_b32 v[1:2], v21
.LBB47_6074:
	s_or_b32 exec_lo, exec_lo, vcc_lo
                                        ; implicit-def: $vgpr21
                                        ; implicit-def: $vgpr1_vgpr2
.LBB47_6075:
	s_and_not1_saveexec_b32 vcc_lo, s40
	s_cbranch_execz .LBB47_6077
; %bb.6076:
	v_cvt_f16_f32_e32 v3, v21
	flat_store_b16 v[1:2], v3
.LBB47_6077:
	s_or_b32 exec_lo, exec_lo, vcc_lo
.LBB47_6078:
	s_delay_alu instid0(SALU_CYCLE_1)
	s_or_b32 exec_lo, exec_lo, s39
                                        ; implicit-def: $vgpr3
                                        ; implicit-def: $vgpr21
                                        ; implicit-def: $vgpr1_vgpr2
.LBB47_6079:
	s_and_not1_saveexec_b32 s38, s38
	s_cbranch_execz .LBB47_6097
; %bb.6080:
	s_mov_b32 s39, exec_lo
	v_cmpx_lt_i16_e32 1, v3
	s_xor_b32 s39, exec_lo, s39
	s_cbranch_execz .LBB47_6090
; %bb.6081:
	s_mov_b32 s40, exec_lo
	v_cmpx_lt_i16_e32 2, v3
	s_xor_b32 s40, exec_lo, s40
	;; [unrolled: 5-line block ×3, first 2 shown]
	s_cbranch_execz .LBB47_6084
; %bb.6083:
	v_trunc_f32_e32 v3, v21
                                        ; implicit-def: $vgpr21
	s_delay_alu instid0(VALU_DEP_1) | instskip(SKIP_1) | instid1(VALU_DEP_2)
	v_mul_f32_e64 v4, 0x2f800000, |v3|
	v_ashrrev_i32_e32 v10, 31, v3
	v_floor_f32_e32 v4, v4
	s_delay_alu instid0(VALU_DEP_1) | instskip(SKIP_1) | instid1(VALU_DEP_2)
	v_fma_f32 v5, 0xcf800000, v4, |v3|
	v_cvt_u32_f32_e32 v4, v4
	v_cvt_u32_f32_e32 v3, v5
	s_delay_alu instid0(VALU_DEP_2) | instskip(NEXT) | instid1(VALU_DEP_2)
	v_xor_b32_e32 v4, v4, v10
	v_xor_b32_e32 v3, v3, v10
	s_delay_alu instid0(VALU_DEP_1) | instskip(NEXT) | instid1(VALU_DEP_3)
	v_sub_co_u32 v3, vcc_lo, v3, v10
	v_sub_co_ci_u32_e32 v4, vcc_lo, v4, v10, vcc_lo
	flat_store_b64 v[1:2], v[3:4]
                                        ; implicit-def: $vgpr1_vgpr2
.LBB47_6084:
	s_and_not1_saveexec_b32 vcc_lo, s41
	s_cbranch_execz .LBB47_6086
; %bb.6085:
	v_cvt_i32_f32_e32 v3, v21
	flat_store_b32 v[1:2], v3
.LBB47_6086:
	s_or_b32 exec_lo, exec_lo, vcc_lo
                                        ; implicit-def: $vgpr21
                                        ; implicit-def: $vgpr1_vgpr2
.LBB47_6087:
	s_and_not1_saveexec_b32 vcc_lo, s40
	s_cbranch_execz .LBB47_6089
; %bb.6088:
	v_cvt_i32_f32_e32 v3, v21
	flat_store_b16 v[1:2], v3
.LBB47_6089:
	s_or_b32 exec_lo, exec_lo, vcc_lo
                                        ; implicit-def: $vgpr21
                                        ; implicit-def: $vgpr1_vgpr2
                                        ; implicit-def: $vgpr3
.LBB47_6090:
	s_and_not1_saveexec_b32 s39, s39
	s_cbranch_execz .LBB47_6096
; %bb.6091:
	v_cmp_lt_i16_e32 vcc_lo, 0, v3
	s_and_saveexec_b32 s40, vcc_lo
	s_delay_alu instid0(SALU_CYCLE_1)
	s_xor_b32 vcc_lo, exec_lo, s40
	s_cbranch_execz .LBB47_6093
; %bb.6092:
	v_cvt_i32_f32_e32 v3, v21
                                        ; implicit-def: $vgpr21
	flat_store_b8 v[1:2], v3
                                        ; implicit-def: $vgpr1_vgpr2
.LBB47_6093:
	s_and_not1_saveexec_b32 vcc_lo, vcc_lo
	s_cbranch_execz .LBB47_6095
; %bb.6094:
	v_trunc_f32_e32 v3, v21
	s_delay_alu instid0(VALU_DEP_1) | instskip(NEXT) | instid1(VALU_DEP_1)
	v_mul_f32_e64 v4, 0x2f800000, |v3|
	v_floor_f32_e32 v4, v4
	s_delay_alu instid0(VALU_DEP_1) | instskip(SKIP_1) | instid1(VALU_DEP_2)
	v_fma_f32 v4, 0xcf800000, v4, |v3|
	v_ashrrev_i32_e32 v3, 31, v3
	v_cvt_u32_f32_e32 v4, v4
	s_delay_alu instid0(VALU_DEP_1) | instskip(NEXT) | instid1(VALU_DEP_1)
	v_xor_b32_e32 v4, v4, v3
	v_sub_nc_u32_e32 v3, v4, v3
	flat_store_b8 v[1:2], v3
.LBB47_6095:
	s_or_b32 exec_lo, exec_lo, vcc_lo
.LBB47_6096:
	s_delay_alu instid0(SALU_CYCLE_1)
	s_or_b32 exec_lo, exec_lo, s39
.LBB47_6097:
	s_delay_alu instid0(SALU_CYCLE_1) | instskip(NEXT) | instid1(SALU_CYCLE_1)
	s_or_b32 exec_lo, exec_lo, s38
	s_or_b32 s0, s0, exec_lo
	s_or_b32 exec_lo, exec_lo, s35
	s_mov_b32 vcc_lo, 0
	s_and_saveexec_b32 s35, s0
	s_cbranch_execnz .LBB47_3945
	s_branch .LBB47_3946
.LBB47_6098:
	v_bfe_u32 v3, v27, 21, 1
	s_mov_b32 vcc_hi, exec_lo
	s_delay_alu instid0(VALU_DEP_1) | instskip(NEXT) | instid1(VALU_DEP_1)
	v_add3_u32 v3, v27, v3, 0x88fffff
	v_lshrrev_b32_e32 v3, 21, v3
	s_or_saveexec_b32 s30, vcc_lo
                                        ; implicit-def: $vcc_lo
	s_delay_alu instid0(SALU_CYCLE_1)
	s_xor_b32 exec_lo, exec_lo, s30
	s_cbranch_execz .LBB47_5263
.LBB47_6099:
	v_add_f32_e64 v3, 0x42800000, |v27|
	s_delay_alu instid0(VALU_DEP_1) | instskip(NEXT) | instid1(VALU_DEP_1)
	v_and_b32_e32 v3, 0xff, v3
	v_cmp_ne_u32_e32 vcc_lo, 0, v3
	s_and_not1_b32 vcc_hi, vcc_hi, exec_lo
	s_and_b32 s31, vcc_lo, exec_lo
	s_mov_b32 vcc_lo, 0
	s_or_b32 vcc_hi, vcc_hi, s31
	s_or_b32 exec_lo, exec_lo, s30
	v_mov_b32_e32 v4, vcc_lo
	s_and_saveexec_b32 vcc_lo, vcc_hi
	s_cbranch_execnz .LBB47_5264
	s_branch .LBB47_5265
.LBB47_6100:
	v_bfe_u32 v3, v26, 20, 1
	s_mov_b32 s30, exec_lo
	s_delay_alu instid0(VALU_DEP_1) | instskip(NEXT) | instid1(VALU_DEP_1)
	v_add3_u32 v3, v26, v3, 0x487ffff
	v_lshrrev_b32_e32 v3, 20, v3
	s_or_saveexec_b32 s31, vcc_lo
                                        ; implicit-def: $vcc_lo
	s_delay_alu instid0(SALU_CYCLE_1)
	s_xor_b32 exec_lo, exec_lo, s31
	s_cbranch_execz .LBB47_5376
.LBB47_6101:
	v_add_f32_e64 v3, 0x46000000, |v26|
	s_and_not1_b32 s30, s30, exec_lo
	s_delay_alu instid0(VALU_DEP_1) | instskip(NEXT) | instid1(VALU_DEP_1)
	v_and_b32_e32 v3, 0xff, v3
	v_cmp_ne_u32_e32 vcc_lo, 0, v3
	s_and_b32 s34, vcc_lo, exec_lo
	s_mov_b32 vcc_lo, 0
	s_or_b32 s30, s30, s34
	s_or_b32 exec_lo, exec_lo, s31
	v_mov_b32_e32 v4, vcc_lo
	s_and_saveexec_b32 vcc_lo, s30
	s_cbranch_execnz .LBB47_5377
	s_branch .LBB47_5378
.LBB47_6102:
	s_mov_b32 s39, s35
	s_mov_b32 s40, exec_lo
	v_cmpx_lt_i16_e32 25, v3
	s_xor_b32 s40, exec_lo, s40
	s_cbranch_execz .LBB47_6138
; %bb.6103:
	s_mov_b32 s41, s35
	s_mov_b32 s39, exec_lo
	v_cmpx_lt_i16_e32 28, v3
	s_xor_b32 s39, exec_lo, s39
	s_cbranch_execz .LBB47_6121
; %bb.6104:
	;; [unrolled: 6-line block ×3, first 2 shown]
	s_mov_b32 s42, 0
	s_mov_b32 s43, s35
	s_mov_b32 s0, exec_lo
	v_cmpx_lt_i16_e32 45, v3
	s_xor_b32 s0, exec_lo, s0
	s_cbranch_execz .LBB47_6109
; %bb.6106:
	s_mov_b32 s44, -1
	s_mov_b32 s43, exec_lo
	v_cmpx_eq_u16_e32 46, v3
	s_cbranch_execz .LBB47_6108
; %bb.6107:
	v_bfe_u32 v3, v20, 16, 1
	v_cmp_o_f32_e32 vcc_lo, v20, v20
	s_mov_b32 s42, exec_lo
	s_xor_b32 s44, exec_lo, -1
	s_delay_alu instid0(VALU_DEP_2) | instskip(NEXT) | instid1(VALU_DEP_1)
	v_add3_u32 v3, v20, v3, 0x7fff
	v_lshrrev_b32_e32 v3, 16, v3
	s_delay_alu instid0(VALU_DEP_1)
	v_cndmask_b32_e32 v3, 0x7fc0, v3, vcc_lo
	flat_store_b32 v[1:2], v3
.LBB47_6108:
	s_or_b32 exec_lo, exec_lo, s43
	s_delay_alu instid0(SALU_CYCLE_1)
	s_and_not1_b32 vcc_lo, s35, exec_lo
	s_and_b32 s43, s44, exec_lo
	s_and_b32 s42, s42, exec_lo
	s_or_b32 s43, vcc_lo, s43
                                        ; implicit-def: $vgpr3
                                        ; implicit-def: $vgpr1_vgpr2
                                        ; implicit-def: $vgpr20
.LBB47_6109:
	s_and_not1_saveexec_b32 s44, s0
	s_cbranch_execz .LBB47_6115
; %bb.6110:
	s_mov_b32 s46, -1
	s_mov_b32 s0, s42
	s_mov_b32 s45, exec_lo
	v_cmpx_eq_u16_e32 44, v3
	s_cbranch_execz .LBB47_6114
; %bb.6111:
	v_bfe_u32 v4, v20, 23, 8
	v_mov_b32_e32 v3, 0xff
	s_mov_b32 s46, exec_lo
	s_delay_alu instid0(VALU_DEP_2)
	v_cmpx_ne_u32_e32 0xff, v4
; %bb.6112:
	v_and_b32_e32 v3, 0x400000, v20
	v_and_or_b32 v4, 0x3fffff, v20, v4
	s_delay_alu instid0(VALU_DEP_2) | instskip(NEXT) | instid1(VALU_DEP_2)
	v_cmp_ne_u32_e32 vcc_lo, 0, v3
	v_cmp_ne_u32_e64 s0, 0, v4
	v_lshrrev_b32_e32 v3, 23, v20
	s_delay_alu instid0(VALU_DEP_2) | instskip(NEXT) | instid1(SALU_CYCLE_1)
	s_and_b32 s0, vcc_lo, s0
	v_cndmask_b32_e64 v4, 0, 1, s0
	s_delay_alu instid0(VALU_DEP_1)
	v_add_nc_u32_e32 v3, v3, v4
; %bb.6113:
	s_or_b32 exec_lo, exec_lo, s46
	s_delay_alu instid0(SALU_CYCLE_1)
	s_xor_b32 s46, exec_lo, -1
	s_or_b32 s0, s42, exec_lo
	flat_store_b8 v[1:2], v3
.LBB47_6114:
	s_or_b32 exec_lo, exec_lo, s45
	s_delay_alu instid0(SALU_CYCLE_1)
	s_and_not1_b32 vcc_lo, s43, exec_lo
	s_and_b32 s43, s46, exec_lo
	s_and_not1_b32 s42, s42, exec_lo
	s_and_b32 s0, s0, exec_lo
	s_or_b32 s43, vcc_lo, s43
	s_or_b32 s42, s42, s0
.LBB47_6115:
	s_or_b32 exec_lo, exec_lo, s44
	s_delay_alu instid0(SALU_CYCLE_1) | instskip(SKIP_1) | instid1(SALU_CYCLE_1)
	s_and_not1_b32 s0, s35, exec_lo
	s_and_b32 vcc_lo, s43, exec_lo
                                        ; implicit-def: $vgpr3
                                        ; implicit-def: $vgpr20
                                        ; implicit-def: $vgpr1_vgpr2
	s_or_b32 s43, s0, vcc_lo
	s_and_b32 s0, s42, exec_lo
.LBB47_6116:
	s_and_not1_saveexec_b32 s41, s41
	s_cbranch_execz .LBB47_6120
; %bb.6117:
	s_mov_b32 s45, -1
	s_mov_b32 s44, s0
	s_mov_b32 s42, exec_lo
	v_cmpx_eq_u16_e32 29, v3
	s_cbranch_execz .LBB47_6119
; %bb.6118:
	v_trunc_f32_e32 v3, v20
	s_xor_b32 s45, exec_lo, -1
	s_or_b32 s44, s0, exec_lo
	s_delay_alu instid0(VALU_DEP_1) | instskip(NEXT) | instid1(VALU_DEP_1)
	v_mul_f32_e32 v4, 0x2f800000, v3
	v_floor_f32_e32 v4, v4
	s_delay_alu instid0(VALU_DEP_1) | instskip(SKIP_1) | instid1(VALU_DEP_2)
	v_fmamk_f32 v3, v4, 0xcf800000, v3
	v_cvt_u32_f32_e32 v4, v4
	v_cvt_u32_f32_e32 v3, v3
	flat_store_b64 v[1:2], v[3:4]
.LBB47_6119:
	s_or_b32 exec_lo, exec_lo, s42
	s_delay_alu instid0(SALU_CYCLE_1)
	s_and_not1_b32 vcc_lo, s43, exec_lo
	s_and_b32 s42, s45, exec_lo
	s_and_not1_b32 s0, s0, exec_lo
	s_and_b32 s44, s44, exec_lo
	s_or_b32 s43, vcc_lo, s42
	s_or_b32 s0, s0, s44
.LBB47_6120:
	s_or_b32 exec_lo, exec_lo, s41
	s_delay_alu instid0(SALU_CYCLE_1)
	s_and_not1_b32 vcc_lo, s35, exec_lo
	s_and_b32 s41, s43, exec_lo
	s_and_b32 s0, s0, exec_lo
	s_or_b32 s41, vcc_lo, s41
                                        ; implicit-def: $vgpr1_vgpr2
                                        ; implicit-def: $vgpr3
                                        ; implicit-def: $vgpr20
.LBB47_6121:
	s_and_not1_saveexec_b32 s39, s39
	s_cbranch_execz .LBB47_6137
; %bb.6122:
	s_mov_b32 s42, exec_lo
	v_cmpx_lt_i16_e32 26, v3
	s_xor_b32 s42, exec_lo, s42
	s_cbranch_execz .LBB47_6128
; %bb.6123:
	v_cmp_lt_i16_e32 vcc_lo, 27, v3
	s_and_saveexec_b32 s43, vcc_lo
	s_delay_alu instid0(SALU_CYCLE_1)
	s_xor_b32 vcc_lo, exec_lo, s43
	s_cbranch_execz .LBB47_6125
; %bb.6124:
	v_cvt_u32_f32_e32 v3, v20
                                        ; implicit-def: $vgpr20
	flat_store_b32 v[1:2], v3
                                        ; implicit-def: $vgpr1_vgpr2
.LBB47_6125:
	s_and_not1_saveexec_b32 vcc_lo, vcc_lo
	s_cbranch_execz .LBB47_6127
; %bb.6126:
	v_cvt_u32_f32_e32 v3, v20
	flat_store_b16 v[1:2], v3
.LBB47_6127:
	s_or_b32 exec_lo, exec_lo, vcc_lo
                                        ; implicit-def: $vgpr1_vgpr2
                                        ; implicit-def: $vgpr20
.LBB47_6128:
	s_and_not1_saveexec_b32 s42, s42
	s_cbranch_execz .LBB47_6136
; %bb.6129:
	v_and_b32_e32 v3, 0x7fffffff, v20
	v_mov_b32_e32 v4, 0x80
	s_mov_b32 s43, exec_lo
	s_delay_alu instid0(VALU_DEP_2)
	v_cmpx_gt_u32_e32 0x43800000, v3
	s_cbranch_execz .LBB47_6135
; %bb.6130:
	v_cmp_lt_u32_e32 vcc_lo, 0x3bffffff, v3
	s_mov_b32 s44, 0
                                        ; implicit-def: $vgpr3
	s_and_saveexec_b32 s45, vcc_lo
	s_delay_alu instid0(SALU_CYCLE_1)
	s_xor_b32 vcc_lo, exec_lo, s45
	s_cbranch_execnz .LBB47_6856
; %bb.6131:
	s_or_saveexec_b32 s45, vcc_lo
                                        ; implicit-def: $vcc_lo
	s_delay_alu instid0(SALU_CYCLE_1)
	s_xor_b32 exec_lo, exec_lo, s45
	s_cbranch_execnz .LBB47_6857
.LBB47_6132:
	s_or_b32 exec_lo, exec_lo, s45
	v_mov_b32_e32 v4, vcc_lo
	s_and_saveexec_b32 vcc_lo, s44
.LBB47_6133:
	v_lshrrev_b32_e32 v4, 24, v20
	s_delay_alu instid0(VALU_DEP_1)
	v_and_or_b32 v4, 0x80, v4, v3
.LBB47_6134:
	s_or_b32 exec_lo, exec_lo, vcc_lo
.LBB47_6135:
	s_delay_alu instid0(SALU_CYCLE_1)
	s_or_b32 exec_lo, exec_lo, s43
	flat_store_b8 v[1:2], v4
.LBB47_6136:
	s_or_b32 exec_lo, exec_lo, s42
	s_delay_alu instid0(SALU_CYCLE_1)
	s_or_b32 s0, s0, exec_lo
.LBB47_6137:
	s_or_b32 exec_lo, exec_lo, s39
	s_delay_alu instid0(SALU_CYCLE_1)
	s_and_not1_b32 vcc_lo, s35, exec_lo
	s_and_b32 s39, s41, exec_lo
	s_and_b32 s0, s0, exec_lo
	s_or_b32 s39, vcc_lo, s39
                                        ; implicit-def: $vgpr3
                                        ; implicit-def: $vgpr20
                                        ; implicit-def: $vgpr1_vgpr2
.LBB47_6138:
	s_and_not1_saveexec_b32 s40, s40
	s_cbranch_execz .LBB47_6182
; %bb.6139:
	s_mov_b32 s42, s0
	s_mov_b32 s41, exec_lo
	v_cmpx_lt_i16_e32 22, v3
	s_xor_b32 s41, exec_lo, s41
	s_cbranch_execz .LBB47_6171
; %bb.6140:
	s_mov_b32 s42, exec_lo
	v_cmpx_lt_i16_e32 23, v3
	s_xor_b32 s42, exec_lo, s42
	s_cbranch_execz .LBB47_6160
; %bb.6141:
	;; [unrolled: 5-line block ×3, first 2 shown]
	v_and_b32_e32 v3, 0x7fffffff, v20
	v_mov_b32_e32 v4, 0x80
	s_mov_b32 s44, exec_lo
	s_delay_alu instid0(VALU_DEP_2)
	v_cmpx_gt_u32_e32 0x47800000, v3
	s_cbranch_execz .LBB47_6148
; %bb.6143:
	v_cmp_lt_u32_e32 vcc_lo, 0x37ffffff, v3
	s_mov_b32 s45, 0
                                        ; implicit-def: $vgpr3
	s_and_saveexec_b32 s46, vcc_lo
	s_delay_alu instid0(SALU_CYCLE_1)
	s_xor_b32 vcc_lo, exec_lo, s46
	s_cbranch_execnz .LBB47_6980
; %bb.6144:
	s_or_saveexec_b32 s46, vcc_lo
                                        ; implicit-def: $vcc_lo
	s_delay_alu instid0(SALU_CYCLE_1)
	s_xor_b32 exec_lo, exec_lo, s46
	s_cbranch_execnz .LBB47_6981
.LBB47_6145:
	s_or_b32 exec_lo, exec_lo, s46
	v_mov_b32_e32 v4, vcc_lo
	s_and_saveexec_b32 vcc_lo, s45
.LBB47_6146:
	v_lshrrev_b32_e32 v4, 24, v20
	s_delay_alu instid0(VALU_DEP_1)
	v_and_or_b32 v4, 0x80, v4, v3
.LBB47_6147:
	s_or_b32 exec_lo, exec_lo, vcc_lo
.LBB47_6148:
	s_delay_alu instid0(SALU_CYCLE_1)
	s_or_b32 exec_lo, exec_lo, s44
	flat_store_b8 v[1:2], v4
                                        ; implicit-def: $vgpr20
                                        ; implicit-def: $vgpr1_vgpr2
.LBB47_6149:
	s_and_not1_saveexec_b32 s43, s43
	s_cbranch_execz .LBB47_6159
; %bb.6150:
	v_and_b32_e32 v4, 0x7fffffff, v20
	s_mov_b32 s44, exec_lo
                                        ; implicit-def: $vgpr3
	s_delay_alu instid0(VALU_DEP_1)
	v_cmpx_gt_u32_e32 0x43f00000, v4
	s_xor_b32 s44, exec_lo, s44
	s_cbranch_execz .LBB47_6156
; %bb.6151:
	s_mov_b32 s45, exec_lo
                                        ; implicit-def: $vgpr3
	v_cmpx_lt_u32_e32 0x3c7fffff, v4
	s_xor_b32 s45, exec_lo, s45
; %bb.6152:
	v_bfe_u32 v3, v20, 20, 1
	s_delay_alu instid0(VALU_DEP_1) | instskip(NEXT) | instid1(VALU_DEP_1)
	v_add3_u32 v3, v20, v3, 0x407ffff
	v_and_b32_e32 v4, 0xff00000, v3
	v_lshrrev_b32_e32 v3, 20, v3
	s_delay_alu instid0(VALU_DEP_2) | instskip(NEXT) | instid1(VALU_DEP_2)
	v_cmp_ne_u32_e32 vcc_lo, 0x7f00000, v4
	v_cndmask_b32_e32 v3, 0x7e, v3, vcc_lo
; %bb.6153:
	s_and_not1_saveexec_b32 vcc_lo, s45
; %bb.6154:
	v_add_f32_e64 v3, 0x46800000, |v20|
; %bb.6155:
	s_or_b32 exec_lo, exec_lo, vcc_lo
                                        ; implicit-def: $vgpr4
.LBB47_6156:
	s_and_not1_saveexec_b32 s44, s44
; %bb.6157:
	v_mov_b32_e32 v3, 0x7f
	v_cmp_lt_u32_e32 vcc_lo, 0x7f800000, v4
	s_delay_alu instid0(VALU_DEP_2)
	v_cndmask_b32_e32 v3, 0x7e, v3, vcc_lo
; %bb.6158:
	s_or_b32 exec_lo, exec_lo, s44
	v_lshrrev_b32_e32 v4, 24, v20
	s_delay_alu instid0(VALU_DEP_1)
	v_and_or_b32 v3, 0x80, v4, v3
	flat_store_b8 v[1:2], v3
.LBB47_6159:
	s_or_b32 exec_lo, exec_lo, s43
                                        ; implicit-def: $vgpr20
                                        ; implicit-def: $vgpr1_vgpr2
.LBB47_6160:
	s_and_not1_saveexec_b32 s42, s42
	s_cbranch_execz .LBB47_6170
; %bb.6161:
	v_and_b32_e32 v4, 0x7fffffff, v20
	s_mov_b32 s43, exec_lo
                                        ; implicit-def: $vgpr3
	s_delay_alu instid0(VALU_DEP_1)
	v_cmpx_gt_u32_e32 0x47800000, v4
	s_xor_b32 s43, exec_lo, s43
	s_cbranch_execz .LBB47_6167
; %bb.6162:
	v_cmp_lt_u32_e32 vcc_lo, 0x387fffff, v4
                                        ; implicit-def: $vgpr3
	s_and_saveexec_b32 s44, vcc_lo
	s_delay_alu instid0(SALU_CYCLE_1)
	s_xor_b32 vcc_lo, exec_lo, s44
; %bb.6163:
	v_bfe_u32 v3, v20, 21, 1
	s_delay_alu instid0(VALU_DEP_1) | instskip(NEXT) | instid1(VALU_DEP_1)
	v_add3_u32 v3, v20, v3, 0x80fffff
	v_lshrrev_b32_e32 v3, 21, v3
; %bb.6164:
	s_and_not1_saveexec_b32 vcc_lo, vcc_lo
; %bb.6165:
	v_add_f32_e64 v3, 0x43000000, |v20|
; %bb.6166:
	s_or_b32 exec_lo, exec_lo, vcc_lo
                                        ; implicit-def: $vgpr4
.LBB47_6167:
	s_and_not1_saveexec_b32 s43, s43
; %bb.6168:
	v_mov_b32_e32 v3, 0x7f
	v_cmp_lt_u32_e32 vcc_lo, 0x7f800000, v4
	s_delay_alu instid0(VALU_DEP_2)
	v_cndmask_b32_e32 v3, 0x7c, v3, vcc_lo
; %bb.6169:
	s_or_b32 exec_lo, exec_lo, s43
	v_lshrrev_b32_e32 v4, 24, v20
	s_delay_alu instid0(VALU_DEP_1)
	v_and_or_b32 v3, 0x80, v4, v3
	flat_store_b8 v[1:2], v3
.LBB47_6170:
	s_or_b32 exec_lo, exec_lo, s42
	s_delay_alu instid0(SALU_CYCLE_1)
	s_or_b32 s42, s0, exec_lo
                                        ; implicit-def: $vgpr3
                                        ; implicit-def: $vgpr20
                                        ; implicit-def: $vgpr1_vgpr2
.LBB47_6171:
	s_or_saveexec_b32 s41, s41
	s_mov_b32 vcc_lo, s39
	s_xor_b32 exec_lo, exec_lo, s41
	s_cbranch_execz .LBB47_6181
; %bb.6172:
	s_mov_b32 s43, s42
	s_mov_b32 s44, s39
	s_mov_b32 s45, exec_lo
	v_cmpx_lt_i16_e32 14, v3
	s_xor_b32 s45, exec_lo, s45
	s_cbranch_execz .LBB47_6176
; %bb.6173:
	s_mov_b32 s46, -1
	s_mov_b32 s43, s42
	s_mov_b32 s44, exec_lo
	v_cmpx_eq_u16_e32 15, v3
	s_cbranch_execz .LBB47_6175
; %bb.6174:
	v_bfe_u32 v3, v20, 16, 1
	v_cmp_o_f32_e32 vcc_lo, v20, v20
	s_xor_b32 s46, exec_lo, -1
	s_or_b32 s43, s42, exec_lo
	s_delay_alu instid0(VALU_DEP_2) | instskip(NEXT) | instid1(VALU_DEP_1)
	v_add3_u32 v3, v20, v3, 0x7fff
	v_lshrrev_b32_e32 v3, 16, v3
	s_delay_alu instid0(VALU_DEP_1)
	v_cndmask_b32_e32 v3, 0x7fc0, v3, vcc_lo
	flat_store_b16 v[1:2], v3
.LBB47_6175:
	s_or_b32 exec_lo, exec_lo, s44
	s_delay_alu instid0(SALU_CYCLE_1)
	s_and_not1_b32 vcc_lo, s39, exec_lo
	s_and_b32 s44, s46, exec_lo
	s_and_not1_b32 s46, s42, exec_lo
	s_and_b32 s43, s43, exec_lo
	s_or_b32 s44, vcc_lo, s44
	s_or_b32 s43, s46, s43
                                        ; implicit-def: $vgpr3
                                        ; implicit-def: $vgpr20
                                        ; implicit-def: $vgpr1_vgpr2
.LBB47_6176:
	s_and_not1_saveexec_b32 s45, s45
	s_cbranch_execz .LBB47_6180
; %bb.6177:
	s_mov_b32 s47, -1
	s_mov_b32 s46, s43
	s_mov_b32 s48, exec_lo
	v_cmpx_eq_u16_e32 11, v3
	s_cbranch_execz .LBB47_6179
; %bb.6178:
	v_cmp_neq_f32_e32 vcc_lo, 0, v20
	s_xor_b32 s47, exec_lo, -1
	s_or_b32 s46, s43, exec_lo
	v_cndmask_b32_e64 v3, 0, 1, vcc_lo
	flat_store_b8 v[1:2], v3
.LBB47_6179:
	s_or_b32 exec_lo, exec_lo, s48
	s_delay_alu instid0(SALU_CYCLE_1)
	s_and_not1_b32 vcc_lo, s44, exec_lo
	s_and_b32 s44, s47, exec_lo
	s_and_not1_b32 s43, s43, exec_lo
	s_and_b32 s46, s46, exec_lo
	s_or_b32 s44, vcc_lo, s44
	s_or_b32 s43, s43, s46
.LBB47_6180:
	s_or_b32 exec_lo, exec_lo, s45
	s_delay_alu instid0(SALU_CYCLE_1)
	s_and_not1_b32 vcc_lo, s39, exec_lo
	s_and_b32 s44, s44, exec_lo
	s_and_not1_b32 s42, s42, exec_lo
	s_and_b32 s43, s43, exec_lo
	s_or_b32 vcc_lo, vcc_lo, s44
	s_or_b32 s42, s42, s43
.LBB47_6181:
	s_or_b32 exec_lo, exec_lo, s41
	s_delay_alu instid0(SALU_CYCLE_1)
	s_and_not1_b32 s39, s39, exec_lo
	s_and_b32 vcc_lo, vcc_lo, exec_lo
	s_and_not1_b32 s0, s0, exec_lo
	s_and_b32 s41, s42, exec_lo
	s_or_b32 s39, s39, vcc_lo
	s_or_b32 s0, s0, s41
.LBB47_6182:
	s_or_b32 exec_lo, exec_lo, s40
	s_delay_alu instid0(SALU_CYCLE_1)
	s_and_not1_b32 vcc_lo, s35, exec_lo
	s_and_b32 s39, s39, exec_lo
	s_and_b32 s0, s0, exec_lo
	s_or_b32 s39, vcc_lo, s39
                                        ; implicit-def: $vgpr3
                                        ; implicit-def: $vgpr20
                                        ; implicit-def: $vgpr1_vgpr2
	s_and_not1_saveexec_b32 s37, s37
	s_cbranch_execz .LBB47_3951
.LBB47_6183:
	s_mov_b32 s40, exec_lo
	v_cmpx_lt_i16_e32 4, v3
	s_xor_b32 s40, exec_lo, s40
	s_cbranch_execz .LBB47_6205
; %bb.6184:
	s_mov_b32 s41, exec_lo
	v_cmpx_lt_i16_e32 7, v3
	s_xor_b32 s41, exec_lo, s41
	s_cbranch_execz .LBB47_6194
; %bb.6185:
	;; [unrolled: 5-line block ×3, first 2 shown]
	v_cmp_lt_i16_e32 vcc_lo, 9, v3
	s_and_saveexec_b32 s43, vcc_lo
	s_delay_alu instid0(SALU_CYCLE_1)
	s_xor_b32 vcc_lo, exec_lo, s43
	s_cbranch_execz .LBB47_6188
; %bb.6187:
	v_cvt_f64_f32_e32 v[20:21], v20
	v_mov_b32_e32 v22, 0
	s_delay_alu instid0(VALU_DEP_1)
	v_mov_b32_e32 v23, v22
	flat_store_b128 v[1:2], v[20:23]
                                        ; implicit-def: $vgpr20
                                        ; implicit-def: $vgpr1_vgpr2
.LBB47_6188:
	s_and_not1_saveexec_b32 vcc_lo, vcc_lo
	s_cbranch_execz .LBB47_6190
; %bb.6189:
	v_mov_b32_e32 v21, 0
	flat_store_b64 v[1:2], v[20:21]
.LBB47_6190:
	s_or_b32 exec_lo, exec_lo, vcc_lo
                                        ; implicit-def: $vgpr20
                                        ; implicit-def: $vgpr1_vgpr2
.LBB47_6191:
	s_and_not1_saveexec_b32 vcc_lo, s42
	s_cbranch_execz .LBB47_6193
; %bb.6192:
	v_cvt_f16_f32_e32 v3, v20
	s_delay_alu instid0(VALU_DEP_1)
	v_and_b32_e32 v3, 0xffff, v3
	flat_store_b32 v[1:2], v3
.LBB47_6193:
	s_or_b32 exec_lo, exec_lo, vcc_lo
                                        ; implicit-def: $vgpr20
                                        ; implicit-def: $vgpr1_vgpr2
                                        ; implicit-def: $vgpr3
.LBB47_6194:
	s_and_not1_saveexec_b32 s41, s41
	s_cbranch_execz .LBB47_6204
; %bb.6195:
	s_mov_b32 s42, exec_lo
	v_cmpx_lt_i16_e32 5, v3
	s_xor_b32 s42, exec_lo, s42
	s_cbranch_execz .LBB47_6201
; %bb.6196:
	v_cmp_lt_i16_e32 vcc_lo, 6, v3
	s_and_saveexec_b32 s43, vcc_lo
	s_delay_alu instid0(SALU_CYCLE_1)
	s_xor_b32 vcc_lo, exec_lo, s43
	s_cbranch_execz .LBB47_6198
; %bb.6197:
	v_cvt_f64_f32_e32 v[3:4], v20
                                        ; implicit-def: $vgpr20
	flat_store_b64 v[1:2], v[3:4]
                                        ; implicit-def: $vgpr1_vgpr2
.LBB47_6198:
	s_and_not1_saveexec_b32 vcc_lo, vcc_lo
	s_cbranch_execz .LBB47_6200
; %bb.6199:
	flat_store_b32 v[1:2], v20
.LBB47_6200:
	s_or_b32 exec_lo, exec_lo, vcc_lo
                                        ; implicit-def: $vgpr20
                                        ; implicit-def: $vgpr1_vgpr2
.LBB47_6201:
	s_and_not1_saveexec_b32 vcc_lo, s42
	s_cbranch_execz .LBB47_6203
; %bb.6202:
	v_cvt_f16_f32_e32 v3, v20
	flat_store_b16 v[1:2], v3
.LBB47_6203:
	s_or_b32 exec_lo, exec_lo, vcc_lo
.LBB47_6204:
	s_delay_alu instid0(SALU_CYCLE_1)
	s_or_b32 exec_lo, exec_lo, s41
                                        ; implicit-def: $vgpr3
                                        ; implicit-def: $vgpr20
                                        ; implicit-def: $vgpr1_vgpr2
.LBB47_6205:
	s_and_not1_saveexec_b32 s40, s40
	s_cbranch_execz .LBB47_6223
; %bb.6206:
	s_mov_b32 s41, exec_lo
	v_cmpx_lt_i16_e32 1, v3
	s_xor_b32 s41, exec_lo, s41
	s_cbranch_execz .LBB47_6216
; %bb.6207:
	s_mov_b32 s42, exec_lo
	v_cmpx_lt_i16_e32 2, v3
	s_xor_b32 s42, exec_lo, s42
	;; [unrolled: 5-line block ×3, first 2 shown]
	s_cbranch_execz .LBB47_6210
; %bb.6209:
	v_trunc_f32_e32 v3, v20
                                        ; implicit-def: $vgpr20
	s_delay_alu instid0(VALU_DEP_1) | instskip(SKIP_1) | instid1(VALU_DEP_2)
	v_mul_f32_e64 v4, 0x2f800000, |v3|
	v_ashrrev_i32_e32 v10, 31, v3
	v_floor_f32_e32 v4, v4
	s_delay_alu instid0(VALU_DEP_1) | instskip(SKIP_1) | instid1(VALU_DEP_2)
	v_fma_f32 v5, 0xcf800000, v4, |v3|
	v_cvt_u32_f32_e32 v4, v4
	v_cvt_u32_f32_e32 v3, v5
	s_delay_alu instid0(VALU_DEP_2) | instskip(NEXT) | instid1(VALU_DEP_2)
	v_xor_b32_e32 v4, v4, v10
	v_xor_b32_e32 v3, v3, v10
	s_delay_alu instid0(VALU_DEP_1) | instskip(NEXT) | instid1(VALU_DEP_3)
	v_sub_co_u32 v3, vcc_lo, v3, v10
	v_sub_co_ci_u32_e32 v4, vcc_lo, v4, v10, vcc_lo
	flat_store_b64 v[1:2], v[3:4]
                                        ; implicit-def: $vgpr1_vgpr2
.LBB47_6210:
	s_and_not1_saveexec_b32 vcc_lo, s43
	s_cbranch_execz .LBB47_6212
; %bb.6211:
	v_cvt_i32_f32_e32 v3, v20
	flat_store_b32 v[1:2], v3
.LBB47_6212:
	s_or_b32 exec_lo, exec_lo, vcc_lo
                                        ; implicit-def: $vgpr20
                                        ; implicit-def: $vgpr1_vgpr2
.LBB47_6213:
	s_and_not1_saveexec_b32 vcc_lo, s42
	s_cbranch_execz .LBB47_6215
; %bb.6214:
	v_cvt_i32_f32_e32 v3, v20
	flat_store_b16 v[1:2], v3
.LBB47_6215:
	s_or_b32 exec_lo, exec_lo, vcc_lo
                                        ; implicit-def: $vgpr20
                                        ; implicit-def: $vgpr1_vgpr2
                                        ; implicit-def: $vgpr3
.LBB47_6216:
	s_and_not1_saveexec_b32 s41, s41
	s_cbranch_execz .LBB47_6222
; %bb.6217:
	v_cmp_lt_i16_e32 vcc_lo, 0, v3
	s_and_saveexec_b32 s42, vcc_lo
	s_delay_alu instid0(SALU_CYCLE_1)
	s_xor_b32 vcc_lo, exec_lo, s42
	s_cbranch_execz .LBB47_6219
; %bb.6218:
	v_cvt_i32_f32_e32 v3, v20
                                        ; implicit-def: $vgpr20
	flat_store_b8 v[1:2], v3
                                        ; implicit-def: $vgpr1_vgpr2
.LBB47_6219:
	s_and_not1_saveexec_b32 vcc_lo, vcc_lo
	s_cbranch_execz .LBB47_6221
; %bb.6220:
	v_trunc_f32_e32 v3, v20
	s_delay_alu instid0(VALU_DEP_1) | instskip(NEXT) | instid1(VALU_DEP_1)
	v_mul_f32_e64 v4, 0x2f800000, |v3|
	v_floor_f32_e32 v4, v4
	s_delay_alu instid0(VALU_DEP_1) | instskip(SKIP_1) | instid1(VALU_DEP_2)
	v_fma_f32 v4, 0xcf800000, v4, |v3|
	v_ashrrev_i32_e32 v3, 31, v3
	v_cvt_u32_f32_e32 v4, v4
	s_delay_alu instid0(VALU_DEP_1) | instskip(NEXT) | instid1(VALU_DEP_1)
	v_xor_b32_e32 v4, v4, v3
	v_sub_nc_u32_e32 v3, v4, v3
	flat_store_b8 v[1:2], v3
.LBB47_6221:
	s_or_b32 exec_lo, exec_lo, vcc_lo
.LBB47_6222:
	s_delay_alu instid0(SALU_CYCLE_1)
	s_or_b32 exec_lo, exec_lo, s41
.LBB47_6223:
	s_delay_alu instid0(SALU_CYCLE_1) | instskip(NEXT) | instid1(SALU_CYCLE_1)
	s_or_b32 exec_lo, exec_lo, s40
	s_or_b32 s0, s0, exec_lo
	s_or_b32 exec_lo, exec_lo, s37
	s_mov_b32 vcc_lo, 0
	s_and_saveexec_b32 s37, s0
	s_cbranch_execnz .LBB47_3952
	s_branch .LBB47_3953
.LBB47_6224:
	v_bfe_u32 v3, v26, 21, 1
	s_mov_b32 s31, exec_lo
	s_delay_alu instid0(VALU_DEP_1) | instskip(NEXT) | instid1(VALU_DEP_1)
	v_add3_u32 v3, v26, v3, 0x88fffff
	v_lshrrev_b32_e32 v3, 21, v3
	s_or_saveexec_b32 s34, vcc_lo
                                        ; implicit-def: $vcc_lo
	s_delay_alu instid0(SALU_CYCLE_1)
	s_xor_b32 exec_lo, exec_lo, s34
	s_cbranch_execz .LBB47_5389
.LBB47_6225:
	v_add_f32_e64 v3, 0x42800000, |v26|
	s_and_not1_b32 s31, s31, exec_lo
	s_delay_alu instid0(VALU_DEP_1) | instskip(NEXT) | instid1(VALU_DEP_1)
	v_and_b32_e32 v3, 0xff, v3
	v_cmp_ne_u32_e32 vcc_lo, 0, v3
	s_and_b32 s35, vcc_lo, exec_lo
	s_mov_b32 vcc_lo, 0
	s_or_b32 s31, s31, s35
	s_or_b32 exec_lo, exec_lo, s34
	v_mov_b32_e32 v4, vcc_lo
	s_and_saveexec_b32 vcc_lo, s31
	s_cbranch_execnz .LBB47_5390
	s_branch .LBB47_5391
.LBB47_6226:
	v_bfe_u32 v3, v25, 20, 1
	s_mov_b32 s34, exec_lo
	s_delay_alu instid0(VALU_DEP_1) | instskip(NEXT) | instid1(VALU_DEP_1)
	v_add3_u32 v3, v25, v3, 0x487ffff
	v_lshrrev_b32_e32 v3, 20, v3
	s_or_saveexec_b32 s35, vcc_lo
                                        ; implicit-def: $vcc_lo
	s_delay_alu instid0(SALU_CYCLE_1)
	s_xor_b32 exec_lo, exec_lo, s35
	s_cbranch_execz .LBB47_5502
.LBB47_6227:
	v_add_f32_e64 v3, 0x46000000, |v25|
	s_and_not1_b32 s34, s34, exec_lo
	s_delay_alu instid0(VALU_DEP_1) | instskip(NEXT) | instid1(VALU_DEP_1)
	v_and_b32_e32 v3, 0xff, v3
	v_cmp_ne_u32_e32 vcc_lo, 0, v3
	s_and_b32 s36, vcc_lo, exec_lo
	s_mov_b32 vcc_lo, 0
	s_or_b32 s34, s34, s36
	s_or_b32 exec_lo, exec_lo, s35
	v_mov_b32_e32 v4, vcc_lo
	s_and_saveexec_b32 vcc_lo, s34
	s_cbranch_execnz .LBB47_5503
	s_branch .LBB47_5504
.LBB47_6228:
	s_mov_b32 s41, s37
	s_mov_b32 s42, exec_lo
	v_cmpx_lt_i16_e32 25, v3
	s_xor_b32 s42, exec_lo, s42
	s_cbranch_execz .LBB47_6264
; %bb.6229:
	s_mov_b32 s43, s37
	s_mov_b32 s41, exec_lo
	v_cmpx_lt_i16_e32 28, v3
	s_xor_b32 s41, exec_lo, s41
	s_cbranch_execz .LBB47_6247
; %bb.6230:
	;; [unrolled: 6-line block ×3, first 2 shown]
	s_mov_b32 s44, 0
	s_mov_b32 s45, s37
	s_mov_b32 s0, exec_lo
	v_cmpx_lt_i16_e32 45, v3
	s_xor_b32 s0, exec_lo, s0
	s_cbranch_execz .LBB47_6235
; %bb.6232:
	s_mov_b32 s46, -1
	s_mov_b32 s45, exec_lo
	v_cmpx_eq_u16_e32 46, v3
	s_cbranch_execz .LBB47_6234
; %bb.6233:
	v_bfe_u32 v3, v19, 16, 1
	v_cmp_o_f32_e32 vcc_lo, v19, v19
	s_mov_b32 s44, exec_lo
	s_xor_b32 s46, exec_lo, -1
	s_delay_alu instid0(VALU_DEP_2) | instskip(NEXT) | instid1(VALU_DEP_1)
	v_add3_u32 v3, v19, v3, 0x7fff
	v_lshrrev_b32_e32 v3, 16, v3
	s_delay_alu instid0(VALU_DEP_1)
	v_cndmask_b32_e32 v3, 0x7fc0, v3, vcc_lo
	flat_store_b32 v[1:2], v3
.LBB47_6234:
	s_or_b32 exec_lo, exec_lo, s45
	s_delay_alu instid0(SALU_CYCLE_1)
	s_and_not1_b32 vcc_lo, s37, exec_lo
	s_and_b32 s45, s46, exec_lo
	s_and_b32 s44, s44, exec_lo
	s_or_b32 s45, vcc_lo, s45
                                        ; implicit-def: $vgpr3
                                        ; implicit-def: $vgpr1_vgpr2
                                        ; implicit-def: $vgpr19
.LBB47_6235:
	s_and_not1_saveexec_b32 s46, s0
	s_cbranch_execz .LBB47_6241
; %bb.6236:
	s_mov_b32 s48, -1
	s_mov_b32 s0, s44
	s_mov_b32 s47, exec_lo
	v_cmpx_eq_u16_e32 44, v3
	s_cbranch_execz .LBB47_6240
; %bb.6237:
	v_bfe_u32 v4, v19, 23, 8
	v_mov_b32_e32 v3, 0xff
	s_mov_b32 s48, exec_lo
	s_delay_alu instid0(VALU_DEP_2)
	v_cmpx_ne_u32_e32 0xff, v4
; %bb.6238:
	v_and_b32_e32 v3, 0x400000, v19
	v_and_or_b32 v4, 0x3fffff, v19, v4
	s_delay_alu instid0(VALU_DEP_2) | instskip(NEXT) | instid1(VALU_DEP_2)
	v_cmp_ne_u32_e32 vcc_lo, 0, v3
	v_cmp_ne_u32_e64 s0, 0, v4
	v_lshrrev_b32_e32 v3, 23, v19
	s_delay_alu instid0(VALU_DEP_2) | instskip(NEXT) | instid1(SALU_CYCLE_1)
	s_and_b32 s0, vcc_lo, s0
	v_cndmask_b32_e64 v4, 0, 1, s0
	s_delay_alu instid0(VALU_DEP_1)
	v_add_nc_u32_e32 v3, v3, v4
; %bb.6239:
	s_or_b32 exec_lo, exec_lo, s48
	s_delay_alu instid0(SALU_CYCLE_1)
	s_xor_b32 s48, exec_lo, -1
	s_or_b32 s0, s44, exec_lo
	flat_store_b8 v[1:2], v3
.LBB47_6240:
	s_or_b32 exec_lo, exec_lo, s47
	s_delay_alu instid0(SALU_CYCLE_1)
	s_and_not1_b32 vcc_lo, s45, exec_lo
	s_and_b32 s45, s48, exec_lo
	s_and_not1_b32 s44, s44, exec_lo
	s_and_b32 s0, s0, exec_lo
	s_or_b32 s45, vcc_lo, s45
	s_or_b32 s44, s44, s0
.LBB47_6241:
	s_or_b32 exec_lo, exec_lo, s46
	s_delay_alu instid0(SALU_CYCLE_1) | instskip(SKIP_1) | instid1(SALU_CYCLE_1)
	s_and_not1_b32 s0, s37, exec_lo
	s_and_b32 vcc_lo, s45, exec_lo
                                        ; implicit-def: $vgpr3
                                        ; implicit-def: $vgpr19
                                        ; implicit-def: $vgpr1_vgpr2
	s_or_b32 s45, s0, vcc_lo
	s_and_b32 s0, s44, exec_lo
.LBB47_6242:
	s_and_not1_saveexec_b32 s43, s43
	s_cbranch_execz .LBB47_6246
; %bb.6243:
	s_mov_b32 s47, -1
	s_mov_b32 s46, s0
	s_mov_b32 s44, exec_lo
	v_cmpx_eq_u16_e32 29, v3
	s_cbranch_execz .LBB47_6245
; %bb.6244:
	v_trunc_f32_e32 v3, v19
	s_xor_b32 s47, exec_lo, -1
	s_or_b32 s46, s0, exec_lo
	s_delay_alu instid0(VALU_DEP_1) | instskip(NEXT) | instid1(VALU_DEP_1)
	v_mul_f32_e32 v4, 0x2f800000, v3
	v_floor_f32_e32 v4, v4
	s_delay_alu instid0(VALU_DEP_1) | instskip(SKIP_1) | instid1(VALU_DEP_2)
	v_fmamk_f32 v3, v4, 0xcf800000, v3
	v_cvt_u32_f32_e32 v4, v4
	v_cvt_u32_f32_e32 v3, v3
	flat_store_b64 v[1:2], v[3:4]
.LBB47_6245:
	s_or_b32 exec_lo, exec_lo, s44
	s_delay_alu instid0(SALU_CYCLE_1)
	s_and_not1_b32 vcc_lo, s45, exec_lo
	s_and_b32 s44, s47, exec_lo
	s_and_not1_b32 s0, s0, exec_lo
	s_and_b32 s46, s46, exec_lo
	s_or_b32 s45, vcc_lo, s44
	s_or_b32 s0, s0, s46
.LBB47_6246:
	s_or_b32 exec_lo, exec_lo, s43
	s_delay_alu instid0(SALU_CYCLE_1)
	s_and_not1_b32 vcc_lo, s37, exec_lo
	s_and_b32 s43, s45, exec_lo
	s_and_b32 s0, s0, exec_lo
	s_or_b32 s43, vcc_lo, s43
                                        ; implicit-def: $vgpr1_vgpr2
                                        ; implicit-def: $vgpr3
                                        ; implicit-def: $vgpr19
.LBB47_6247:
	s_and_not1_saveexec_b32 s41, s41
	s_cbranch_execz .LBB47_6263
; %bb.6248:
	s_mov_b32 s44, exec_lo
	v_cmpx_lt_i16_e32 26, v3
	s_xor_b32 s44, exec_lo, s44
	s_cbranch_execz .LBB47_6254
; %bb.6249:
	v_cmp_lt_i16_e32 vcc_lo, 27, v3
	s_and_saveexec_b32 s45, vcc_lo
	s_delay_alu instid0(SALU_CYCLE_1)
	s_xor_b32 vcc_lo, exec_lo, s45
	s_cbranch_execz .LBB47_6251
; %bb.6250:
	v_cvt_u32_f32_e32 v3, v19
                                        ; implicit-def: $vgpr19
	flat_store_b32 v[1:2], v3
                                        ; implicit-def: $vgpr1_vgpr2
.LBB47_6251:
	s_and_not1_saveexec_b32 vcc_lo, vcc_lo
	s_cbranch_execz .LBB47_6253
; %bb.6252:
	v_cvt_u32_f32_e32 v3, v19
	flat_store_b16 v[1:2], v3
.LBB47_6253:
	s_or_b32 exec_lo, exec_lo, vcc_lo
                                        ; implicit-def: $vgpr1_vgpr2
                                        ; implicit-def: $vgpr19
.LBB47_6254:
	s_and_not1_saveexec_b32 s44, s44
	s_cbranch_execz .LBB47_6262
; %bb.6255:
	v_and_b32_e32 v3, 0x7fffffff, v19
	v_mov_b32_e32 v4, 0x80
	s_mov_b32 s45, exec_lo
	s_delay_alu instid0(VALU_DEP_2)
	v_cmpx_gt_u32_e32 0x43800000, v3
	s_cbranch_execz .LBB47_6261
; %bb.6256:
	v_cmp_lt_u32_e32 vcc_lo, 0x3bffffff, v3
	s_mov_b32 s46, 0
                                        ; implicit-def: $vgpr3
	s_and_saveexec_b32 s47, vcc_lo
	s_delay_alu instid0(SALU_CYCLE_1)
	s_xor_b32 vcc_lo, exec_lo, s47
	s_cbranch_execnz .LBB47_6982
; %bb.6257:
	s_or_saveexec_b32 s47, vcc_lo
                                        ; implicit-def: $vcc_lo
	s_delay_alu instid0(SALU_CYCLE_1)
	s_xor_b32 exec_lo, exec_lo, s47
	s_cbranch_execnz .LBB47_6983
.LBB47_6258:
	s_or_b32 exec_lo, exec_lo, s47
	v_mov_b32_e32 v4, vcc_lo
	s_and_saveexec_b32 vcc_lo, s46
.LBB47_6259:
	v_lshrrev_b32_e32 v4, 24, v19
	s_delay_alu instid0(VALU_DEP_1)
	v_and_or_b32 v4, 0x80, v4, v3
.LBB47_6260:
	s_or_b32 exec_lo, exec_lo, vcc_lo
.LBB47_6261:
	s_delay_alu instid0(SALU_CYCLE_1)
	s_or_b32 exec_lo, exec_lo, s45
	flat_store_b8 v[1:2], v4
.LBB47_6262:
	s_or_b32 exec_lo, exec_lo, s44
	s_delay_alu instid0(SALU_CYCLE_1)
	s_or_b32 s0, s0, exec_lo
.LBB47_6263:
	s_or_b32 exec_lo, exec_lo, s41
	s_delay_alu instid0(SALU_CYCLE_1)
	s_and_not1_b32 vcc_lo, s37, exec_lo
	s_and_b32 s41, s43, exec_lo
	s_and_b32 s0, s0, exec_lo
	s_or_b32 s41, vcc_lo, s41
                                        ; implicit-def: $vgpr3
                                        ; implicit-def: $vgpr19
                                        ; implicit-def: $vgpr1_vgpr2
.LBB47_6264:
	s_and_not1_saveexec_b32 s42, s42
	s_cbranch_execz .LBB47_6308
; %bb.6265:
	s_mov_b32 s44, s0
	s_mov_b32 s43, exec_lo
	v_cmpx_lt_i16_e32 22, v3
	s_xor_b32 s43, exec_lo, s43
	s_cbranch_execz .LBB47_6297
; %bb.6266:
	s_mov_b32 s44, exec_lo
	v_cmpx_lt_i16_e32 23, v3
	s_xor_b32 s44, exec_lo, s44
	s_cbranch_execz .LBB47_6286
; %bb.6267:
	;; [unrolled: 5-line block ×3, first 2 shown]
	v_and_b32_e32 v3, 0x7fffffff, v19
	v_mov_b32_e32 v4, 0x80
	s_mov_b32 s46, exec_lo
	s_delay_alu instid0(VALU_DEP_2)
	v_cmpx_gt_u32_e32 0x47800000, v3
	s_cbranch_execz .LBB47_6274
; %bb.6269:
	v_cmp_lt_u32_e32 vcc_lo, 0x37ffffff, v3
	s_mov_b32 s47, 0
                                        ; implicit-def: $vgpr3
	s_and_saveexec_b32 s48, vcc_lo
	s_delay_alu instid0(SALU_CYCLE_1)
	s_xor_b32 vcc_lo, exec_lo, s48
	s_cbranch_execnz .LBB47_7106
; %bb.6270:
	s_or_saveexec_b32 s48, vcc_lo
                                        ; implicit-def: $vcc_lo
	s_delay_alu instid0(SALU_CYCLE_1)
	s_xor_b32 exec_lo, exec_lo, s48
	s_cbranch_execnz .LBB47_7107
.LBB47_6271:
	s_or_b32 exec_lo, exec_lo, s48
	v_mov_b32_e32 v4, vcc_lo
	s_and_saveexec_b32 vcc_lo, s47
.LBB47_6272:
	v_lshrrev_b32_e32 v4, 24, v19
	s_delay_alu instid0(VALU_DEP_1)
	v_and_or_b32 v4, 0x80, v4, v3
.LBB47_6273:
	s_or_b32 exec_lo, exec_lo, vcc_lo
.LBB47_6274:
	s_delay_alu instid0(SALU_CYCLE_1)
	s_or_b32 exec_lo, exec_lo, s46
	flat_store_b8 v[1:2], v4
                                        ; implicit-def: $vgpr19
                                        ; implicit-def: $vgpr1_vgpr2
.LBB47_6275:
	s_and_not1_saveexec_b32 s45, s45
	s_cbranch_execz .LBB47_6285
; %bb.6276:
	v_and_b32_e32 v4, 0x7fffffff, v19
	s_mov_b32 s46, exec_lo
                                        ; implicit-def: $vgpr3
	s_delay_alu instid0(VALU_DEP_1)
	v_cmpx_gt_u32_e32 0x43f00000, v4
	s_xor_b32 s46, exec_lo, s46
	s_cbranch_execz .LBB47_6282
; %bb.6277:
	s_mov_b32 s47, exec_lo
                                        ; implicit-def: $vgpr3
	v_cmpx_lt_u32_e32 0x3c7fffff, v4
	s_xor_b32 s47, exec_lo, s47
; %bb.6278:
	v_bfe_u32 v3, v19, 20, 1
	s_delay_alu instid0(VALU_DEP_1) | instskip(NEXT) | instid1(VALU_DEP_1)
	v_add3_u32 v3, v19, v3, 0x407ffff
	v_and_b32_e32 v4, 0xff00000, v3
	v_lshrrev_b32_e32 v3, 20, v3
	s_delay_alu instid0(VALU_DEP_2) | instskip(NEXT) | instid1(VALU_DEP_2)
	v_cmp_ne_u32_e32 vcc_lo, 0x7f00000, v4
	v_cndmask_b32_e32 v3, 0x7e, v3, vcc_lo
; %bb.6279:
	s_and_not1_saveexec_b32 vcc_lo, s47
; %bb.6280:
	v_add_f32_e64 v3, 0x46800000, |v19|
; %bb.6281:
	s_or_b32 exec_lo, exec_lo, vcc_lo
                                        ; implicit-def: $vgpr4
.LBB47_6282:
	s_and_not1_saveexec_b32 s46, s46
; %bb.6283:
	v_mov_b32_e32 v3, 0x7f
	v_cmp_lt_u32_e32 vcc_lo, 0x7f800000, v4
	s_delay_alu instid0(VALU_DEP_2)
	v_cndmask_b32_e32 v3, 0x7e, v3, vcc_lo
; %bb.6284:
	s_or_b32 exec_lo, exec_lo, s46
	v_lshrrev_b32_e32 v4, 24, v19
	s_delay_alu instid0(VALU_DEP_1)
	v_and_or_b32 v3, 0x80, v4, v3
	flat_store_b8 v[1:2], v3
.LBB47_6285:
	s_or_b32 exec_lo, exec_lo, s45
                                        ; implicit-def: $vgpr19
                                        ; implicit-def: $vgpr1_vgpr2
.LBB47_6286:
	s_and_not1_saveexec_b32 s44, s44
	s_cbranch_execz .LBB47_6296
; %bb.6287:
	v_and_b32_e32 v4, 0x7fffffff, v19
	s_mov_b32 s45, exec_lo
                                        ; implicit-def: $vgpr3
	s_delay_alu instid0(VALU_DEP_1)
	v_cmpx_gt_u32_e32 0x47800000, v4
	s_xor_b32 s45, exec_lo, s45
	s_cbranch_execz .LBB47_6293
; %bb.6288:
	v_cmp_lt_u32_e32 vcc_lo, 0x387fffff, v4
                                        ; implicit-def: $vgpr3
	s_and_saveexec_b32 s46, vcc_lo
	s_delay_alu instid0(SALU_CYCLE_1)
	s_xor_b32 vcc_lo, exec_lo, s46
; %bb.6289:
	v_bfe_u32 v3, v19, 21, 1
	s_delay_alu instid0(VALU_DEP_1) | instskip(NEXT) | instid1(VALU_DEP_1)
	v_add3_u32 v3, v19, v3, 0x80fffff
	v_lshrrev_b32_e32 v3, 21, v3
; %bb.6290:
	s_and_not1_saveexec_b32 vcc_lo, vcc_lo
; %bb.6291:
	v_add_f32_e64 v3, 0x43000000, |v19|
; %bb.6292:
	s_or_b32 exec_lo, exec_lo, vcc_lo
                                        ; implicit-def: $vgpr4
.LBB47_6293:
	s_and_not1_saveexec_b32 s45, s45
; %bb.6294:
	v_mov_b32_e32 v3, 0x7f
	v_cmp_lt_u32_e32 vcc_lo, 0x7f800000, v4
	s_delay_alu instid0(VALU_DEP_2)
	v_cndmask_b32_e32 v3, 0x7c, v3, vcc_lo
; %bb.6295:
	s_or_b32 exec_lo, exec_lo, s45
	v_lshrrev_b32_e32 v4, 24, v19
	s_delay_alu instid0(VALU_DEP_1)
	v_and_or_b32 v3, 0x80, v4, v3
	flat_store_b8 v[1:2], v3
.LBB47_6296:
	s_or_b32 exec_lo, exec_lo, s44
	s_delay_alu instid0(SALU_CYCLE_1)
	s_or_b32 s44, s0, exec_lo
                                        ; implicit-def: $vgpr3
                                        ; implicit-def: $vgpr19
                                        ; implicit-def: $vgpr1_vgpr2
.LBB47_6297:
	s_or_saveexec_b32 s43, s43
	s_mov_b32 vcc_lo, s41
	s_xor_b32 exec_lo, exec_lo, s43
	s_cbranch_execz .LBB47_6307
; %bb.6298:
	s_mov_b32 s45, s44
	s_mov_b32 s46, s41
	s_mov_b32 s47, exec_lo
	v_cmpx_lt_i16_e32 14, v3
	s_xor_b32 s47, exec_lo, s47
	s_cbranch_execz .LBB47_6302
; %bb.6299:
	s_mov_b32 s48, -1
	s_mov_b32 s45, s44
	s_mov_b32 s46, exec_lo
	v_cmpx_eq_u16_e32 15, v3
	s_cbranch_execz .LBB47_6301
; %bb.6300:
	v_bfe_u32 v3, v19, 16, 1
	v_cmp_o_f32_e32 vcc_lo, v19, v19
	s_xor_b32 s48, exec_lo, -1
	s_or_b32 s45, s44, exec_lo
	s_delay_alu instid0(VALU_DEP_2) | instskip(NEXT) | instid1(VALU_DEP_1)
	v_add3_u32 v3, v19, v3, 0x7fff
	v_lshrrev_b32_e32 v3, 16, v3
	s_delay_alu instid0(VALU_DEP_1)
	v_cndmask_b32_e32 v3, 0x7fc0, v3, vcc_lo
	flat_store_b16 v[1:2], v3
.LBB47_6301:
	s_or_b32 exec_lo, exec_lo, s46
	s_delay_alu instid0(SALU_CYCLE_1)
	s_and_not1_b32 vcc_lo, s41, exec_lo
	s_and_b32 s46, s48, exec_lo
	s_and_not1_b32 s48, s44, exec_lo
	s_and_b32 s45, s45, exec_lo
	s_or_b32 s46, vcc_lo, s46
	s_or_b32 s45, s48, s45
                                        ; implicit-def: $vgpr3
                                        ; implicit-def: $vgpr19
                                        ; implicit-def: $vgpr1_vgpr2
.LBB47_6302:
	s_and_not1_saveexec_b32 s47, s47
	s_cbranch_execz .LBB47_6306
; %bb.6303:
	s_mov_b32 s49, -1
	s_mov_b32 s48, s45
	s_mov_b32 s50, exec_lo
	v_cmpx_eq_u16_e32 11, v3
	s_cbranch_execz .LBB47_6305
; %bb.6304:
	v_cmp_neq_f32_e32 vcc_lo, 0, v19
	s_xor_b32 s49, exec_lo, -1
	s_or_b32 s48, s45, exec_lo
	v_cndmask_b32_e64 v3, 0, 1, vcc_lo
	flat_store_b8 v[1:2], v3
.LBB47_6305:
	s_or_b32 exec_lo, exec_lo, s50
	s_delay_alu instid0(SALU_CYCLE_1)
	s_and_not1_b32 vcc_lo, s46, exec_lo
	s_and_b32 s46, s49, exec_lo
	s_and_not1_b32 s45, s45, exec_lo
	s_and_b32 s48, s48, exec_lo
	s_or_b32 s46, vcc_lo, s46
	s_or_b32 s45, s45, s48
.LBB47_6306:
	s_or_b32 exec_lo, exec_lo, s47
	s_delay_alu instid0(SALU_CYCLE_1)
	s_and_not1_b32 vcc_lo, s41, exec_lo
	s_and_b32 s46, s46, exec_lo
	s_and_not1_b32 s44, s44, exec_lo
	s_and_b32 s45, s45, exec_lo
	s_or_b32 vcc_lo, vcc_lo, s46
	s_or_b32 s44, s44, s45
.LBB47_6307:
	s_or_b32 exec_lo, exec_lo, s43
	s_delay_alu instid0(SALU_CYCLE_1)
	s_and_not1_b32 s41, s41, exec_lo
	s_and_b32 vcc_lo, vcc_lo, exec_lo
	s_and_not1_b32 s0, s0, exec_lo
	s_and_b32 s43, s44, exec_lo
	s_or_b32 s41, s41, vcc_lo
	s_or_b32 s0, s0, s43
.LBB47_6308:
	s_or_b32 exec_lo, exec_lo, s42
	s_delay_alu instid0(SALU_CYCLE_1)
	s_and_not1_b32 vcc_lo, s37, exec_lo
	s_and_b32 s41, s41, exec_lo
	s_and_b32 s0, s0, exec_lo
	s_or_b32 s41, vcc_lo, s41
                                        ; implicit-def: $vgpr3
                                        ; implicit-def: $vgpr19
                                        ; implicit-def: $vgpr1_vgpr2
	s_and_not1_saveexec_b32 s39, s39
	s_cbranch_execz .LBB47_3958
.LBB47_6309:
	s_mov_b32 s42, exec_lo
	v_cmpx_lt_i16_e32 4, v3
	s_xor_b32 s42, exec_lo, s42
	s_cbranch_execz .LBB47_6331
; %bb.6310:
	s_mov_b32 s43, exec_lo
	v_cmpx_lt_i16_e32 7, v3
	s_xor_b32 s43, exec_lo, s43
	s_cbranch_execz .LBB47_6320
; %bb.6311:
	;; [unrolled: 5-line block ×3, first 2 shown]
	v_cmp_lt_i16_e32 vcc_lo, 9, v3
	s_and_saveexec_b32 s45, vcc_lo
	s_delay_alu instid0(SALU_CYCLE_1)
	s_xor_b32 vcc_lo, exec_lo, s45
	s_cbranch_execz .LBB47_6314
; %bb.6313:
	v_cvt_f64_f32_e32 v[19:20], v19
	v_mov_b32_e32 v21, 0
	s_delay_alu instid0(VALU_DEP_1)
	v_mov_b32_e32 v22, v21
	flat_store_b128 v[1:2], v[19:22]
                                        ; implicit-def: $vgpr19
                                        ; implicit-def: $vgpr1_vgpr2
.LBB47_6314:
	s_and_not1_saveexec_b32 vcc_lo, vcc_lo
	s_cbranch_execz .LBB47_6316
; %bb.6315:
	v_mov_b32_e32 v20, 0
	flat_store_b64 v[1:2], v[19:20]
.LBB47_6316:
	s_or_b32 exec_lo, exec_lo, vcc_lo
                                        ; implicit-def: $vgpr19
                                        ; implicit-def: $vgpr1_vgpr2
.LBB47_6317:
	s_and_not1_saveexec_b32 vcc_lo, s44
	s_cbranch_execz .LBB47_6319
; %bb.6318:
	v_cvt_f16_f32_e32 v3, v19
	s_delay_alu instid0(VALU_DEP_1)
	v_and_b32_e32 v3, 0xffff, v3
	flat_store_b32 v[1:2], v3
.LBB47_6319:
	s_or_b32 exec_lo, exec_lo, vcc_lo
                                        ; implicit-def: $vgpr19
                                        ; implicit-def: $vgpr1_vgpr2
                                        ; implicit-def: $vgpr3
.LBB47_6320:
	s_and_not1_saveexec_b32 s43, s43
	s_cbranch_execz .LBB47_6330
; %bb.6321:
	s_mov_b32 s44, exec_lo
	v_cmpx_lt_i16_e32 5, v3
	s_xor_b32 s44, exec_lo, s44
	s_cbranch_execz .LBB47_6327
; %bb.6322:
	v_cmp_lt_i16_e32 vcc_lo, 6, v3
	s_and_saveexec_b32 s45, vcc_lo
	s_delay_alu instid0(SALU_CYCLE_1)
	s_xor_b32 vcc_lo, exec_lo, s45
	s_cbranch_execz .LBB47_6324
; %bb.6323:
	v_cvt_f64_f32_e32 v[3:4], v19
                                        ; implicit-def: $vgpr19
	flat_store_b64 v[1:2], v[3:4]
                                        ; implicit-def: $vgpr1_vgpr2
.LBB47_6324:
	s_and_not1_saveexec_b32 vcc_lo, vcc_lo
	s_cbranch_execz .LBB47_6326
; %bb.6325:
	flat_store_b32 v[1:2], v19
.LBB47_6326:
	s_or_b32 exec_lo, exec_lo, vcc_lo
                                        ; implicit-def: $vgpr19
                                        ; implicit-def: $vgpr1_vgpr2
.LBB47_6327:
	s_and_not1_saveexec_b32 vcc_lo, s44
	s_cbranch_execz .LBB47_6329
; %bb.6328:
	v_cvt_f16_f32_e32 v3, v19
	flat_store_b16 v[1:2], v3
.LBB47_6329:
	s_or_b32 exec_lo, exec_lo, vcc_lo
.LBB47_6330:
	s_delay_alu instid0(SALU_CYCLE_1)
	s_or_b32 exec_lo, exec_lo, s43
                                        ; implicit-def: $vgpr3
                                        ; implicit-def: $vgpr19
                                        ; implicit-def: $vgpr1_vgpr2
.LBB47_6331:
	s_and_not1_saveexec_b32 s42, s42
	s_cbranch_execz .LBB47_6349
; %bb.6332:
	s_mov_b32 s43, exec_lo
	v_cmpx_lt_i16_e32 1, v3
	s_xor_b32 s43, exec_lo, s43
	s_cbranch_execz .LBB47_6342
; %bb.6333:
	s_mov_b32 s44, exec_lo
	v_cmpx_lt_i16_e32 2, v3
	s_xor_b32 s44, exec_lo, s44
	;; [unrolled: 5-line block ×3, first 2 shown]
	s_cbranch_execz .LBB47_6336
; %bb.6335:
	v_trunc_f32_e32 v3, v19
                                        ; implicit-def: $vgpr19
	s_delay_alu instid0(VALU_DEP_1) | instskip(SKIP_1) | instid1(VALU_DEP_2)
	v_mul_f32_e64 v4, 0x2f800000, |v3|
	v_ashrrev_i32_e32 v10, 31, v3
	v_floor_f32_e32 v4, v4
	s_delay_alu instid0(VALU_DEP_1) | instskip(SKIP_1) | instid1(VALU_DEP_2)
	v_fma_f32 v5, 0xcf800000, v4, |v3|
	v_cvt_u32_f32_e32 v4, v4
	v_cvt_u32_f32_e32 v3, v5
	s_delay_alu instid0(VALU_DEP_2) | instskip(NEXT) | instid1(VALU_DEP_2)
	v_xor_b32_e32 v4, v4, v10
	v_xor_b32_e32 v3, v3, v10
	s_delay_alu instid0(VALU_DEP_1) | instskip(NEXT) | instid1(VALU_DEP_3)
	v_sub_co_u32 v3, vcc_lo, v3, v10
	v_sub_co_ci_u32_e32 v4, vcc_lo, v4, v10, vcc_lo
	flat_store_b64 v[1:2], v[3:4]
                                        ; implicit-def: $vgpr1_vgpr2
.LBB47_6336:
	s_and_not1_saveexec_b32 vcc_lo, s45
	s_cbranch_execz .LBB47_6338
; %bb.6337:
	v_cvt_i32_f32_e32 v3, v19
	flat_store_b32 v[1:2], v3
.LBB47_6338:
	s_or_b32 exec_lo, exec_lo, vcc_lo
                                        ; implicit-def: $vgpr19
                                        ; implicit-def: $vgpr1_vgpr2
.LBB47_6339:
	s_and_not1_saveexec_b32 vcc_lo, s44
	s_cbranch_execz .LBB47_6341
; %bb.6340:
	v_cvt_i32_f32_e32 v3, v19
	flat_store_b16 v[1:2], v3
.LBB47_6341:
	s_or_b32 exec_lo, exec_lo, vcc_lo
                                        ; implicit-def: $vgpr19
                                        ; implicit-def: $vgpr1_vgpr2
                                        ; implicit-def: $vgpr3
.LBB47_6342:
	s_and_not1_saveexec_b32 s43, s43
	s_cbranch_execz .LBB47_6348
; %bb.6343:
	v_cmp_lt_i16_e32 vcc_lo, 0, v3
	s_and_saveexec_b32 s44, vcc_lo
	s_delay_alu instid0(SALU_CYCLE_1)
	s_xor_b32 vcc_lo, exec_lo, s44
	s_cbranch_execz .LBB47_6345
; %bb.6344:
	v_cvt_i32_f32_e32 v3, v19
                                        ; implicit-def: $vgpr19
	flat_store_b8 v[1:2], v3
                                        ; implicit-def: $vgpr1_vgpr2
.LBB47_6345:
	s_and_not1_saveexec_b32 vcc_lo, vcc_lo
	s_cbranch_execz .LBB47_6347
; %bb.6346:
	v_trunc_f32_e32 v3, v19
	s_delay_alu instid0(VALU_DEP_1) | instskip(NEXT) | instid1(VALU_DEP_1)
	v_mul_f32_e64 v4, 0x2f800000, |v3|
	v_floor_f32_e32 v4, v4
	s_delay_alu instid0(VALU_DEP_1) | instskip(SKIP_1) | instid1(VALU_DEP_2)
	v_fma_f32 v4, 0xcf800000, v4, |v3|
	v_ashrrev_i32_e32 v3, 31, v3
	v_cvt_u32_f32_e32 v4, v4
	s_delay_alu instid0(VALU_DEP_1) | instskip(NEXT) | instid1(VALU_DEP_1)
	v_xor_b32_e32 v4, v4, v3
	v_sub_nc_u32_e32 v3, v4, v3
	flat_store_b8 v[1:2], v3
.LBB47_6347:
	s_or_b32 exec_lo, exec_lo, vcc_lo
.LBB47_6348:
	s_delay_alu instid0(SALU_CYCLE_1)
	s_or_b32 exec_lo, exec_lo, s43
.LBB47_6349:
	s_delay_alu instid0(SALU_CYCLE_1) | instskip(NEXT) | instid1(SALU_CYCLE_1)
	s_or_b32 exec_lo, exec_lo, s42
	s_or_b32 s0, s0, exec_lo
	s_or_b32 exec_lo, exec_lo, s39
	s_mov_b32 vcc_lo, 0
	s_and_saveexec_b32 s39, s0
	s_cbranch_execnz .LBB47_3959
	s_branch .LBB47_3960
.LBB47_6350:
	v_bfe_u32 v3, v25, 21, 1
	s_mov_b32 s35, exec_lo
	s_delay_alu instid0(VALU_DEP_1) | instskip(NEXT) | instid1(VALU_DEP_1)
	v_add3_u32 v3, v25, v3, 0x88fffff
	v_lshrrev_b32_e32 v3, 21, v3
	s_or_saveexec_b32 s36, vcc_lo
                                        ; implicit-def: $vcc_lo
	s_delay_alu instid0(SALU_CYCLE_1)
	s_xor_b32 exec_lo, exec_lo, s36
	s_cbranch_execz .LBB47_5515
.LBB47_6351:
	v_add_f32_e64 v3, 0x42800000, |v25|
	s_and_not1_b32 s35, s35, exec_lo
	s_delay_alu instid0(VALU_DEP_1) | instskip(NEXT) | instid1(VALU_DEP_1)
	v_and_b32_e32 v3, 0xff, v3
	v_cmp_ne_u32_e32 vcc_lo, 0, v3
	s_and_b32 s37, vcc_lo, exec_lo
	s_mov_b32 vcc_lo, 0
	s_or_b32 s35, s35, s37
	s_or_b32 exec_lo, exec_lo, s36
	v_mov_b32_e32 v4, vcc_lo
	s_and_saveexec_b32 vcc_lo, s35
	s_cbranch_execnz .LBB47_5516
	s_branch .LBB47_5517
.LBB47_6352:
	v_bfe_u32 v3, v24, 20, 1
	s_mov_b32 s36, exec_lo
	s_delay_alu instid0(VALU_DEP_1) | instskip(NEXT) | instid1(VALU_DEP_1)
	v_add3_u32 v3, v24, v3, 0x487ffff
	v_lshrrev_b32_e32 v3, 20, v3
	s_or_saveexec_b32 s37, vcc_lo
                                        ; implicit-def: $vcc_lo
	s_delay_alu instid0(SALU_CYCLE_1)
	s_xor_b32 exec_lo, exec_lo, s37
	s_cbranch_execz .LBB47_5628
.LBB47_6353:
	v_add_f32_e64 v3, 0x46000000, |v24|
	s_and_not1_b32 s36, s36, exec_lo
	s_delay_alu instid0(VALU_DEP_1) | instskip(NEXT) | instid1(VALU_DEP_1)
	v_and_b32_e32 v3, 0xff, v3
	v_cmp_ne_u32_e32 vcc_lo, 0, v3
	s_and_b32 s38, vcc_lo, exec_lo
	s_mov_b32 vcc_lo, 0
	s_or_b32 s36, s36, s38
	s_or_b32 exec_lo, exec_lo, s37
	v_mov_b32_e32 v4, vcc_lo
	s_and_saveexec_b32 vcc_lo, s36
	s_cbranch_execnz .LBB47_5629
	s_branch .LBB47_5630
.LBB47_6354:
	s_mov_b32 s43, s39
	s_mov_b32 s44, exec_lo
	v_cmpx_lt_i16_e32 25, v3
	s_xor_b32 s44, exec_lo, s44
	s_cbranch_execz .LBB47_6390
; %bb.6355:
	s_mov_b32 s45, s39
	s_mov_b32 s43, exec_lo
	v_cmpx_lt_i16_e32 28, v3
	s_xor_b32 s43, exec_lo, s43
	s_cbranch_execz .LBB47_6373
; %bb.6356:
	;; [unrolled: 6-line block ×3, first 2 shown]
	s_mov_b32 s46, 0
	s_mov_b32 s47, s39
	s_mov_b32 s0, exec_lo
	v_cmpx_lt_i16_e32 45, v3
	s_xor_b32 s0, exec_lo, s0
	s_cbranch_execz .LBB47_6361
; %bb.6358:
	s_mov_b32 s48, -1
	s_mov_b32 s47, exec_lo
	v_cmpx_eq_u16_e32 46, v3
	s_cbranch_execz .LBB47_6360
; %bb.6359:
	v_bfe_u32 v3, v18, 16, 1
	v_cmp_o_f32_e32 vcc_lo, v18, v18
	s_mov_b32 s46, exec_lo
	s_xor_b32 s48, exec_lo, -1
	s_delay_alu instid0(VALU_DEP_2) | instskip(NEXT) | instid1(VALU_DEP_1)
	v_add3_u32 v3, v18, v3, 0x7fff
	v_lshrrev_b32_e32 v3, 16, v3
	s_delay_alu instid0(VALU_DEP_1)
	v_cndmask_b32_e32 v3, 0x7fc0, v3, vcc_lo
	flat_store_b32 v[1:2], v3
.LBB47_6360:
	s_or_b32 exec_lo, exec_lo, s47
	s_delay_alu instid0(SALU_CYCLE_1)
	s_and_not1_b32 vcc_lo, s39, exec_lo
	s_and_b32 s47, s48, exec_lo
	s_and_b32 s46, s46, exec_lo
	s_or_b32 s47, vcc_lo, s47
                                        ; implicit-def: $vgpr3
                                        ; implicit-def: $vgpr1_vgpr2
                                        ; implicit-def: $vgpr18
.LBB47_6361:
	s_and_not1_saveexec_b32 s48, s0
	s_cbranch_execz .LBB47_6367
; %bb.6362:
	s_mov_b32 s50, -1
	s_mov_b32 s0, s46
	s_mov_b32 s49, exec_lo
	v_cmpx_eq_u16_e32 44, v3
	s_cbranch_execz .LBB47_6366
; %bb.6363:
	v_bfe_u32 v4, v18, 23, 8
	v_mov_b32_e32 v3, 0xff
	s_mov_b32 s50, exec_lo
	s_delay_alu instid0(VALU_DEP_2)
	v_cmpx_ne_u32_e32 0xff, v4
; %bb.6364:
	v_and_b32_e32 v3, 0x400000, v18
	v_and_or_b32 v4, 0x3fffff, v18, v4
	s_delay_alu instid0(VALU_DEP_2) | instskip(NEXT) | instid1(VALU_DEP_2)
	v_cmp_ne_u32_e32 vcc_lo, 0, v3
	v_cmp_ne_u32_e64 s0, 0, v4
	v_lshrrev_b32_e32 v3, 23, v18
	s_delay_alu instid0(VALU_DEP_2) | instskip(NEXT) | instid1(SALU_CYCLE_1)
	s_and_b32 s0, vcc_lo, s0
	v_cndmask_b32_e64 v4, 0, 1, s0
	s_delay_alu instid0(VALU_DEP_1)
	v_add_nc_u32_e32 v3, v3, v4
; %bb.6365:
	s_or_b32 exec_lo, exec_lo, s50
	s_delay_alu instid0(SALU_CYCLE_1)
	s_xor_b32 s50, exec_lo, -1
	s_or_b32 s0, s46, exec_lo
	flat_store_b8 v[1:2], v3
.LBB47_6366:
	s_or_b32 exec_lo, exec_lo, s49
	s_delay_alu instid0(SALU_CYCLE_1)
	s_and_not1_b32 vcc_lo, s47, exec_lo
	s_and_b32 s47, s50, exec_lo
	s_and_not1_b32 s46, s46, exec_lo
	s_and_b32 s0, s0, exec_lo
	s_or_b32 s47, vcc_lo, s47
	s_or_b32 s46, s46, s0
.LBB47_6367:
	s_or_b32 exec_lo, exec_lo, s48
	s_delay_alu instid0(SALU_CYCLE_1) | instskip(SKIP_1) | instid1(SALU_CYCLE_1)
	s_and_not1_b32 s0, s39, exec_lo
	s_and_b32 vcc_lo, s47, exec_lo
                                        ; implicit-def: $vgpr3
                                        ; implicit-def: $vgpr18
                                        ; implicit-def: $vgpr1_vgpr2
	s_or_b32 s47, s0, vcc_lo
	s_and_b32 s0, s46, exec_lo
.LBB47_6368:
	s_and_not1_saveexec_b32 s45, s45
	s_cbranch_execz .LBB47_6372
; %bb.6369:
	s_mov_b32 s49, -1
	s_mov_b32 s48, s0
	s_mov_b32 s46, exec_lo
	v_cmpx_eq_u16_e32 29, v3
	s_cbranch_execz .LBB47_6371
; %bb.6370:
	v_trunc_f32_e32 v3, v18
	s_xor_b32 s49, exec_lo, -1
	s_or_b32 s48, s0, exec_lo
	s_delay_alu instid0(VALU_DEP_1) | instskip(NEXT) | instid1(VALU_DEP_1)
	v_mul_f32_e32 v4, 0x2f800000, v3
	v_floor_f32_e32 v4, v4
	s_delay_alu instid0(VALU_DEP_1) | instskip(SKIP_1) | instid1(VALU_DEP_2)
	v_fmamk_f32 v3, v4, 0xcf800000, v3
	v_cvt_u32_f32_e32 v4, v4
	v_cvt_u32_f32_e32 v3, v3
	flat_store_b64 v[1:2], v[3:4]
.LBB47_6371:
	s_or_b32 exec_lo, exec_lo, s46
	s_delay_alu instid0(SALU_CYCLE_1)
	s_and_not1_b32 vcc_lo, s47, exec_lo
	s_and_b32 s46, s49, exec_lo
	s_and_not1_b32 s0, s0, exec_lo
	s_and_b32 s48, s48, exec_lo
	s_or_b32 s47, vcc_lo, s46
	s_or_b32 s0, s0, s48
.LBB47_6372:
	s_or_b32 exec_lo, exec_lo, s45
	s_delay_alu instid0(SALU_CYCLE_1)
	s_and_not1_b32 vcc_lo, s39, exec_lo
	s_and_b32 s45, s47, exec_lo
	s_and_b32 s0, s0, exec_lo
	s_or_b32 s45, vcc_lo, s45
                                        ; implicit-def: $vgpr1_vgpr2
                                        ; implicit-def: $vgpr3
                                        ; implicit-def: $vgpr18
.LBB47_6373:
	s_and_not1_saveexec_b32 s43, s43
	s_cbranch_execz .LBB47_6389
; %bb.6374:
	s_mov_b32 s46, exec_lo
	v_cmpx_lt_i16_e32 26, v3
	s_xor_b32 s46, exec_lo, s46
	s_cbranch_execz .LBB47_6380
; %bb.6375:
	v_cmp_lt_i16_e32 vcc_lo, 27, v3
	s_and_saveexec_b32 s47, vcc_lo
	s_delay_alu instid0(SALU_CYCLE_1)
	s_xor_b32 vcc_lo, exec_lo, s47
	s_cbranch_execz .LBB47_6377
; %bb.6376:
	v_cvt_u32_f32_e32 v3, v18
                                        ; implicit-def: $vgpr18
	flat_store_b32 v[1:2], v3
                                        ; implicit-def: $vgpr1_vgpr2
.LBB47_6377:
	s_and_not1_saveexec_b32 vcc_lo, vcc_lo
	s_cbranch_execz .LBB47_6379
; %bb.6378:
	v_cvt_u32_f32_e32 v3, v18
	flat_store_b16 v[1:2], v3
.LBB47_6379:
	s_or_b32 exec_lo, exec_lo, vcc_lo
                                        ; implicit-def: $vgpr1_vgpr2
                                        ; implicit-def: $vgpr18
.LBB47_6380:
	s_and_not1_saveexec_b32 s46, s46
	s_cbranch_execz .LBB47_6388
; %bb.6381:
	v_and_b32_e32 v3, 0x7fffffff, v18
	v_mov_b32_e32 v4, 0x80
	s_mov_b32 s47, exec_lo
	s_delay_alu instid0(VALU_DEP_2)
	v_cmpx_gt_u32_e32 0x43800000, v3
	s_cbranch_execz .LBB47_6387
; %bb.6382:
	v_cmp_lt_u32_e32 vcc_lo, 0x3bffffff, v3
	s_mov_b32 s48, 0
                                        ; implicit-def: $vgpr3
	s_and_saveexec_b32 s49, vcc_lo
	s_delay_alu instid0(SALU_CYCLE_1)
	s_xor_b32 vcc_lo, exec_lo, s49
	s_cbranch_execnz .LBB47_7108
; %bb.6383:
	s_or_saveexec_b32 s49, vcc_lo
                                        ; implicit-def: $vcc_lo
	s_delay_alu instid0(SALU_CYCLE_1)
	s_xor_b32 exec_lo, exec_lo, s49
	s_cbranch_execnz .LBB47_7109
.LBB47_6384:
	s_or_b32 exec_lo, exec_lo, s49
	v_mov_b32_e32 v4, vcc_lo
	s_and_saveexec_b32 vcc_lo, s48
.LBB47_6385:
	v_lshrrev_b32_e32 v4, 24, v18
	s_delay_alu instid0(VALU_DEP_1)
	v_and_or_b32 v4, 0x80, v4, v3
.LBB47_6386:
	s_or_b32 exec_lo, exec_lo, vcc_lo
.LBB47_6387:
	s_delay_alu instid0(SALU_CYCLE_1)
	s_or_b32 exec_lo, exec_lo, s47
	flat_store_b8 v[1:2], v4
.LBB47_6388:
	s_or_b32 exec_lo, exec_lo, s46
	s_delay_alu instid0(SALU_CYCLE_1)
	s_or_b32 s0, s0, exec_lo
.LBB47_6389:
	s_or_b32 exec_lo, exec_lo, s43
	s_delay_alu instid0(SALU_CYCLE_1)
	s_and_not1_b32 vcc_lo, s39, exec_lo
	s_and_b32 s43, s45, exec_lo
	s_and_b32 s0, s0, exec_lo
	s_or_b32 s43, vcc_lo, s43
                                        ; implicit-def: $vgpr3
                                        ; implicit-def: $vgpr18
                                        ; implicit-def: $vgpr1_vgpr2
.LBB47_6390:
	s_and_not1_saveexec_b32 s44, s44
	s_cbranch_execz .LBB47_6434
; %bb.6391:
	s_mov_b32 s46, s0
	s_mov_b32 s45, exec_lo
	v_cmpx_lt_i16_e32 22, v3
	s_xor_b32 s45, exec_lo, s45
	s_cbranch_execz .LBB47_6423
; %bb.6392:
	s_mov_b32 s46, exec_lo
	v_cmpx_lt_i16_e32 23, v3
	s_xor_b32 s46, exec_lo, s46
	s_cbranch_execz .LBB47_6412
; %bb.6393:
	;; [unrolled: 5-line block ×3, first 2 shown]
	v_and_b32_e32 v3, 0x7fffffff, v18
	v_mov_b32_e32 v4, 0x80
	s_mov_b32 s48, exec_lo
	s_delay_alu instid0(VALU_DEP_2)
	v_cmpx_gt_u32_e32 0x47800000, v3
	s_cbranch_execz .LBB47_6400
; %bb.6395:
	v_cmp_lt_u32_e32 vcc_lo, 0x37ffffff, v3
	s_mov_b32 s49, 0
                                        ; implicit-def: $vgpr3
	s_and_saveexec_b32 s50, vcc_lo
	s_delay_alu instid0(SALU_CYCLE_1)
	s_xor_b32 vcc_lo, exec_lo, s50
	s_cbranch_execnz .LBB47_7232
; %bb.6396:
	s_or_saveexec_b32 s50, vcc_lo
                                        ; implicit-def: $vcc_lo
	s_delay_alu instid0(SALU_CYCLE_1)
	s_xor_b32 exec_lo, exec_lo, s50
	s_cbranch_execnz .LBB47_7233
.LBB47_6397:
	s_or_b32 exec_lo, exec_lo, s50
	v_mov_b32_e32 v4, vcc_lo
	s_and_saveexec_b32 vcc_lo, s49
.LBB47_6398:
	v_lshrrev_b32_e32 v4, 24, v18
	s_delay_alu instid0(VALU_DEP_1)
	v_and_or_b32 v4, 0x80, v4, v3
.LBB47_6399:
	s_or_b32 exec_lo, exec_lo, vcc_lo
.LBB47_6400:
	s_delay_alu instid0(SALU_CYCLE_1)
	s_or_b32 exec_lo, exec_lo, s48
	flat_store_b8 v[1:2], v4
                                        ; implicit-def: $vgpr18
                                        ; implicit-def: $vgpr1_vgpr2
.LBB47_6401:
	s_and_not1_saveexec_b32 s47, s47
	s_cbranch_execz .LBB47_6411
; %bb.6402:
	v_and_b32_e32 v4, 0x7fffffff, v18
	s_mov_b32 s48, exec_lo
                                        ; implicit-def: $vgpr3
	s_delay_alu instid0(VALU_DEP_1)
	v_cmpx_gt_u32_e32 0x43f00000, v4
	s_xor_b32 s48, exec_lo, s48
	s_cbranch_execz .LBB47_6408
; %bb.6403:
	s_mov_b32 s49, exec_lo
                                        ; implicit-def: $vgpr3
	v_cmpx_lt_u32_e32 0x3c7fffff, v4
	s_xor_b32 s49, exec_lo, s49
; %bb.6404:
	v_bfe_u32 v3, v18, 20, 1
	s_delay_alu instid0(VALU_DEP_1) | instskip(NEXT) | instid1(VALU_DEP_1)
	v_add3_u32 v3, v18, v3, 0x407ffff
	v_and_b32_e32 v4, 0xff00000, v3
	v_lshrrev_b32_e32 v3, 20, v3
	s_delay_alu instid0(VALU_DEP_2) | instskip(NEXT) | instid1(VALU_DEP_2)
	v_cmp_ne_u32_e32 vcc_lo, 0x7f00000, v4
	v_cndmask_b32_e32 v3, 0x7e, v3, vcc_lo
; %bb.6405:
	s_and_not1_saveexec_b32 vcc_lo, s49
; %bb.6406:
	v_add_f32_e64 v3, 0x46800000, |v18|
; %bb.6407:
	s_or_b32 exec_lo, exec_lo, vcc_lo
                                        ; implicit-def: $vgpr4
.LBB47_6408:
	s_and_not1_saveexec_b32 s48, s48
; %bb.6409:
	v_mov_b32_e32 v3, 0x7f
	v_cmp_lt_u32_e32 vcc_lo, 0x7f800000, v4
	s_delay_alu instid0(VALU_DEP_2)
	v_cndmask_b32_e32 v3, 0x7e, v3, vcc_lo
; %bb.6410:
	s_or_b32 exec_lo, exec_lo, s48
	v_lshrrev_b32_e32 v4, 24, v18
	s_delay_alu instid0(VALU_DEP_1)
	v_and_or_b32 v3, 0x80, v4, v3
	flat_store_b8 v[1:2], v3
.LBB47_6411:
	s_or_b32 exec_lo, exec_lo, s47
                                        ; implicit-def: $vgpr18
                                        ; implicit-def: $vgpr1_vgpr2
.LBB47_6412:
	s_and_not1_saveexec_b32 s46, s46
	s_cbranch_execz .LBB47_6422
; %bb.6413:
	v_and_b32_e32 v4, 0x7fffffff, v18
	s_mov_b32 s47, exec_lo
                                        ; implicit-def: $vgpr3
	s_delay_alu instid0(VALU_DEP_1)
	v_cmpx_gt_u32_e32 0x47800000, v4
	s_xor_b32 s47, exec_lo, s47
	s_cbranch_execz .LBB47_6419
; %bb.6414:
	v_cmp_lt_u32_e32 vcc_lo, 0x387fffff, v4
                                        ; implicit-def: $vgpr3
	s_and_saveexec_b32 s48, vcc_lo
	s_delay_alu instid0(SALU_CYCLE_1)
	s_xor_b32 vcc_lo, exec_lo, s48
; %bb.6415:
	v_bfe_u32 v3, v18, 21, 1
	s_delay_alu instid0(VALU_DEP_1) | instskip(NEXT) | instid1(VALU_DEP_1)
	v_add3_u32 v3, v18, v3, 0x80fffff
	v_lshrrev_b32_e32 v3, 21, v3
; %bb.6416:
	s_and_not1_saveexec_b32 vcc_lo, vcc_lo
; %bb.6417:
	v_add_f32_e64 v3, 0x43000000, |v18|
; %bb.6418:
	s_or_b32 exec_lo, exec_lo, vcc_lo
                                        ; implicit-def: $vgpr4
.LBB47_6419:
	s_and_not1_saveexec_b32 s47, s47
; %bb.6420:
	v_mov_b32_e32 v3, 0x7f
	v_cmp_lt_u32_e32 vcc_lo, 0x7f800000, v4
	s_delay_alu instid0(VALU_DEP_2)
	v_cndmask_b32_e32 v3, 0x7c, v3, vcc_lo
; %bb.6421:
	s_or_b32 exec_lo, exec_lo, s47
	v_lshrrev_b32_e32 v4, 24, v18
	s_delay_alu instid0(VALU_DEP_1)
	v_and_or_b32 v3, 0x80, v4, v3
	flat_store_b8 v[1:2], v3
.LBB47_6422:
	s_or_b32 exec_lo, exec_lo, s46
	s_delay_alu instid0(SALU_CYCLE_1)
	s_or_b32 s46, s0, exec_lo
                                        ; implicit-def: $vgpr3
                                        ; implicit-def: $vgpr18
                                        ; implicit-def: $vgpr1_vgpr2
.LBB47_6423:
	s_or_saveexec_b32 s45, s45
	s_mov_b32 vcc_lo, s43
	s_xor_b32 exec_lo, exec_lo, s45
	s_cbranch_execz .LBB47_6433
; %bb.6424:
	s_mov_b32 s47, s46
	s_mov_b32 s48, s43
	s_mov_b32 s49, exec_lo
	v_cmpx_lt_i16_e32 14, v3
	s_xor_b32 s49, exec_lo, s49
	s_cbranch_execz .LBB47_6428
; %bb.6425:
	s_mov_b32 s50, -1
	s_mov_b32 s47, s46
	s_mov_b32 s48, exec_lo
	v_cmpx_eq_u16_e32 15, v3
	s_cbranch_execz .LBB47_6427
; %bb.6426:
	v_bfe_u32 v3, v18, 16, 1
	v_cmp_o_f32_e32 vcc_lo, v18, v18
	s_xor_b32 s50, exec_lo, -1
	s_or_b32 s47, s46, exec_lo
	s_delay_alu instid0(VALU_DEP_2) | instskip(NEXT) | instid1(VALU_DEP_1)
	v_add3_u32 v3, v18, v3, 0x7fff
	v_lshrrev_b32_e32 v3, 16, v3
	s_delay_alu instid0(VALU_DEP_1)
	v_cndmask_b32_e32 v3, 0x7fc0, v3, vcc_lo
	flat_store_b16 v[1:2], v3
.LBB47_6427:
	s_or_b32 exec_lo, exec_lo, s48
	s_delay_alu instid0(SALU_CYCLE_1)
	s_and_not1_b32 vcc_lo, s43, exec_lo
	s_and_b32 s48, s50, exec_lo
	s_and_not1_b32 s50, s46, exec_lo
	s_and_b32 s47, s47, exec_lo
	s_or_b32 s48, vcc_lo, s48
	s_or_b32 s47, s50, s47
                                        ; implicit-def: $vgpr3
                                        ; implicit-def: $vgpr18
                                        ; implicit-def: $vgpr1_vgpr2
.LBB47_6428:
	s_and_not1_saveexec_b32 s49, s49
	s_cbranch_execz .LBB47_6432
; %bb.6429:
	s_mov_b32 s51, -1
	s_mov_b32 s50, s47
	s_mov_b32 s52, exec_lo
	v_cmpx_eq_u16_e32 11, v3
	s_cbranch_execz .LBB47_6431
; %bb.6430:
	v_cmp_neq_f32_e32 vcc_lo, 0, v18
	s_xor_b32 s51, exec_lo, -1
	s_or_b32 s50, s47, exec_lo
	v_cndmask_b32_e64 v3, 0, 1, vcc_lo
	flat_store_b8 v[1:2], v3
.LBB47_6431:
	s_or_b32 exec_lo, exec_lo, s52
	s_delay_alu instid0(SALU_CYCLE_1)
	s_and_not1_b32 vcc_lo, s48, exec_lo
	s_and_b32 s48, s51, exec_lo
	s_and_not1_b32 s47, s47, exec_lo
	s_and_b32 s50, s50, exec_lo
	s_or_b32 s48, vcc_lo, s48
	s_or_b32 s47, s47, s50
.LBB47_6432:
	s_or_b32 exec_lo, exec_lo, s49
	s_delay_alu instid0(SALU_CYCLE_1)
	s_and_not1_b32 vcc_lo, s43, exec_lo
	s_and_b32 s48, s48, exec_lo
	s_and_not1_b32 s46, s46, exec_lo
	s_and_b32 s47, s47, exec_lo
	s_or_b32 vcc_lo, vcc_lo, s48
	s_or_b32 s46, s46, s47
.LBB47_6433:
	s_or_b32 exec_lo, exec_lo, s45
	s_delay_alu instid0(SALU_CYCLE_1)
	s_and_not1_b32 s43, s43, exec_lo
	s_and_b32 vcc_lo, vcc_lo, exec_lo
	s_and_not1_b32 s0, s0, exec_lo
	s_and_b32 s45, s46, exec_lo
	s_or_b32 s43, s43, vcc_lo
	s_or_b32 s0, s0, s45
.LBB47_6434:
	s_or_b32 exec_lo, exec_lo, s44
	s_delay_alu instid0(SALU_CYCLE_1)
	s_and_not1_b32 vcc_lo, s39, exec_lo
	s_and_b32 s43, s43, exec_lo
	s_and_b32 s0, s0, exec_lo
	s_or_b32 s43, vcc_lo, s43
                                        ; implicit-def: $vgpr3
                                        ; implicit-def: $vgpr18
                                        ; implicit-def: $vgpr1_vgpr2
	s_and_not1_saveexec_b32 s41, s41
	s_cbranch_execz .LBB47_3965
.LBB47_6435:
	s_mov_b32 s44, exec_lo
	v_cmpx_lt_i16_e32 4, v3
	s_xor_b32 s44, exec_lo, s44
	s_cbranch_execz .LBB47_6457
; %bb.6436:
	s_mov_b32 s45, exec_lo
	v_cmpx_lt_i16_e32 7, v3
	s_xor_b32 s45, exec_lo, s45
	s_cbranch_execz .LBB47_6446
; %bb.6437:
	;; [unrolled: 5-line block ×3, first 2 shown]
	v_cmp_lt_i16_e32 vcc_lo, 9, v3
	s_and_saveexec_b32 s47, vcc_lo
	s_delay_alu instid0(SALU_CYCLE_1)
	s_xor_b32 vcc_lo, exec_lo, s47
	s_cbranch_execz .LBB47_6440
; %bb.6439:
	v_cvt_f64_f32_e32 v[18:19], v18
	v_mov_b32_e32 v20, 0
	s_delay_alu instid0(VALU_DEP_1)
	v_mov_b32_e32 v21, v20
	flat_store_b128 v[1:2], v[18:21]
                                        ; implicit-def: $vgpr18
                                        ; implicit-def: $vgpr1_vgpr2
.LBB47_6440:
	s_and_not1_saveexec_b32 vcc_lo, vcc_lo
	s_cbranch_execz .LBB47_6442
; %bb.6441:
	v_mov_b32_e32 v19, 0
	flat_store_b64 v[1:2], v[18:19]
.LBB47_6442:
	s_or_b32 exec_lo, exec_lo, vcc_lo
                                        ; implicit-def: $vgpr18
                                        ; implicit-def: $vgpr1_vgpr2
.LBB47_6443:
	s_and_not1_saveexec_b32 vcc_lo, s46
	s_cbranch_execz .LBB47_6445
; %bb.6444:
	v_cvt_f16_f32_e32 v3, v18
	s_delay_alu instid0(VALU_DEP_1)
	v_and_b32_e32 v3, 0xffff, v3
	flat_store_b32 v[1:2], v3
.LBB47_6445:
	s_or_b32 exec_lo, exec_lo, vcc_lo
                                        ; implicit-def: $vgpr18
                                        ; implicit-def: $vgpr1_vgpr2
                                        ; implicit-def: $vgpr3
.LBB47_6446:
	s_and_not1_saveexec_b32 s45, s45
	s_cbranch_execz .LBB47_6456
; %bb.6447:
	s_mov_b32 s46, exec_lo
	v_cmpx_lt_i16_e32 5, v3
	s_xor_b32 s46, exec_lo, s46
	s_cbranch_execz .LBB47_6453
; %bb.6448:
	v_cmp_lt_i16_e32 vcc_lo, 6, v3
	s_and_saveexec_b32 s47, vcc_lo
	s_delay_alu instid0(SALU_CYCLE_1)
	s_xor_b32 vcc_lo, exec_lo, s47
	s_cbranch_execz .LBB47_6450
; %bb.6449:
	v_cvt_f64_f32_e32 v[3:4], v18
                                        ; implicit-def: $vgpr18
	flat_store_b64 v[1:2], v[3:4]
                                        ; implicit-def: $vgpr1_vgpr2
.LBB47_6450:
	s_and_not1_saveexec_b32 vcc_lo, vcc_lo
	s_cbranch_execz .LBB47_6452
; %bb.6451:
	flat_store_b32 v[1:2], v18
.LBB47_6452:
	s_or_b32 exec_lo, exec_lo, vcc_lo
                                        ; implicit-def: $vgpr18
                                        ; implicit-def: $vgpr1_vgpr2
.LBB47_6453:
	s_and_not1_saveexec_b32 vcc_lo, s46
	s_cbranch_execz .LBB47_6455
; %bb.6454:
	v_cvt_f16_f32_e32 v3, v18
	flat_store_b16 v[1:2], v3
.LBB47_6455:
	s_or_b32 exec_lo, exec_lo, vcc_lo
.LBB47_6456:
	s_delay_alu instid0(SALU_CYCLE_1)
	s_or_b32 exec_lo, exec_lo, s45
                                        ; implicit-def: $vgpr3
                                        ; implicit-def: $vgpr18
                                        ; implicit-def: $vgpr1_vgpr2
.LBB47_6457:
	s_and_not1_saveexec_b32 s44, s44
	s_cbranch_execz .LBB47_6475
; %bb.6458:
	s_mov_b32 s45, exec_lo
	v_cmpx_lt_i16_e32 1, v3
	s_xor_b32 s45, exec_lo, s45
	s_cbranch_execz .LBB47_6468
; %bb.6459:
	s_mov_b32 s46, exec_lo
	v_cmpx_lt_i16_e32 2, v3
	s_xor_b32 s46, exec_lo, s46
	;; [unrolled: 5-line block ×3, first 2 shown]
	s_cbranch_execz .LBB47_6462
; %bb.6461:
	v_trunc_f32_e32 v3, v18
                                        ; implicit-def: $vgpr18
	s_delay_alu instid0(VALU_DEP_1) | instskip(SKIP_1) | instid1(VALU_DEP_2)
	v_mul_f32_e64 v4, 0x2f800000, |v3|
	v_ashrrev_i32_e32 v10, 31, v3
	v_floor_f32_e32 v4, v4
	s_delay_alu instid0(VALU_DEP_1) | instskip(SKIP_1) | instid1(VALU_DEP_2)
	v_fma_f32 v5, 0xcf800000, v4, |v3|
	v_cvt_u32_f32_e32 v4, v4
	v_cvt_u32_f32_e32 v3, v5
	s_delay_alu instid0(VALU_DEP_2) | instskip(NEXT) | instid1(VALU_DEP_2)
	v_xor_b32_e32 v4, v4, v10
	v_xor_b32_e32 v3, v3, v10
	s_delay_alu instid0(VALU_DEP_1) | instskip(NEXT) | instid1(VALU_DEP_3)
	v_sub_co_u32 v3, vcc_lo, v3, v10
	v_sub_co_ci_u32_e32 v4, vcc_lo, v4, v10, vcc_lo
	flat_store_b64 v[1:2], v[3:4]
                                        ; implicit-def: $vgpr1_vgpr2
.LBB47_6462:
	s_and_not1_saveexec_b32 vcc_lo, s47
	s_cbranch_execz .LBB47_6464
; %bb.6463:
	v_cvt_i32_f32_e32 v3, v18
	flat_store_b32 v[1:2], v3
.LBB47_6464:
	s_or_b32 exec_lo, exec_lo, vcc_lo
                                        ; implicit-def: $vgpr18
                                        ; implicit-def: $vgpr1_vgpr2
.LBB47_6465:
	s_and_not1_saveexec_b32 vcc_lo, s46
	s_cbranch_execz .LBB47_6467
; %bb.6466:
	v_cvt_i32_f32_e32 v3, v18
	flat_store_b16 v[1:2], v3
.LBB47_6467:
	s_or_b32 exec_lo, exec_lo, vcc_lo
                                        ; implicit-def: $vgpr18
                                        ; implicit-def: $vgpr1_vgpr2
                                        ; implicit-def: $vgpr3
.LBB47_6468:
	s_and_not1_saveexec_b32 s45, s45
	s_cbranch_execz .LBB47_6474
; %bb.6469:
	v_cmp_lt_i16_e32 vcc_lo, 0, v3
	s_and_saveexec_b32 s46, vcc_lo
	s_delay_alu instid0(SALU_CYCLE_1)
	s_xor_b32 vcc_lo, exec_lo, s46
	s_cbranch_execz .LBB47_6471
; %bb.6470:
	v_cvt_i32_f32_e32 v3, v18
                                        ; implicit-def: $vgpr18
	flat_store_b8 v[1:2], v3
                                        ; implicit-def: $vgpr1_vgpr2
.LBB47_6471:
	s_and_not1_saveexec_b32 vcc_lo, vcc_lo
	s_cbranch_execz .LBB47_6473
; %bb.6472:
	v_trunc_f32_e32 v3, v18
	s_delay_alu instid0(VALU_DEP_1) | instskip(NEXT) | instid1(VALU_DEP_1)
	v_mul_f32_e64 v4, 0x2f800000, |v3|
	v_floor_f32_e32 v4, v4
	s_delay_alu instid0(VALU_DEP_1) | instskip(SKIP_1) | instid1(VALU_DEP_2)
	v_fma_f32 v4, 0xcf800000, v4, |v3|
	v_ashrrev_i32_e32 v3, 31, v3
	v_cvt_u32_f32_e32 v4, v4
	s_delay_alu instid0(VALU_DEP_1) | instskip(NEXT) | instid1(VALU_DEP_1)
	v_xor_b32_e32 v4, v4, v3
	v_sub_nc_u32_e32 v3, v4, v3
	flat_store_b8 v[1:2], v3
.LBB47_6473:
	s_or_b32 exec_lo, exec_lo, vcc_lo
.LBB47_6474:
	s_delay_alu instid0(SALU_CYCLE_1)
	s_or_b32 exec_lo, exec_lo, s45
.LBB47_6475:
	s_delay_alu instid0(SALU_CYCLE_1) | instskip(NEXT) | instid1(SALU_CYCLE_1)
	s_or_b32 exec_lo, exec_lo, s44
	s_or_b32 s0, s0, exec_lo
	s_or_b32 exec_lo, exec_lo, s41
	s_mov_b32 vcc_lo, 0
	s_and_saveexec_b32 s41, s0
	s_cbranch_execnz .LBB47_3966
	s_branch .LBB47_3967
.LBB47_6476:
	v_bfe_u32 v3, v24, 21, 1
	s_mov_b32 s37, exec_lo
	s_delay_alu instid0(VALU_DEP_1) | instskip(NEXT) | instid1(VALU_DEP_1)
	v_add3_u32 v3, v24, v3, 0x88fffff
	v_lshrrev_b32_e32 v3, 21, v3
	s_or_saveexec_b32 s38, vcc_lo
                                        ; implicit-def: $vcc_lo
	s_delay_alu instid0(SALU_CYCLE_1)
	s_xor_b32 exec_lo, exec_lo, s38
	s_cbranch_execz .LBB47_5641
.LBB47_6477:
	v_add_f32_e64 v3, 0x42800000, |v24|
	s_and_not1_b32 s37, s37, exec_lo
	s_delay_alu instid0(VALU_DEP_1) | instskip(NEXT) | instid1(VALU_DEP_1)
	v_and_b32_e32 v3, 0xff, v3
	v_cmp_ne_u32_e32 vcc_lo, 0, v3
	s_and_b32 s39, vcc_lo, exec_lo
	s_mov_b32 vcc_lo, 0
	s_or_b32 s37, s37, s39
	s_or_b32 exec_lo, exec_lo, s38
	v_mov_b32_e32 v4, vcc_lo
	s_and_saveexec_b32 vcc_lo, s37
	s_cbranch_execnz .LBB47_5642
	s_branch .LBB47_5643
.LBB47_6478:
	v_bfe_u32 v3, v23, 20, 1
	s_mov_b32 s38, exec_lo
	s_delay_alu instid0(VALU_DEP_1) | instskip(NEXT) | instid1(VALU_DEP_1)
	v_add3_u32 v3, v23, v3, 0x487ffff
	v_lshrrev_b32_e32 v3, 20, v3
	s_or_saveexec_b32 s39, vcc_lo
                                        ; implicit-def: $vcc_lo
	s_delay_alu instid0(SALU_CYCLE_1)
	s_xor_b32 exec_lo, exec_lo, s39
	s_cbranch_execz .LBB47_5754
.LBB47_6479:
	v_add_f32_e64 v3, 0x46000000, |v23|
	s_and_not1_b32 s38, s38, exec_lo
	s_delay_alu instid0(VALU_DEP_1) | instskip(NEXT) | instid1(VALU_DEP_1)
	v_and_b32_e32 v3, 0xff, v3
	v_cmp_ne_u32_e32 vcc_lo, 0, v3
	s_and_b32 s40, vcc_lo, exec_lo
	s_mov_b32 vcc_lo, 0
	s_or_b32 s38, s38, s40
	s_or_b32 exec_lo, exec_lo, s39
	v_mov_b32_e32 v4, vcc_lo
	s_and_saveexec_b32 vcc_lo, s38
	s_cbranch_execnz .LBB47_5755
	s_branch .LBB47_5756
.LBB47_6480:
	s_mov_b32 s45, s41
	s_mov_b32 s46, exec_lo
	v_cmpx_lt_i16_e32 25, v3
	s_xor_b32 s46, exec_lo, s46
	s_cbranch_execz .LBB47_6516
; %bb.6481:
	s_mov_b32 s47, s41
	s_mov_b32 s45, exec_lo
	v_cmpx_lt_i16_e32 28, v3
	s_xor_b32 s45, exec_lo, s45
	s_cbranch_execz .LBB47_6499
; %bb.6482:
	s_mov_b32 s49, s41
	s_mov_b32 s47, exec_lo
	v_cmpx_lt_i16_e32 43, v3
	s_xor_b32 s47, exec_lo, s47
	s_cbranch_execz .LBB47_6494
; %bb.6483:
	s_mov_b32 s48, 0
	s_mov_b32 s49, s41
	s_mov_b32 s0, exec_lo
	v_cmpx_lt_i16_e32 45, v3
	s_xor_b32 s0, exec_lo, s0
	s_cbranch_execz .LBB47_6487
; %bb.6484:
	s_mov_b32 s50, -1
	s_mov_b32 s49, exec_lo
	v_cmpx_eq_u16_e32 46, v3
	s_cbranch_execz .LBB47_6486
; %bb.6485:
	v_bfe_u32 v3, v17, 16, 1
	v_cmp_o_f32_e32 vcc_lo, v17, v17
	s_mov_b32 s48, exec_lo
	s_xor_b32 s50, exec_lo, -1
	s_delay_alu instid0(VALU_DEP_2) | instskip(NEXT) | instid1(VALU_DEP_1)
	v_add3_u32 v3, v17, v3, 0x7fff
	v_lshrrev_b32_e32 v3, 16, v3
	s_delay_alu instid0(VALU_DEP_1)
	v_cndmask_b32_e32 v3, 0x7fc0, v3, vcc_lo
	flat_store_b32 v[1:2], v3
.LBB47_6486:
	s_or_b32 exec_lo, exec_lo, s49
	s_delay_alu instid0(SALU_CYCLE_1)
	s_and_not1_b32 vcc_lo, s41, exec_lo
	s_and_b32 s49, s50, exec_lo
	s_and_b32 s48, s48, exec_lo
	s_or_b32 s49, vcc_lo, s49
                                        ; implicit-def: $vgpr3
                                        ; implicit-def: $vgpr1_vgpr2
                                        ; implicit-def: $vgpr17
.LBB47_6487:
	s_and_not1_saveexec_b32 s50, s0
	s_cbranch_execz .LBB47_6493
; %bb.6488:
	s_mov_b32 s52, -1
	s_mov_b32 s0, s48
	s_mov_b32 s51, exec_lo
	v_cmpx_eq_u16_e32 44, v3
	s_cbranch_execz .LBB47_6492
; %bb.6489:
	v_bfe_u32 v4, v17, 23, 8
	v_mov_b32_e32 v3, 0xff
	s_mov_b32 s52, exec_lo
	s_delay_alu instid0(VALU_DEP_2)
	v_cmpx_ne_u32_e32 0xff, v4
; %bb.6490:
	v_and_b32_e32 v3, 0x400000, v17
	v_and_or_b32 v4, 0x3fffff, v17, v4
	s_delay_alu instid0(VALU_DEP_2) | instskip(NEXT) | instid1(VALU_DEP_2)
	v_cmp_ne_u32_e32 vcc_lo, 0, v3
	v_cmp_ne_u32_e64 s0, 0, v4
	v_lshrrev_b32_e32 v3, 23, v17
	s_delay_alu instid0(VALU_DEP_2) | instskip(NEXT) | instid1(SALU_CYCLE_1)
	s_and_b32 s0, vcc_lo, s0
	v_cndmask_b32_e64 v4, 0, 1, s0
	s_delay_alu instid0(VALU_DEP_1)
	v_add_nc_u32_e32 v3, v3, v4
; %bb.6491:
	s_or_b32 exec_lo, exec_lo, s52
	s_delay_alu instid0(SALU_CYCLE_1)
	s_xor_b32 s52, exec_lo, -1
	s_or_b32 s0, s48, exec_lo
	flat_store_b8 v[1:2], v3
.LBB47_6492:
	s_or_b32 exec_lo, exec_lo, s51
	s_delay_alu instid0(SALU_CYCLE_1)
	s_and_not1_b32 vcc_lo, s49, exec_lo
	s_and_b32 s49, s52, exec_lo
	s_and_not1_b32 s48, s48, exec_lo
	s_and_b32 s0, s0, exec_lo
	s_or_b32 s49, vcc_lo, s49
	s_or_b32 s48, s48, s0
.LBB47_6493:
	s_or_b32 exec_lo, exec_lo, s50
	s_delay_alu instid0(SALU_CYCLE_1) | instskip(SKIP_1) | instid1(SALU_CYCLE_1)
	s_and_not1_b32 s0, s41, exec_lo
	s_and_b32 vcc_lo, s49, exec_lo
                                        ; implicit-def: $vgpr3
                                        ; implicit-def: $vgpr17
                                        ; implicit-def: $vgpr1_vgpr2
	s_or_b32 s49, s0, vcc_lo
	s_and_b32 s0, s48, exec_lo
.LBB47_6494:
	s_and_not1_saveexec_b32 s47, s47
	s_cbranch_execz .LBB47_6498
; %bb.6495:
	s_mov_b32 s51, -1
	s_mov_b32 s50, s0
	s_mov_b32 s48, exec_lo
	v_cmpx_eq_u16_e32 29, v3
	s_cbranch_execz .LBB47_6497
; %bb.6496:
	v_trunc_f32_e32 v3, v17
	s_xor_b32 s51, exec_lo, -1
	s_or_b32 s50, s0, exec_lo
	s_delay_alu instid0(VALU_DEP_1) | instskip(NEXT) | instid1(VALU_DEP_1)
	v_mul_f32_e32 v4, 0x2f800000, v3
	v_floor_f32_e32 v4, v4
	s_delay_alu instid0(VALU_DEP_1) | instskip(SKIP_1) | instid1(VALU_DEP_2)
	v_fmamk_f32 v3, v4, 0xcf800000, v3
	v_cvt_u32_f32_e32 v4, v4
	v_cvt_u32_f32_e32 v3, v3
	flat_store_b64 v[1:2], v[3:4]
.LBB47_6497:
	s_or_b32 exec_lo, exec_lo, s48
	s_delay_alu instid0(SALU_CYCLE_1)
	s_and_not1_b32 vcc_lo, s49, exec_lo
	s_and_b32 s48, s51, exec_lo
	s_and_not1_b32 s0, s0, exec_lo
	s_and_b32 s50, s50, exec_lo
	s_or_b32 s49, vcc_lo, s48
	s_or_b32 s0, s0, s50
.LBB47_6498:
	s_or_b32 exec_lo, exec_lo, s47
	s_delay_alu instid0(SALU_CYCLE_1)
	s_and_not1_b32 vcc_lo, s41, exec_lo
	s_and_b32 s47, s49, exec_lo
	s_and_b32 s0, s0, exec_lo
	s_or_b32 s47, vcc_lo, s47
                                        ; implicit-def: $vgpr1_vgpr2
                                        ; implicit-def: $vgpr3
                                        ; implicit-def: $vgpr17
.LBB47_6499:
	s_and_not1_saveexec_b32 s45, s45
	s_cbranch_execz .LBB47_6515
; %bb.6500:
	s_mov_b32 s48, exec_lo
	v_cmpx_lt_i16_e32 26, v3
	s_xor_b32 s48, exec_lo, s48
	s_cbranch_execz .LBB47_6506
; %bb.6501:
	v_cmp_lt_i16_e32 vcc_lo, 27, v3
	v_cvt_u32_f32_e32 v3, v17
	s_and_saveexec_b32 s49, vcc_lo
	s_delay_alu instid0(SALU_CYCLE_1)
	s_xor_b32 vcc_lo, exec_lo, s49
	s_cbranch_execz .LBB47_6503
; %bb.6502:
	flat_store_b32 v[1:2], v3
                                        ; implicit-def: $vgpr1_vgpr2
                                        ; implicit-def: $vgpr3
.LBB47_6503:
	s_and_not1_saveexec_b32 vcc_lo, vcc_lo
	s_cbranch_execz .LBB47_6505
; %bb.6504:
	flat_store_b16 v[1:2], v3
.LBB47_6505:
	s_or_b32 exec_lo, exec_lo, vcc_lo
                                        ; implicit-def: $vgpr1_vgpr2
                                        ; implicit-def: $vgpr17
.LBB47_6506:
	s_and_not1_saveexec_b32 s48, s48
	s_cbranch_execz .LBB47_6514
; %bb.6507:
	v_and_b32_e32 v3, 0x7fffffff, v17
	v_mov_b32_e32 v4, 0x80
	s_mov_b32 s49, exec_lo
	s_delay_alu instid0(VALU_DEP_2)
	v_cmpx_gt_u32_e32 0x43800000, v3
	s_cbranch_execz .LBB47_6513
; %bb.6508:
	v_cmp_lt_u32_e32 vcc_lo, 0x3bffffff, v3
	s_mov_b32 s50, 0
                                        ; implicit-def: $vgpr3
	s_and_saveexec_b32 s51, vcc_lo
	s_delay_alu instid0(SALU_CYCLE_1)
	s_xor_b32 vcc_lo, exec_lo, s51
	s_cbranch_execnz .LBB47_7234
; %bb.6509:
	s_or_saveexec_b32 s51, vcc_lo
                                        ; implicit-def: $vcc_lo
	s_delay_alu instid0(SALU_CYCLE_1)
	s_xor_b32 exec_lo, exec_lo, s51
	s_cbranch_execnz .LBB47_7235
.LBB47_6510:
	s_or_b32 exec_lo, exec_lo, s51
	v_mov_b32_e32 v4, vcc_lo
	s_and_saveexec_b32 vcc_lo, s50
.LBB47_6511:
	v_lshrrev_b32_e32 v4, 24, v17
	s_delay_alu instid0(VALU_DEP_1)
	v_and_or_b32 v4, 0x80, v4, v3
.LBB47_6512:
	s_or_b32 exec_lo, exec_lo, vcc_lo
.LBB47_6513:
	s_delay_alu instid0(SALU_CYCLE_1)
	s_or_b32 exec_lo, exec_lo, s49
	flat_store_b8 v[1:2], v4
.LBB47_6514:
	s_or_b32 exec_lo, exec_lo, s48
	s_delay_alu instid0(SALU_CYCLE_1)
	s_or_b32 s0, s0, exec_lo
.LBB47_6515:
	s_or_b32 exec_lo, exec_lo, s45
	s_delay_alu instid0(SALU_CYCLE_1)
	s_and_not1_b32 vcc_lo, s41, exec_lo
	s_and_b32 s45, s47, exec_lo
	s_and_b32 s0, s0, exec_lo
	s_or_b32 s45, vcc_lo, s45
                                        ; implicit-def: $vgpr3
                                        ; implicit-def: $vgpr17
                                        ; implicit-def: $vgpr1_vgpr2
.LBB47_6516:
	s_and_not1_saveexec_b32 s46, s46
	s_cbranch_execz .LBB47_6560
; %bb.6517:
	s_mov_b32 s48, s0
	s_mov_b32 s47, exec_lo
	v_cmpx_lt_i16_e32 22, v3
	s_xor_b32 s47, exec_lo, s47
	s_cbranch_execz .LBB47_6549
; %bb.6518:
	s_mov_b32 s48, exec_lo
	v_cmpx_lt_i16_e32 23, v3
	s_xor_b32 s48, exec_lo, s48
	s_cbranch_execz .LBB47_6538
; %bb.6519:
	;; [unrolled: 5-line block ×3, first 2 shown]
	v_and_b32_e32 v3, 0x7fffffff, v17
	v_mov_b32_e32 v4, 0x80
	s_mov_b32 s50, exec_lo
	s_delay_alu instid0(VALU_DEP_2)
	v_cmpx_gt_u32_e32 0x47800000, v3
	s_cbranch_execz .LBB47_6526
; %bb.6521:
	v_cmp_lt_u32_e32 vcc_lo, 0x37ffffff, v3
	s_mov_b32 s51, 0
                                        ; implicit-def: $vgpr3
	s_and_saveexec_b32 s52, vcc_lo
	s_delay_alu instid0(SALU_CYCLE_1)
	s_xor_b32 vcc_lo, exec_lo, s52
	s_cbranch_execnz .LBB47_7358
; %bb.6522:
	s_or_saveexec_b32 s52, vcc_lo
                                        ; implicit-def: $vcc_lo
	s_delay_alu instid0(SALU_CYCLE_1)
	s_xor_b32 exec_lo, exec_lo, s52
	s_cbranch_execnz .LBB47_7359
.LBB47_6523:
	s_or_b32 exec_lo, exec_lo, s52
	v_mov_b32_e32 v4, vcc_lo
	s_and_saveexec_b32 vcc_lo, s51
.LBB47_6524:
	v_lshrrev_b32_e32 v4, 24, v17
	s_delay_alu instid0(VALU_DEP_1)
	v_and_or_b32 v4, 0x80, v4, v3
.LBB47_6525:
	s_or_b32 exec_lo, exec_lo, vcc_lo
.LBB47_6526:
	s_delay_alu instid0(SALU_CYCLE_1)
	s_or_b32 exec_lo, exec_lo, s50
	flat_store_b8 v[1:2], v4
                                        ; implicit-def: $vgpr17
                                        ; implicit-def: $vgpr1_vgpr2
.LBB47_6527:
	s_and_not1_saveexec_b32 s49, s49
	s_cbranch_execz .LBB47_6537
; %bb.6528:
	v_and_b32_e32 v4, 0x7fffffff, v17
	s_mov_b32 s50, exec_lo
                                        ; implicit-def: $vgpr3
	s_delay_alu instid0(VALU_DEP_1)
	v_cmpx_gt_u32_e32 0x43f00000, v4
	s_xor_b32 s50, exec_lo, s50
	s_cbranch_execz .LBB47_6534
; %bb.6529:
	s_mov_b32 s51, exec_lo
                                        ; implicit-def: $vgpr3
	v_cmpx_lt_u32_e32 0x3c7fffff, v4
	s_xor_b32 s51, exec_lo, s51
; %bb.6530:
	v_bfe_u32 v3, v17, 20, 1
	s_delay_alu instid0(VALU_DEP_1) | instskip(NEXT) | instid1(VALU_DEP_1)
	v_add3_u32 v3, v17, v3, 0x407ffff
	v_and_b32_e32 v4, 0xff00000, v3
	v_lshrrev_b32_e32 v3, 20, v3
	s_delay_alu instid0(VALU_DEP_2) | instskip(NEXT) | instid1(VALU_DEP_2)
	v_cmp_ne_u32_e32 vcc_lo, 0x7f00000, v4
	v_cndmask_b32_e32 v3, 0x7e, v3, vcc_lo
; %bb.6531:
	s_and_not1_saveexec_b32 vcc_lo, s51
; %bb.6532:
	v_add_f32_e64 v3, 0x46800000, |v17|
; %bb.6533:
	s_or_b32 exec_lo, exec_lo, vcc_lo
                                        ; implicit-def: $vgpr4
.LBB47_6534:
	s_and_not1_saveexec_b32 s50, s50
; %bb.6535:
	v_mov_b32_e32 v3, 0x7f
	v_cmp_lt_u32_e32 vcc_lo, 0x7f800000, v4
	s_delay_alu instid0(VALU_DEP_2)
	v_cndmask_b32_e32 v3, 0x7e, v3, vcc_lo
; %bb.6536:
	s_or_b32 exec_lo, exec_lo, s50
	v_lshrrev_b32_e32 v4, 24, v17
	s_delay_alu instid0(VALU_DEP_1)
	v_and_or_b32 v3, 0x80, v4, v3
	flat_store_b8 v[1:2], v3
.LBB47_6537:
	s_or_b32 exec_lo, exec_lo, s49
                                        ; implicit-def: $vgpr17
                                        ; implicit-def: $vgpr1_vgpr2
.LBB47_6538:
	s_and_not1_saveexec_b32 s48, s48
	s_cbranch_execz .LBB47_6548
; %bb.6539:
	v_and_b32_e32 v4, 0x7fffffff, v17
	s_mov_b32 s49, exec_lo
                                        ; implicit-def: $vgpr3
	s_delay_alu instid0(VALU_DEP_1)
	v_cmpx_gt_u32_e32 0x47800000, v4
	s_xor_b32 s49, exec_lo, s49
	s_cbranch_execz .LBB47_6545
; %bb.6540:
	v_cmp_lt_u32_e32 vcc_lo, 0x387fffff, v4
                                        ; implicit-def: $vgpr3
	s_and_saveexec_b32 s50, vcc_lo
	s_delay_alu instid0(SALU_CYCLE_1)
	s_xor_b32 vcc_lo, exec_lo, s50
; %bb.6541:
	v_bfe_u32 v3, v17, 21, 1
	s_delay_alu instid0(VALU_DEP_1) | instskip(NEXT) | instid1(VALU_DEP_1)
	v_add3_u32 v3, v17, v3, 0x80fffff
	v_lshrrev_b32_e32 v3, 21, v3
; %bb.6542:
	s_and_not1_saveexec_b32 vcc_lo, vcc_lo
; %bb.6543:
	v_add_f32_e64 v3, 0x43000000, |v17|
; %bb.6544:
	s_or_b32 exec_lo, exec_lo, vcc_lo
                                        ; implicit-def: $vgpr4
.LBB47_6545:
	s_and_not1_saveexec_b32 s49, s49
; %bb.6546:
	v_mov_b32_e32 v3, 0x7f
	v_cmp_lt_u32_e32 vcc_lo, 0x7f800000, v4
	s_delay_alu instid0(VALU_DEP_2)
	v_cndmask_b32_e32 v3, 0x7c, v3, vcc_lo
; %bb.6547:
	s_or_b32 exec_lo, exec_lo, s49
	v_lshrrev_b32_e32 v4, 24, v17
	s_delay_alu instid0(VALU_DEP_1)
	v_and_or_b32 v3, 0x80, v4, v3
	flat_store_b8 v[1:2], v3
.LBB47_6548:
	s_or_b32 exec_lo, exec_lo, s48
	s_delay_alu instid0(SALU_CYCLE_1)
	s_or_b32 s48, s0, exec_lo
                                        ; implicit-def: $vgpr3
                                        ; implicit-def: $vgpr17
                                        ; implicit-def: $vgpr1_vgpr2
.LBB47_6549:
	s_or_saveexec_b32 s47, s47
	s_mov_b32 vcc_lo, s45
	s_xor_b32 exec_lo, exec_lo, s47
	s_cbranch_execz .LBB47_6559
; %bb.6550:
	s_mov_b32 s49, s48
	s_mov_b32 s50, s45
	s_mov_b32 s51, exec_lo
	v_cmpx_lt_i16_e32 14, v3
	s_xor_b32 s51, exec_lo, s51
	s_cbranch_execz .LBB47_6554
; %bb.6551:
	s_mov_b32 s52, -1
	s_mov_b32 s49, s48
	s_mov_b32 s50, exec_lo
	v_cmpx_eq_u16_e32 15, v3
	s_cbranch_execz .LBB47_6553
; %bb.6552:
	v_bfe_u32 v3, v17, 16, 1
	v_cmp_o_f32_e32 vcc_lo, v17, v17
	s_xor_b32 s52, exec_lo, -1
	s_or_b32 s49, s48, exec_lo
	s_delay_alu instid0(VALU_DEP_2) | instskip(NEXT) | instid1(VALU_DEP_1)
	v_add3_u32 v3, v17, v3, 0x7fff
	v_lshrrev_b32_e32 v3, 16, v3
	s_delay_alu instid0(VALU_DEP_1)
	v_cndmask_b32_e32 v3, 0x7fc0, v3, vcc_lo
	flat_store_b16 v[1:2], v3
.LBB47_6553:
	s_or_b32 exec_lo, exec_lo, s50
	s_delay_alu instid0(SALU_CYCLE_1)
	s_and_not1_b32 vcc_lo, s45, exec_lo
	s_and_b32 s50, s52, exec_lo
	s_and_not1_b32 s52, s48, exec_lo
	s_and_b32 s49, s49, exec_lo
	s_or_b32 s50, vcc_lo, s50
	s_or_b32 s49, s52, s49
                                        ; implicit-def: $vgpr3
                                        ; implicit-def: $vgpr17
                                        ; implicit-def: $vgpr1_vgpr2
.LBB47_6554:
	s_and_not1_saveexec_b32 s51, s51
	s_cbranch_execz .LBB47_6558
; %bb.6555:
	s_mov_b32 s53, -1
	s_mov_b32 s52, s49
	s_mov_b32 s54, exec_lo
	v_cmpx_eq_u16_e32 11, v3
	s_cbranch_execz .LBB47_6557
; %bb.6556:
	v_cmp_neq_f32_e32 vcc_lo, 0, v17
	s_xor_b32 s53, exec_lo, -1
	s_or_b32 s52, s49, exec_lo
	v_cndmask_b32_e64 v3, 0, 1, vcc_lo
	flat_store_b8 v[1:2], v3
.LBB47_6557:
	s_or_b32 exec_lo, exec_lo, s54
	s_delay_alu instid0(SALU_CYCLE_1)
	s_and_not1_b32 vcc_lo, s50, exec_lo
	s_and_b32 s50, s53, exec_lo
	s_and_not1_b32 s49, s49, exec_lo
	s_and_b32 s52, s52, exec_lo
	s_or_b32 s50, vcc_lo, s50
	s_or_b32 s49, s49, s52
.LBB47_6558:
	s_or_b32 exec_lo, exec_lo, s51
	s_delay_alu instid0(SALU_CYCLE_1)
	s_and_not1_b32 vcc_lo, s45, exec_lo
	s_and_b32 s50, s50, exec_lo
	s_and_not1_b32 s48, s48, exec_lo
	s_and_b32 s49, s49, exec_lo
	s_or_b32 vcc_lo, vcc_lo, s50
	s_or_b32 s48, s48, s49
.LBB47_6559:
	s_or_b32 exec_lo, exec_lo, s47
	s_delay_alu instid0(SALU_CYCLE_1)
	s_and_not1_b32 s45, s45, exec_lo
	s_and_b32 vcc_lo, vcc_lo, exec_lo
	s_and_not1_b32 s0, s0, exec_lo
	s_and_b32 s47, s48, exec_lo
	s_or_b32 s45, s45, vcc_lo
	s_or_b32 s0, s0, s47
.LBB47_6560:
	s_or_b32 exec_lo, exec_lo, s46
	s_delay_alu instid0(SALU_CYCLE_1)
	s_and_not1_b32 vcc_lo, s41, exec_lo
	s_and_b32 s45, s45, exec_lo
	s_and_b32 s0, s0, exec_lo
	s_or_b32 s45, vcc_lo, s45
                                        ; implicit-def: $vgpr3
                                        ; implicit-def: $vgpr17
                                        ; implicit-def: $vgpr1_vgpr2
	s_and_not1_saveexec_b32 s43, s43
	s_cbranch_execz .LBB47_3972
.LBB47_6561:
	s_mov_b32 s46, exec_lo
	v_cmpx_lt_i16_e32 4, v3
	s_xor_b32 s46, exec_lo, s46
	s_cbranch_execz .LBB47_6583
; %bb.6562:
	s_mov_b32 s47, exec_lo
	v_cmpx_lt_i16_e32 7, v3
	s_xor_b32 s47, exec_lo, s47
	s_cbranch_execz .LBB47_6572
; %bb.6563:
	;; [unrolled: 5-line block ×3, first 2 shown]
	v_cmp_lt_i16_e32 vcc_lo, 9, v3
	s_and_saveexec_b32 s49, vcc_lo
	s_delay_alu instid0(SALU_CYCLE_1)
	s_xor_b32 vcc_lo, exec_lo, s49
	s_cbranch_execz .LBB47_6566
; %bb.6565:
	v_cvt_f64_f32_e32 v[17:18], v17
	v_mov_b32_e32 v19, 0
	s_delay_alu instid0(VALU_DEP_1)
	v_mov_b32_e32 v20, v19
	flat_store_b128 v[1:2], v[17:20]
                                        ; implicit-def: $vgpr17
                                        ; implicit-def: $vgpr1_vgpr2
.LBB47_6566:
	s_and_not1_saveexec_b32 vcc_lo, vcc_lo
	s_cbranch_execz .LBB47_6568
; %bb.6567:
	v_mov_b32_e32 v18, 0
	flat_store_b64 v[1:2], v[17:18]
.LBB47_6568:
	s_or_b32 exec_lo, exec_lo, vcc_lo
                                        ; implicit-def: $vgpr17
                                        ; implicit-def: $vgpr1_vgpr2
.LBB47_6569:
	s_and_not1_saveexec_b32 vcc_lo, s48
	s_cbranch_execz .LBB47_6571
; %bb.6570:
	v_cvt_f16_f32_e32 v3, v17
	s_delay_alu instid0(VALU_DEP_1)
	v_and_b32_e32 v3, 0xffff, v3
	flat_store_b32 v[1:2], v3
.LBB47_6571:
	s_or_b32 exec_lo, exec_lo, vcc_lo
                                        ; implicit-def: $vgpr17
                                        ; implicit-def: $vgpr1_vgpr2
                                        ; implicit-def: $vgpr3
.LBB47_6572:
	s_and_not1_saveexec_b32 s47, s47
	s_cbranch_execz .LBB47_6582
; %bb.6573:
	s_mov_b32 s48, exec_lo
	v_cmpx_lt_i16_e32 5, v3
	s_xor_b32 s48, exec_lo, s48
	s_cbranch_execz .LBB47_6579
; %bb.6574:
	v_cmp_lt_i16_e32 vcc_lo, 6, v3
	s_and_saveexec_b32 s49, vcc_lo
	s_delay_alu instid0(SALU_CYCLE_1)
	s_xor_b32 vcc_lo, exec_lo, s49
	s_cbranch_execz .LBB47_6576
; %bb.6575:
	v_cvt_f64_f32_e32 v[3:4], v17
                                        ; implicit-def: $vgpr17
	flat_store_b64 v[1:2], v[3:4]
                                        ; implicit-def: $vgpr1_vgpr2
.LBB47_6576:
	s_and_not1_saveexec_b32 vcc_lo, vcc_lo
	s_cbranch_execz .LBB47_6578
; %bb.6577:
	flat_store_b32 v[1:2], v17
.LBB47_6578:
	s_or_b32 exec_lo, exec_lo, vcc_lo
                                        ; implicit-def: $vgpr17
                                        ; implicit-def: $vgpr1_vgpr2
.LBB47_6579:
	s_and_not1_saveexec_b32 vcc_lo, s48
	s_cbranch_execz .LBB47_6581
; %bb.6580:
	v_cvt_f16_f32_e32 v3, v17
	flat_store_b16 v[1:2], v3
.LBB47_6581:
	s_or_b32 exec_lo, exec_lo, vcc_lo
.LBB47_6582:
	s_delay_alu instid0(SALU_CYCLE_1)
	s_or_b32 exec_lo, exec_lo, s47
                                        ; implicit-def: $vgpr3
                                        ; implicit-def: $vgpr17
                                        ; implicit-def: $vgpr1_vgpr2
.LBB47_6583:
	s_and_not1_saveexec_b32 s46, s46
	s_cbranch_execz .LBB47_6601
; %bb.6584:
	s_mov_b32 s47, exec_lo
	v_cmpx_lt_i16_e32 1, v3
	s_xor_b32 s47, exec_lo, s47
	s_cbranch_execz .LBB47_6594
; %bb.6585:
	s_mov_b32 s48, exec_lo
	v_cmpx_lt_i16_e32 2, v3
	s_xor_b32 s48, exec_lo, s48
	;; [unrolled: 5-line block ×3, first 2 shown]
	s_cbranch_execz .LBB47_6588
; %bb.6587:
	v_trunc_f32_e32 v3, v17
                                        ; implicit-def: $vgpr17
	s_delay_alu instid0(VALU_DEP_1) | instskip(SKIP_1) | instid1(VALU_DEP_2)
	v_mul_f32_e64 v4, 0x2f800000, |v3|
	v_ashrrev_i32_e32 v10, 31, v3
	v_floor_f32_e32 v4, v4
	s_delay_alu instid0(VALU_DEP_1) | instskip(SKIP_1) | instid1(VALU_DEP_2)
	v_fma_f32 v5, 0xcf800000, v4, |v3|
	v_cvt_u32_f32_e32 v4, v4
	v_cvt_u32_f32_e32 v3, v5
	s_delay_alu instid0(VALU_DEP_2) | instskip(NEXT) | instid1(VALU_DEP_2)
	v_xor_b32_e32 v4, v4, v10
	v_xor_b32_e32 v3, v3, v10
	s_delay_alu instid0(VALU_DEP_1) | instskip(NEXT) | instid1(VALU_DEP_3)
	v_sub_co_u32 v3, vcc_lo, v3, v10
	v_sub_co_ci_u32_e32 v4, vcc_lo, v4, v10, vcc_lo
	flat_store_b64 v[1:2], v[3:4]
                                        ; implicit-def: $vgpr1_vgpr2
.LBB47_6588:
	s_and_not1_saveexec_b32 vcc_lo, s49
	s_cbranch_execz .LBB47_6590
; %bb.6589:
	v_cvt_i32_f32_e32 v3, v17
	flat_store_b32 v[1:2], v3
.LBB47_6590:
	s_or_b32 exec_lo, exec_lo, vcc_lo
                                        ; implicit-def: $vgpr17
                                        ; implicit-def: $vgpr1_vgpr2
.LBB47_6591:
	s_and_not1_saveexec_b32 vcc_lo, s48
	s_cbranch_execz .LBB47_6593
; %bb.6592:
	v_cvt_i32_f32_e32 v3, v17
	flat_store_b16 v[1:2], v3
.LBB47_6593:
	s_or_b32 exec_lo, exec_lo, vcc_lo
                                        ; implicit-def: $vgpr17
                                        ; implicit-def: $vgpr1_vgpr2
                                        ; implicit-def: $vgpr3
.LBB47_6594:
	s_and_not1_saveexec_b32 s47, s47
	s_cbranch_execz .LBB47_6600
; %bb.6595:
	v_cmp_lt_i16_e32 vcc_lo, 0, v3
	s_and_saveexec_b32 s48, vcc_lo
	s_delay_alu instid0(SALU_CYCLE_1)
	s_xor_b32 vcc_lo, exec_lo, s48
	s_cbranch_execz .LBB47_6597
; %bb.6596:
	v_cvt_i32_f32_e32 v3, v17
                                        ; implicit-def: $vgpr17
	flat_store_b8 v[1:2], v3
                                        ; implicit-def: $vgpr1_vgpr2
.LBB47_6597:
	s_and_not1_saveexec_b32 vcc_lo, vcc_lo
	s_cbranch_execz .LBB47_6599
; %bb.6598:
	v_trunc_f32_e32 v3, v17
	s_delay_alu instid0(VALU_DEP_1) | instskip(NEXT) | instid1(VALU_DEP_1)
	v_mul_f32_e64 v4, 0x2f800000, |v3|
	v_floor_f32_e32 v4, v4
	s_delay_alu instid0(VALU_DEP_1) | instskip(SKIP_1) | instid1(VALU_DEP_2)
	v_fma_f32 v4, 0xcf800000, v4, |v3|
	v_ashrrev_i32_e32 v3, 31, v3
	v_cvt_u32_f32_e32 v4, v4
	s_delay_alu instid0(VALU_DEP_1) | instskip(NEXT) | instid1(VALU_DEP_1)
	v_xor_b32_e32 v4, v4, v3
	v_sub_nc_u32_e32 v3, v4, v3
	flat_store_b8 v[1:2], v3
.LBB47_6599:
	s_or_b32 exec_lo, exec_lo, vcc_lo
.LBB47_6600:
	s_delay_alu instid0(SALU_CYCLE_1)
	s_or_b32 exec_lo, exec_lo, s47
.LBB47_6601:
	s_delay_alu instid0(SALU_CYCLE_1) | instskip(NEXT) | instid1(SALU_CYCLE_1)
	s_or_b32 exec_lo, exec_lo, s46
	s_or_b32 s0, s0, exec_lo
	s_or_b32 exec_lo, exec_lo, s43
	s_mov_b32 vcc_lo, 0
	s_and_saveexec_b32 s43, s0
	s_cbranch_execnz .LBB47_3973
	s_branch .LBB47_3974
.LBB47_6602:
	v_bfe_u32 v3, v23, 21, 1
	s_mov_b32 s39, exec_lo
	s_delay_alu instid0(VALU_DEP_1) | instskip(NEXT) | instid1(VALU_DEP_1)
	v_add3_u32 v3, v23, v3, 0x88fffff
	v_lshrrev_b32_e32 v3, 21, v3
	s_or_saveexec_b32 s40, vcc_lo
                                        ; implicit-def: $vcc_lo
	s_delay_alu instid0(SALU_CYCLE_1)
	s_xor_b32 exec_lo, exec_lo, s40
	s_cbranch_execz .LBB47_5767
.LBB47_6603:
	v_add_f32_e64 v3, 0x42800000, |v23|
	s_and_not1_b32 s39, s39, exec_lo
	s_delay_alu instid0(VALU_DEP_1) | instskip(NEXT) | instid1(VALU_DEP_1)
	v_and_b32_e32 v3, 0xff, v3
	v_cmp_ne_u32_e32 vcc_lo, 0, v3
	s_and_b32 s41, vcc_lo, exec_lo
	s_mov_b32 vcc_lo, 0
	s_or_b32 s39, s39, s41
	s_or_b32 exec_lo, exec_lo, s40
	v_mov_b32_e32 v4, vcc_lo
	s_and_saveexec_b32 vcc_lo, s39
	s_cbranch_execnz .LBB47_5768
	s_branch .LBB47_5769
.LBB47_6604:
	v_bfe_u32 v3, v22, 20, 1
	s_mov_b32 s40, exec_lo
	s_delay_alu instid0(VALU_DEP_1) | instskip(NEXT) | instid1(VALU_DEP_1)
	v_add3_u32 v3, v22, v3, 0x487ffff
	v_lshrrev_b32_e32 v3, 20, v3
	s_or_saveexec_b32 s41, vcc_lo
                                        ; implicit-def: $vcc_lo
	s_delay_alu instid0(SALU_CYCLE_1)
	s_xor_b32 exec_lo, exec_lo, s41
	s_cbranch_execz .LBB47_5880
.LBB47_6605:
	v_add_f32_e64 v3, 0x46000000, |v22|
	s_and_not1_b32 s40, s40, exec_lo
	s_delay_alu instid0(VALU_DEP_1) | instskip(NEXT) | instid1(VALU_DEP_1)
	v_and_b32_e32 v3, 0xff, v3
	v_cmp_ne_u32_e32 vcc_lo, 0, v3
	s_and_b32 s42, vcc_lo, exec_lo
	s_mov_b32 vcc_lo, 0
	s_or_b32 s40, s40, s42
	s_or_b32 exec_lo, exec_lo, s41
	v_mov_b32_e32 v4, vcc_lo
	s_and_saveexec_b32 vcc_lo, s40
	s_cbranch_execnz .LBB47_5881
	s_branch .LBB47_5882
.LBB47_6606:
	s_mov_b32 s47, s43
	s_mov_b32 s48, exec_lo
	v_cmpx_lt_i16_e32 25, v3
	s_xor_b32 s48, exec_lo, s48
	s_cbranch_execz .LBB47_6642
; %bb.6607:
	s_mov_b32 s49, s43
	s_mov_b32 s47, exec_lo
	v_cmpx_lt_i16_e32 28, v3
	s_xor_b32 s47, exec_lo, s47
	s_cbranch_execz .LBB47_6625
; %bb.6608:
	;; [unrolled: 6-line block ×3, first 2 shown]
	s_mov_b32 s50, 0
	s_mov_b32 s51, s43
	s_mov_b32 s0, exec_lo
	v_cmpx_lt_i16_e32 45, v3
	s_xor_b32 s0, exec_lo, s0
	s_cbranch_execz .LBB47_6613
; %bb.6610:
	s_mov_b32 s52, -1
	s_mov_b32 s51, exec_lo
	v_cmpx_eq_u16_e32 46, v3
	s_cbranch_execz .LBB47_6612
; %bb.6611:
	s_waitcnt vmcnt(0) lgkmcnt(0)
	v_bfe_u32 v3, v16, 16, 1
	v_cmp_o_f32_e32 vcc_lo, v16, v16
	s_mov_b32 s50, exec_lo
	s_xor_b32 s52, exec_lo, -1
	s_delay_alu instid0(VALU_DEP_2) | instskip(NEXT) | instid1(VALU_DEP_1)
	v_add3_u32 v3, v16, v3, 0x7fff
	v_lshrrev_b32_e32 v3, 16, v3
	s_delay_alu instid0(VALU_DEP_1)
	v_cndmask_b32_e32 v3, 0x7fc0, v3, vcc_lo
	flat_store_b32 v[1:2], v3
.LBB47_6612:
	s_or_b32 exec_lo, exec_lo, s51
	s_delay_alu instid0(SALU_CYCLE_1)
	s_and_not1_b32 vcc_lo, s43, exec_lo
	s_and_b32 s51, s52, exec_lo
	s_and_b32 s50, s50, exec_lo
	s_or_b32 s51, vcc_lo, s51
                                        ; implicit-def: $vgpr3
                                        ; implicit-def: $vgpr1_vgpr2
                                        ; implicit-def: $vgpr16
.LBB47_6613:
	s_and_not1_saveexec_b32 s52, s0
	s_cbranch_execz .LBB47_6619
; %bb.6614:
	s_mov_b32 s54, -1
	s_mov_b32 s0, s50
	s_mov_b32 s53, exec_lo
	v_cmpx_eq_u16_e32 44, v3
	s_cbranch_execz .LBB47_6618
; %bb.6615:
	s_waitcnt vmcnt(0) lgkmcnt(0)
	v_bfe_u32 v4, v16, 23, 8
	v_mov_b32_e32 v3, 0xff
	s_mov_b32 s54, exec_lo
	s_delay_alu instid0(VALU_DEP_2)
	v_cmpx_ne_u32_e32 0xff, v4
; %bb.6616:
	v_and_b32_e32 v3, 0x400000, v16
	v_and_or_b32 v4, 0x3fffff, v16, v4
	s_delay_alu instid0(VALU_DEP_2) | instskip(NEXT) | instid1(VALU_DEP_2)
	v_cmp_ne_u32_e32 vcc_lo, 0, v3
	v_cmp_ne_u32_e64 s0, 0, v4
	v_lshrrev_b32_e32 v3, 23, v16
	s_delay_alu instid0(VALU_DEP_2) | instskip(NEXT) | instid1(SALU_CYCLE_1)
	s_and_b32 s0, vcc_lo, s0
	v_cndmask_b32_e64 v4, 0, 1, s0
	s_delay_alu instid0(VALU_DEP_1)
	v_add_nc_u32_e32 v3, v3, v4
; %bb.6617:
	s_or_b32 exec_lo, exec_lo, s54
	s_delay_alu instid0(SALU_CYCLE_1)
	s_xor_b32 s54, exec_lo, -1
	s_or_b32 s0, s50, exec_lo
	flat_store_b8 v[1:2], v3
.LBB47_6618:
	s_or_b32 exec_lo, exec_lo, s53
	s_delay_alu instid0(SALU_CYCLE_1)
	s_and_not1_b32 vcc_lo, s51, exec_lo
	s_and_b32 s51, s54, exec_lo
	s_and_not1_b32 s50, s50, exec_lo
	s_and_b32 s0, s0, exec_lo
	s_or_b32 s51, vcc_lo, s51
	s_or_b32 s50, s50, s0
.LBB47_6619:
	s_or_b32 exec_lo, exec_lo, s52
	s_delay_alu instid0(SALU_CYCLE_1) | instskip(SKIP_1) | instid1(SALU_CYCLE_1)
	s_and_not1_b32 s0, s43, exec_lo
	s_and_b32 vcc_lo, s51, exec_lo
                                        ; implicit-def: $vgpr3
                                        ; implicit-def: $vgpr16
                                        ; implicit-def: $vgpr1_vgpr2
	s_or_b32 s51, s0, vcc_lo
	s_and_b32 s0, s50, exec_lo
.LBB47_6620:
	s_and_not1_saveexec_b32 s49, s49
	s_cbranch_execz .LBB47_6624
; %bb.6621:
	s_mov_b32 s53, -1
	s_mov_b32 s52, s0
	s_mov_b32 s50, exec_lo
	v_cmpx_eq_u16_e32 29, v3
	s_cbranch_execz .LBB47_6623
; %bb.6622:
	s_waitcnt vmcnt(0) lgkmcnt(0)
	v_trunc_f32_e32 v3, v16
	s_xor_b32 s53, exec_lo, -1
	s_or_b32 s52, s0, exec_lo
	s_delay_alu instid0(VALU_DEP_1) | instskip(NEXT) | instid1(VALU_DEP_1)
	v_mul_f32_e32 v4, 0x2f800000, v3
	v_floor_f32_e32 v4, v4
	s_delay_alu instid0(VALU_DEP_1) | instskip(SKIP_1) | instid1(VALU_DEP_2)
	v_fmamk_f32 v3, v4, 0xcf800000, v3
	v_cvt_u32_f32_e32 v4, v4
	v_cvt_u32_f32_e32 v3, v3
	flat_store_b64 v[1:2], v[3:4]
.LBB47_6623:
	s_or_b32 exec_lo, exec_lo, s50
	s_delay_alu instid0(SALU_CYCLE_1)
	s_and_not1_b32 vcc_lo, s51, exec_lo
	s_and_b32 s50, s53, exec_lo
	s_and_not1_b32 s0, s0, exec_lo
	s_and_b32 s52, s52, exec_lo
	s_or_b32 s51, vcc_lo, s50
	s_or_b32 s0, s0, s52
.LBB47_6624:
	s_or_b32 exec_lo, exec_lo, s49
	s_delay_alu instid0(SALU_CYCLE_1)
	s_and_not1_b32 vcc_lo, s43, exec_lo
	s_and_b32 s49, s51, exec_lo
	s_and_b32 s0, s0, exec_lo
	s_or_b32 s49, vcc_lo, s49
                                        ; implicit-def: $vgpr1_vgpr2
                                        ; implicit-def: $vgpr3
                                        ; implicit-def: $vgpr16
.LBB47_6625:
	s_and_not1_saveexec_b32 s47, s47
	s_cbranch_execz .LBB47_6641
; %bb.6626:
	s_mov_b32 s50, exec_lo
	v_cmpx_lt_i16_e32 26, v3
	s_xor_b32 s50, exec_lo, s50
	s_cbranch_execz .LBB47_6632
; %bb.6627:
	v_cmp_lt_i16_e32 vcc_lo, 27, v3
	s_and_saveexec_b32 s51, vcc_lo
	s_delay_alu instid0(SALU_CYCLE_1)
	s_xor_b32 vcc_lo, exec_lo, s51
	s_cbranch_execz .LBB47_6629
; %bb.6628:
	s_waitcnt vmcnt(0) lgkmcnt(0)
	v_cvt_u32_f32_e32 v3, v16
                                        ; implicit-def: $vgpr16
	flat_store_b32 v[1:2], v3
                                        ; implicit-def: $vgpr1_vgpr2
.LBB47_6629:
	s_and_not1_saveexec_b32 vcc_lo, vcc_lo
	s_cbranch_execz .LBB47_6631
; %bb.6630:
	s_waitcnt vmcnt(0) lgkmcnt(0)
	v_cvt_u32_f32_e32 v3, v16
	flat_store_b16 v[1:2], v3
.LBB47_6631:
	s_or_b32 exec_lo, exec_lo, vcc_lo
                                        ; implicit-def: $vgpr1_vgpr2
                                        ; implicit-def: $vgpr16
.LBB47_6632:
	s_and_not1_saveexec_b32 s50, s50
	s_cbranch_execz .LBB47_6640
; %bb.6633:
	s_waitcnt vmcnt(0) lgkmcnt(0)
	v_and_b32_e32 v3, 0x7fffffff, v16
	v_mov_b32_e32 v4, 0x80
	s_mov_b32 s51, exec_lo
	s_delay_alu instid0(VALU_DEP_2)
	v_cmpx_gt_u32_e32 0x43800000, v3
	s_cbranch_execz .LBB47_6639
; %bb.6634:
	v_cmp_lt_u32_e32 vcc_lo, 0x3bffffff, v3
	s_mov_b32 s52, 0
                                        ; implicit-def: $vgpr3
	s_and_saveexec_b32 s53, vcc_lo
	s_delay_alu instid0(SALU_CYCLE_1)
	s_xor_b32 vcc_lo, exec_lo, s53
	s_cbranch_execnz .LBB47_7360
; %bb.6635:
	s_or_saveexec_b32 s53, vcc_lo
                                        ; implicit-def: $vcc_lo
	s_delay_alu instid0(SALU_CYCLE_1)
	s_xor_b32 exec_lo, exec_lo, s53
	s_cbranch_execnz .LBB47_7361
.LBB47_6636:
	s_or_b32 exec_lo, exec_lo, s53
	v_mov_b32_e32 v4, vcc_lo
	s_and_saveexec_b32 vcc_lo, s52
.LBB47_6637:
	v_lshrrev_b32_e32 v4, 24, v16
	s_delay_alu instid0(VALU_DEP_1)
	v_and_or_b32 v4, 0x80, v4, v3
.LBB47_6638:
	s_or_b32 exec_lo, exec_lo, vcc_lo
.LBB47_6639:
	s_delay_alu instid0(SALU_CYCLE_1)
	s_or_b32 exec_lo, exec_lo, s51
	flat_store_b8 v[1:2], v4
.LBB47_6640:
	s_or_b32 exec_lo, exec_lo, s50
	s_delay_alu instid0(SALU_CYCLE_1)
	s_or_b32 s0, s0, exec_lo
.LBB47_6641:
	s_or_b32 exec_lo, exec_lo, s47
	s_delay_alu instid0(SALU_CYCLE_1)
	s_and_not1_b32 vcc_lo, s43, exec_lo
	s_and_b32 s47, s49, exec_lo
	s_and_b32 s0, s0, exec_lo
	s_or_b32 s47, vcc_lo, s47
                                        ; implicit-def: $vgpr3
                                        ; implicit-def: $vgpr16
                                        ; implicit-def: $vgpr1_vgpr2
.LBB47_6642:
	s_and_not1_saveexec_b32 s48, s48
	s_cbranch_execz .LBB47_6686
; %bb.6643:
	s_mov_b32 s50, s0
	s_mov_b32 s49, exec_lo
	v_cmpx_lt_i16_e32 22, v3
	s_xor_b32 s49, exec_lo, s49
	s_cbranch_execz .LBB47_6675
; %bb.6644:
	s_mov_b32 s50, exec_lo
	v_cmpx_lt_i16_e32 23, v3
	s_xor_b32 s50, exec_lo, s50
	s_cbranch_execz .LBB47_6664
; %bb.6645:
	;; [unrolled: 5-line block ×3, first 2 shown]
	s_waitcnt vmcnt(0) lgkmcnt(0)
	v_and_b32_e32 v3, 0x7fffffff, v16
	v_mov_b32_e32 v4, 0x80
	s_mov_b32 s52, exec_lo
	s_delay_alu instid0(VALU_DEP_2)
	v_cmpx_gt_u32_e32 0x47800000, v3
	s_cbranch_execz .LBB47_6652
; %bb.6647:
	v_cmp_lt_u32_e32 vcc_lo, 0x37ffffff, v3
	s_mov_b32 s53, 0
                                        ; implicit-def: $vgpr3
	s_and_saveexec_b32 s54, vcc_lo
	s_delay_alu instid0(SALU_CYCLE_1)
	s_xor_b32 vcc_lo, exec_lo, s54
	s_cbranch_execnz .LBB47_7484
; %bb.6648:
	s_or_saveexec_b32 s54, vcc_lo
                                        ; implicit-def: $vcc_lo
	s_delay_alu instid0(SALU_CYCLE_1)
	s_xor_b32 exec_lo, exec_lo, s54
	s_cbranch_execnz .LBB47_7485
.LBB47_6649:
	s_or_b32 exec_lo, exec_lo, s54
	v_mov_b32_e32 v4, vcc_lo
	s_and_saveexec_b32 vcc_lo, s53
.LBB47_6650:
	v_lshrrev_b32_e32 v4, 24, v16
	s_delay_alu instid0(VALU_DEP_1)
	v_and_or_b32 v4, 0x80, v4, v3
.LBB47_6651:
	s_or_b32 exec_lo, exec_lo, vcc_lo
.LBB47_6652:
	s_delay_alu instid0(SALU_CYCLE_1)
	s_or_b32 exec_lo, exec_lo, s52
	flat_store_b8 v[1:2], v4
                                        ; implicit-def: $vgpr16
                                        ; implicit-def: $vgpr1_vgpr2
.LBB47_6653:
	s_and_not1_saveexec_b32 s51, s51
	s_cbranch_execz .LBB47_6663
; %bb.6654:
	s_waitcnt vmcnt(0) lgkmcnt(0)
	v_and_b32_e32 v4, 0x7fffffff, v16
	s_mov_b32 s52, exec_lo
                                        ; implicit-def: $vgpr3
	s_delay_alu instid0(VALU_DEP_1)
	v_cmpx_gt_u32_e32 0x43f00000, v4
	s_xor_b32 s52, exec_lo, s52
	s_cbranch_execz .LBB47_6660
; %bb.6655:
	s_mov_b32 s53, exec_lo
                                        ; implicit-def: $vgpr3
	v_cmpx_lt_u32_e32 0x3c7fffff, v4
	s_xor_b32 s53, exec_lo, s53
; %bb.6656:
	v_bfe_u32 v3, v16, 20, 1
	s_delay_alu instid0(VALU_DEP_1) | instskip(NEXT) | instid1(VALU_DEP_1)
	v_add3_u32 v3, v16, v3, 0x407ffff
	v_and_b32_e32 v4, 0xff00000, v3
	v_lshrrev_b32_e32 v3, 20, v3
	s_delay_alu instid0(VALU_DEP_2) | instskip(NEXT) | instid1(VALU_DEP_2)
	v_cmp_ne_u32_e32 vcc_lo, 0x7f00000, v4
	v_cndmask_b32_e32 v3, 0x7e, v3, vcc_lo
; %bb.6657:
	s_and_not1_saveexec_b32 vcc_lo, s53
; %bb.6658:
	v_add_f32_e64 v3, 0x46800000, |v16|
; %bb.6659:
	s_or_b32 exec_lo, exec_lo, vcc_lo
                                        ; implicit-def: $vgpr4
.LBB47_6660:
	s_and_not1_saveexec_b32 s52, s52
; %bb.6661:
	v_mov_b32_e32 v3, 0x7f
	v_cmp_lt_u32_e32 vcc_lo, 0x7f800000, v4
	s_delay_alu instid0(VALU_DEP_2)
	v_cndmask_b32_e32 v3, 0x7e, v3, vcc_lo
; %bb.6662:
	s_or_b32 exec_lo, exec_lo, s52
	v_lshrrev_b32_e32 v4, 24, v16
	s_delay_alu instid0(VALU_DEP_1)
	v_and_or_b32 v3, 0x80, v4, v3
	flat_store_b8 v[1:2], v3
.LBB47_6663:
	s_or_b32 exec_lo, exec_lo, s51
                                        ; implicit-def: $vgpr16
                                        ; implicit-def: $vgpr1_vgpr2
.LBB47_6664:
	s_and_not1_saveexec_b32 s50, s50
	s_cbranch_execz .LBB47_6674
; %bb.6665:
	s_waitcnt vmcnt(0) lgkmcnt(0)
	v_and_b32_e32 v4, 0x7fffffff, v16
	s_mov_b32 s51, exec_lo
                                        ; implicit-def: $vgpr3
	s_delay_alu instid0(VALU_DEP_1)
	v_cmpx_gt_u32_e32 0x47800000, v4
	s_xor_b32 s51, exec_lo, s51
	s_cbranch_execz .LBB47_6671
; %bb.6666:
	v_cmp_lt_u32_e32 vcc_lo, 0x387fffff, v4
                                        ; implicit-def: $vgpr3
	s_and_saveexec_b32 s52, vcc_lo
	s_delay_alu instid0(SALU_CYCLE_1)
	s_xor_b32 vcc_lo, exec_lo, s52
; %bb.6667:
	v_bfe_u32 v3, v16, 21, 1
	s_delay_alu instid0(VALU_DEP_1) | instskip(NEXT) | instid1(VALU_DEP_1)
	v_add3_u32 v3, v16, v3, 0x80fffff
	v_lshrrev_b32_e32 v3, 21, v3
; %bb.6668:
	s_and_not1_saveexec_b32 vcc_lo, vcc_lo
; %bb.6669:
	v_add_f32_e64 v3, 0x43000000, |v16|
; %bb.6670:
	s_or_b32 exec_lo, exec_lo, vcc_lo
                                        ; implicit-def: $vgpr4
.LBB47_6671:
	s_and_not1_saveexec_b32 s51, s51
; %bb.6672:
	v_mov_b32_e32 v3, 0x7f
	v_cmp_lt_u32_e32 vcc_lo, 0x7f800000, v4
	s_delay_alu instid0(VALU_DEP_2)
	v_cndmask_b32_e32 v3, 0x7c, v3, vcc_lo
; %bb.6673:
	s_or_b32 exec_lo, exec_lo, s51
	v_lshrrev_b32_e32 v4, 24, v16
	s_delay_alu instid0(VALU_DEP_1)
	v_and_or_b32 v3, 0x80, v4, v3
	flat_store_b8 v[1:2], v3
.LBB47_6674:
	s_or_b32 exec_lo, exec_lo, s50
	s_delay_alu instid0(SALU_CYCLE_1)
	s_or_b32 s50, s0, exec_lo
                                        ; implicit-def: $vgpr3
                                        ; implicit-def: $vgpr16
                                        ; implicit-def: $vgpr1_vgpr2
.LBB47_6675:
	s_or_saveexec_b32 s49, s49
	s_mov_b32 vcc_lo, s47
	s_xor_b32 exec_lo, exec_lo, s49
	s_cbranch_execz .LBB47_6685
; %bb.6676:
	s_mov_b32 s51, s50
	s_mov_b32 s52, s47
	s_mov_b32 s53, exec_lo
	v_cmpx_lt_i16_e32 14, v3
	s_xor_b32 s53, exec_lo, s53
	s_cbranch_execz .LBB47_6680
; %bb.6677:
	s_mov_b32 s54, -1
	s_mov_b32 s51, s50
	s_mov_b32 s52, exec_lo
	v_cmpx_eq_u16_e32 15, v3
	s_cbranch_execz .LBB47_6679
; %bb.6678:
	s_waitcnt vmcnt(0) lgkmcnt(0)
	v_bfe_u32 v3, v16, 16, 1
	v_cmp_o_f32_e32 vcc_lo, v16, v16
	s_xor_b32 s54, exec_lo, -1
	s_or_b32 s51, s50, exec_lo
	s_delay_alu instid0(VALU_DEP_2) | instskip(NEXT) | instid1(VALU_DEP_1)
	v_add3_u32 v3, v16, v3, 0x7fff
	v_lshrrev_b32_e32 v3, 16, v3
	s_delay_alu instid0(VALU_DEP_1)
	v_cndmask_b32_e32 v3, 0x7fc0, v3, vcc_lo
	flat_store_b16 v[1:2], v3
.LBB47_6679:
	s_or_b32 exec_lo, exec_lo, s52
	s_delay_alu instid0(SALU_CYCLE_1)
	s_and_not1_b32 vcc_lo, s47, exec_lo
	s_and_b32 s52, s54, exec_lo
	s_and_not1_b32 s54, s50, exec_lo
	s_and_b32 s51, s51, exec_lo
	s_or_b32 s52, vcc_lo, s52
	s_or_b32 s51, s54, s51
                                        ; implicit-def: $vgpr3
                                        ; implicit-def: $vgpr16
                                        ; implicit-def: $vgpr1_vgpr2
.LBB47_6680:
	s_and_not1_saveexec_b32 s53, s53
	s_cbranch_execz .LBB47_6684
; %bb.6681:
	s_mov_b32 s55, -1
	s_mov_b32 s54, s51
	s_mov_b32 s56, exec_lo
	v_cmpx_eq_u16_e32 11, v3
	s_cbranch_execz .LBB47_6683
; %bb.6682:
	s_waitcnt vmcnt(0) lgkmcnt(0)
	v_cmp_neq_f32_e32 vcc_lo, 0, v16
	s_xor_b32 s55, exec_lo, -1
	s_or_b32 s54, s51, exec_lo
	v_cndmask_b32_e64 v3, 0, 1, vcc_lo
	flat_store_b8 v[1:2], v3
.LBB47_6683:
	s_or_b32 exec_lo, exec_lo, s56
	s_delay_alu instid0(SALU_CYCLE_1)
	s_and_not1_b32 vcc_lo, s52, exec_lo
	s_and_b32 s52, s55, exec_lo
	s_and_not1_b32 s51, s51, exec_lo
	s_and_b32 s54, s54, exec_lo
	s_or_b32 s52, vcc_lo, s52
	s_or_b32 s51, s51, s54
.LBB47_6684:
	s_or_b32 exec_lo, exec_lo, s53
	s_delay_alu instid0(SALU_CYCLE_1)
	s_and_not1_b32 vcc_lo, s47, exec_lo
	s_and_b32 s52, s52, exec_lo
	s_and_not1_b32 s50, s50, exec_lo
	s_and_b32 s51, s51, exec_lo
	s_or_b32 vcc_lo, vcc_lo, s52
	s_or_b32 s50, s50, s51
.LBB47_6685:
	s_or_b32 exec_lo, exec_lo, s49
	s_delay_alu instid0(SALU_CYCLE_1)
	s_and_not1_b32 s47, s47, exec_lo
	s_and_b32 vcc_lo, vcc_lo, exec_lo
	s_and_not1_b32 s0, s0, exec_lo
	s_and_b32 s49, s50, exec_lo
	s_or_b32 s47, s47, vcc_lo
	s_or_b32 s0, s0, s49
.LBB47_6686:
	s_or_b32 exec_lo, exec_lo, s48
	s_delay_alu instid0(SALU_CYCLE_1)
	s_and_not1_b32 vcc_lo, s43, exec_lo
	s_and_b32 s47, s47, exec_lo
	s_and_b32 s0, s0, exec_lo
	s_or_b32 s47, vcc_lo, s47
                                        ; implicit-def: $vgpr3
                                        ; implicit-def: $vgpr16
                                        ; implicit-def: $vgpr1_vgpr2
	s_and_not1_saveexec_b32 s45, s45
	s_cbranch_execz .LBB47_3979
.LBB47_6687:
	s_mov_b32 s48, exec_lo
	v_cmpx_lt_i16_e32 4, v3
	s_xor_b32 s48, exec_lo, s48
	s_cbranch_execz .LBB47_6709
; %bb.6688:
	s_mov_b32 s49, exec_lo
	v_cmpx_lt_i16_e32 7, v3
	s_xor_b32 s49, exec_lo, s49
	s_cbranch_execz .LBB47_6698
; %bb.6689:
	;; [unrolled: 5-line block ×3, first 2 shown]
	v_cmp_lt_i16_e32 vcc_lo, 9, v3
	s_and_saveexec_b32 s51, vcc_lo
	s_delay_alu instid0(SALU_CYCLE_1)
	s_xor_b32 vcc_lo, exec_lo, s51
	s_cbranch_execz .LBB47_6692
; %bb.6691:
	s_waitcnt vmcnt(0) lgkmcnt(0)
	v_cvt_f64_f32_e32 v[16:17], v16
	v_mov_b32_e32 v18, 0
	s_delay_alu instid0(VALU_DEP_1)
	v_mov_b32_e32 v19, v18
	flat_store_b128 v[1:2], v[16:19]
                                        ; implicit-def: $vgpr16
                                        ; implicit-def: $vgpr1_vgpr2
.LBB47_6692:
	s_and_not1_saveexec_b32 vcc_lo, vcc_lo
	s_cbranch_execz .LBB47_6694
; %bb.6693:
	v_mov_b32_e32 v17, 0
	s_waitcnt vmcnt(0) lgkmcnt(0)
	flat_store_b64 v[1:2], v[16:17]
.LBB47_6694:
	s_or_b32 exec_lo, exec_lo, vcc_lo
                                        ; implicit-def: $vgpr16
                                        ; implicit-def: $vgpr1_vgpr2
.LBB47_6695:
	s_and_not1_saveexec_b32 vcc_lo, s50
	s_cbranch_execz .LBB47_6697
; %bb.6696:
	s_waitcnt vmcnt(0) lgkmcnt(0)
	v_cvt_f16_f32_e32 v3, v16
	s_delay_alu instid0(VALU_DEP_1)
	v_and_b32_e32 v3, 0xffff, v3
	flat_store_b32 v[1:2], v3
.LBB47_6697:
	s_or_b32 exec_lo, exec_lo, vcc_lo
                                        ; implicit-def: $vgpr16
                                        ; implicit-def: $vgpr1_vgpr2
                                        ; implicit-def: $vgpr3
.LBB47_6698:
	s_and_not1_saveexec_b32 s49, s49
	s_cbranch_execz .LBB47_6708
; %bb.6699:
	s_mov_b32 s50, exec_lo
	v_cmpx_lt_i16_e32 5, v3
	s_xor_b32 s50, exec_lo, s50
	s_cbranch_execz .LBB47_6705
; %bb.6700:
	v_cmp_lt_i16_e32 vcc_lo, 6, v3
	s_and_saveexec_b32 s51, vcc_lo
	s_delay_alu instid0(SALU_CYCLE_1)
	s_xor_b32 vcc_lo, exec_lo, s51
	s_cbranch_execz .LBB47_6702
; %bb.6701:
	s_waitcnt vmcnt(0) lgkmcnt(0)
	v_cvt_f64_f32_e32 v[3:4], v16
                                        ; implicit-def: $vgpr16
	flat_store_b64 v[1:2], v[3:4]
                                        ; implicit-def: $vgpr1_vgpr2
.LBB47_6702:
	s_and_not1_saveexec_b32 vcc_lo, vcc_lo
	s_cbranch_execz .LBB47_6704
; %bb.6703:
	s_waitcnt vmcnt(0) lgkmcnt(0)
	flat_store_b32 v[1:2], v16
.LBB47_6704:
	s_or_b32 exec_lo, exec_lo, vcc_lo
                                        ; implicit-def: $vgpr16
                                        ; implicit-def: $vgpr1_vgpr2
.LBB47_6705:
	s_and_not1_saveexec_b32 vcc_lo, s50
	s_cbranch_execz .LBB47_6707
; %bb.6706:
	s_waitcnt vmcnt(0) lgkmcnt(0)
	v_cvt_f16_f32_e32 v3, v16
	flat_store_b16 v[1:2], v3
.LBB47_6707:
	s_or_b32 exec_lo, exec_lo, vcc_lo
.LBB47_6708:
	s_delay_alu instid0(SALU_CYCLE_1)
	s_or_b32 exec_lo, exec_lo, s49
                                        ; implicit-def: $vgpr3
                                        ; implicit-def: $vgpr16
                                        ; implicit-def: $vgpr1_vgpr2
.LBB47_6709:
	s_and_not1_saveexec_b32 s48, s48
	s_cbranch_execz .LBB47_6727
; %bb.6710:
	s_mov_b32 s49, exec_lo
	v_cmpx_lt_i16_e32 1, v3
	s_xor_b32 s49, exec_lo, s49
	s_cbranch_execz .LBB47_6720
; %bb.6711:
	s_mov_b32 s50, exec_lo
	v_cmpx_lt_i16_e32 2, v3
	s_xor_b32 s50, exec_lo, s50
	;; [unrolled: 5-line block ×3, first 2 shown]
	s_cbranch_execz .LBB47_6714
; %bb.6713:
	s_waitcnt vmcnt(0) lgkmcnt(0)
	v_trunc_f32_e32 v3, v16
                                        ; implicit-def: $vgpr16
	s_delay_alu instid0(VALU_DEP_1) | instskip(SKIP_1) | instid1(VALU_DEP_2)
	v_mul_f32_e64 v4, 0x2f800000, |v3|
	v_ashrrev_i32_e32 v10, 31, v3
	v_floor_f32_e32 v4, v4
	s_delay_alu instid0(VALU_DEP_1) | instskip(SKIP_1) | instid1(VALU_DEP_2)
	v_fma_f32 v5, 0xcf800000, v4, |v3|
	v_cvt_u32_f32_e32 v4, v4
	v_cvt_u32_f32_e32 v3, v5
	s_delay_alu instid0(VALU_DEP_2) | instskip(NEXT) | instid1(VALU_DEP_2)
	v_xor_b32_e32 v4, v4, v10
	v_xor_b32_e32 v3, v3, v10
	s_delay_alu instid0(VALU_DEP_1) | instskip(NEXT) | instid1(VALU_DEP_3)
	v_sub_co_u32 v3, vcc_lo, v3, v10
	v_sub_co_ci_u32_e32 v4, vcc_lo, v4, v10, vcc_lo
	flat_store_b64 v[1:2], v[3:4]
                                        ; implicit-def: $vgpr1_vgpr2
.LBB47_6714:
	s_and_not1_saveexec_b32 vcc_lo, s51
	s_cbranch_execz .LBB47_6716
; %bb.6715:
	s_waitcnt vmcnt(0) lgkmcnt(0)
	v_cvt_i32_f32_e32 v3, v16
	flat_store_b32 v[1:2], v3
.LBB47_6716:
	s_or_b32 exec_lo, exec_lo, vcc_lo
                                        ; implicit-def: $vgpr16
                                        ; implicit-def: $vgpr1_vgpr2
.LBB47_6717:
	s_and_not1_saveexec_b32 vcc_lo, s50
	s_cbranch_execz .LBB47_6719
; %bb.6718:
	s_waitcnt vmcnt(0) lgkmcnt(0)
	v_cvt_i32_f32_e32 v3, v16
	flat_store_b16 v[1:2], v3
.LBB47_6719:
	s_or_b32 exec_lo, exec_lo, vcc_lo
                                        ; implicit-def: $vgpr16
                                        ; implicit-def: $vgpr1_vgpr2
                                        ; implicit-def: $vgpr3
.LBB47_6720:
	s_and_not1_saveexec_b32 s49, s49
	s_cbranch_execz .LBB47_6726
; %bb.6721:
	v_cmp_lt_i16_e32 vcc_lo, 0, v3
	s_and_saveexec_b32 s50, vcc_lo
	s_delay_alu instid0(SALU_CYCLE_1)
	s_xor_b32 vcc_lo, exec_lo, s50
	s_cbranch_execz .LBB47_6723
; %bb.6722:
	s_waitcnt vmcnt(0) lgkmcnt(0)
	v_cvt_i32_f32_e32 v3, v16
                                        ; implicit-def: $vgpr16
	flat_store_b8 v[1:2], v3
                                        ; implicit-def: $vgpr1_vgpr2
.LBB47_6723:
	s_and_not1_saveexec_b32 vcc_lo, vcc_lo
	s_cbranch_execz .LBB47_6725
; %bb.6724:
	s_waitcnt vmcnt(0) lgkmcnt(0)
	v_trunc_f32_e32 v3, v16
	s_delay_alu instid0(VALU_DEP_1) | instskip(NEXT) | instid1(VALU_DEP_1)
	v_mul_f32_e64 v4, 0x2f800000, |v3|
	v_floor_f32_e32 v4, v4
	s_delay_alu instid0(VALU_DEP_1) | instskip(SKIP_1) | instid1(VALU_DEP_2)
	v_fma_f32 v4, 0xcf800000, v4, |v3|
	v_ashrrev_i32_e32 v3, 31, v3
	v_cvt_u32_f32_e32 v4, v4
	s_delay_alu instid0(VALU_DEP_1) | instskip(NEXT) | instid1(VALU_DEP_1)
	v_xor_b32_e32 v4, v4, v3
	v_sub_nc_u32_e32 v3, v4, v3
	flat_store_b8 v[1:2], v3
.LBB47_6725:
	s_or_b32 exec_lo, exec_lo, vcc_lo
.LBB47_6726:
	s_delay_alu instid0(SALU_CYCLE_1)
	s_or_b32 exec_lo, exec_lo, s49
.LBB47_6727:
	s_delay_alu instid0(SALU_CYCLE_1) | instskip(NEXT) | instid1(SALU_CYCLE_1)
	s_or_b32 exec_lo, exec_lo, s48
	s_or_b32 s0, s0, exec_lo
	s_or_b32 exec_lo, exec_lo, s45
	s_mov_b32 vcc_lo, 0
	s_and_saveexec_b32 s45, s0
	s_cbranch_execnz .LBB47_3980
	s_branch .LBB47_3981
.LBB47_6728:
	v_bfe_u32 v3, v22, 21, 1
	s_mov_b32 s41, exec_lo
	s_delay_alu instid0(VALU_DEP_1) | instskip(NEXT) | instid1(VALU_DEP_1)
	v_add3_u32 v3, v22, v3, 0x88fffff
	v_lshrrev_b32_e32 v3, 21, v3
	s_or_saveexec_b32 s42, vcc_lo
                                        ; implicit-def: $vcc_lo
	s_delay_alu instid0(SALU_CYCLE_1)
	s_xor_b32 exec_lo, exec_lo, s42
	s_cbranch_execz .LBB47_5893
.LBB47_6729:
	v_add_f32_e64 v3, 0x42800000, |v22|
	s_and_not1_b32 s41, s41, exec_lo
	s_delay_alu instid0(VALU_DEP_1) | instskip(NEXT) | instid1(VALU_DEP_1)
	v_and_b32_e32 v3, 0xff, v3
	v_cmp_ne_u32_e32 vcc_lo, 0, v3
	s_and_b32 s43, vcc_lo, exec_lo
	s_mov_b32 vcc_lo, 0
	s_or_b32 s41, s41, s43
	s_or_b32 exec_lo, exec_lo, s42
	v_mov_b32_e32 v4, vcc_lo
	s_and_saveexec_b32 vcc_lo, s41
	s_cbranch_execnz .LBB47_5894
	s_branch .LBB47_5895
.LBB47_6730:
	v_bfe_u32 v3, v21, 20, 1
	s_mov_b32 s42, exec_lo
	s_delay_alu instid0(VALU_DEP_1) | instskip(NEXT) | instid1(VALU_DEP_1)
	v_add3_u32 v3, v21, v3, 0x487ffff
	v_lshrrev_b32_e32 v3, 20, v3
	s_or_saveexec_b32 s43, vcc_lo
                                        ; implicit-def: $vcc_lo
	s_delay_alu instid0(SALU_CYCLE_1)
	s_xor_b32 exec_lo, exec_lo, s43
	s_cbranch_execz .LBB47_6006
.LBB47_6731:
	v_add_f32_e64 v3, 0x46000000, |v21|
	s_and_not1_b32 s42, s42, exec_lo
	s_delay_alu instid0(VALU_DEP_1) | instskip(NEXT) | instid1(VALU_DEP_1)
	v_and_b32_e32 v3, 0xff, v3
	v_cmp_ne_u32_e32 vcc_lo, 0, v3
	s_and_b32 s44, vcc_lo, exec_lo
	s_mov_b32 vcc_lo, 0
	s_or_b32 s42, s42, s44
	s_or_b32 exec_lo, exec_lo, s43
	v_mov_b32_e32 v4, vcc_lo
	s_and_saveexec_b32 vcc_lo, s42
	s_cbranch_execnz .LBB47_6007
	s_branch .LBB47_6008
.LBB47_6732:
	s_mov_b32 s49, s45
	s_mov_b32 s50, exec_lo
	v_cmpx_lt_i16_e32 25, v3
	s_xor_b32 s50, exec_lo, s50
	s_cbranch_execz .LBB47_6768
; %bb.6733:
	s_mov_b32 s51, s45
	s_mov_b32 s49, exec_lo
	v_cmpx_lt_i16_e32 28, v3
	s_xor_b32 s49, exec_lo, s49
	s_cbranch_execz .LBB47_6751
; %bb.6734:
	;; [unrolled: 6-line block ×3, first 2 shown]
	s_mov_b32 s52, 0
	s_mov_b32 s53, s45
	s_mov_b32 s0, exec_lo
	v_cmpx_lt_i16_e32 45, v3
	s_xor_b32 s0, exec_lo, s0
	s_cbranch_execz .LBB47_6739
; %bb.6736:
	s_mov_b32 s54, -1
	s_mov_b32 s53, exec_lo
	v_cmpx_eq_u16_e32 46, v3
	s_cbranch_execz .LBB47_6738
; %bb.6737:
	s_waitcnt vmcnt(0) lgkmcnt(0)
	v_bfe_u32 v3, v15, 16, 1
	v_cmp_o_f32_e32 vcc_lo, v15, v15
	s_mov_b32 s52, exec_lo
	s_xor_b32 s54, exec_lo, -1
	s_delay_alu instid0(VALU_DEP_2) | instskip(NEXT) | instid1(VALU_DEP_1)
	v_add3_u32 v3, v15, v3, 0x7fff
	v_lshrrev_b32_e32 v3, 16, v3
	s_delay_alu instid0(VALU_DEP_1)
	v_cndmask_b32_e32 v3, 0x7fc0, v3, vcc_lo
	flat_store_b32 v[1:2], v3
.LBB47_6738:
	s_or_b32 exec_lo, exec_lo, s53
	s_delay_alu instid0(SALU_CYCLE_1)
	s_and_not1_b32 vcc_lo, s45, exec_lo
	s_and_b32 s53, s54, exec_lo
	s_and_b32 s52, s52, exec_lo
	s_or_b32 s53, vcc_lo, s53
                                        ; implicit-def: $vgpr3
                                        ; implicit-def: $vgpr1_vgpr2
                                        ; implicit-def: $vgpr15
.LBB47_6739:
	s_and_not1_saveexec_b32 s54, s0
	s_cbranch_execz .LBB47_6745
; %bb.6740:
	s_mov_b32 s56, -1
	s_mov_b32 s0, s52
	s_mov_b32 s55, exec_lo
	v_cmpx_eq_u16_e32 44, v3
	s_cbranch_execz .LBB47_6744
; %bb.6741:
	s_waitcnt vmcnt(0) lgkmcnt(0)
	v_bfe_u32 v4, v15, 23, 8
	v_mov_b32_e32 v3, 0xff
	s_mov_b32 s56, exec_lo
	s_delay_alu instid0(VALU_DEP_2)
	v_cmpx_ne_u32_e32 0xff, v4
; %bb.6742:
	v_and_b32_e32 v3, 0x400000, v15
	v_and_or_b32 v4, 0x3fffff, v15, v4
	s_delay_alu instid0(VALU_DEP_2) | instskip(NEXT) | instid1(VALU_DEP_2)
	v_cmp_ne_u32_e32 vcc_lo, 0, v3
	v_cmp_ne_u32_e64 s0, 0, v4
	v_lshrrev_b32_e32 v3, 23, v15
	s_delay_alu instid0(VALU_DEP_2) | instskip(NEXT) | instid1(SALU_CYCLE_1)
	s_and_b32 s0, vcc_lo, s0
	v_cndmask_b32_e64 v4, 0, 1, s0
	s_delay_alu instid0(VALU_DEP_1)
	v_add_nc_u32_e32 v3, v3, v4
; %bb.6743:
	s_or_b32 exec_lo, exec_lo, s56
	s_delay_alu instid0(SALU_CYCLE_1)
	s_xor_b32 s56, exec_lo, -1
	s_or_b32 s0, s52, exec_lo
	flat_store_b8 v[1:2], v3
.LBB47_6744:
	s_or_b32 exec_lo, exec_lo, s55
	s_delay_alu instid0(SALU_CYCLE_1)
	s_and_not1_b32 vcc_lo, s53, exec_lo
	s_and_b32 s53, s56, exec_lo
	s_and_not1_b32 s52, s52, exec_lo
	s_and_b32 s0, s0, exec_lo
	s_or_b32 s53, vcc_lo, s53
	s_or_b32 s52, s52, s0
.LBB47_6745:
	s_or_b32 exec_lo, exec_lo, s54
	s_delay_alu instid0(SALU_CYCLE_1) | instskip(SKIP_1) | instid1(SALU_CYCLE_1)
	s_and_not1_b32 s0, s45, exec_lo
	s_and_b32 vcc_lo, s53, exec_lo
                                        ; implicit-def: $vgpr3
                                        ; implicit-def: $vgpr15
                                        ; implicit-def: $vgpr1_vgpr2
	s_or_b32 s53, s0, vcc_lo
	s_and_b32 s0, s52, exec_lo
.LBB47_6746:
	s_and_not1_saveexec_b32 s51, s51
	s_cbranch_execz .LBB47_6750
; %bb.6747:
	s_mov_b32 s55, -1
	s_mov_b32 s54, s0
	s_mov_b32 s52, exec_lo
	v_cmpx_eq_u16_e32 29, v3
	s_cbranch_execz .LBB47_6749
; %bb.6748:
	s_waitcnt vmcnt(0) lgkmcnt(0)
	v_trunc_f32_e32 v3, v15
	s_xor_b32 s55, exec_lo, -1
	s_or_b32 s54, s0, exec_lo
	s_delay_alu instid0(VALU_DEP_1) | instskip(NEXT) | instid1(VALU_DEP_1)
	v_mul_f32_e32 v4, 0x2f800000, v3
	v_floor_f32_e32 v4, v4
	s_delay_alu instid0(VALU_DEP_1) | instskip(SKIP_1) | instid1(VALU_DEP_2)
	v_fmamk_f32 v3, v4, 0xcf800000, v3
	v_cvt_u32_f32_e32 v4, v4
	v_cvt_u32_f32_e32 v3, v3
	flat_store_b64 v[1:2], v[3:4]
.LBB47_6749:
	s_or_b32 exec_lo, exec_lo, s52
	s_delay_alu instid0(SALU_CYCLE_1)
	s_and_not1_b32 vcc_lo, s53, exec_lo
	s_and_b32 s52, s55, exec_lo
	s_and_not1_b32 s0, s0, exec_lo
	s_and_b32 s54, s54, exec_lo
	s_or_b32 s53, vcc_lo, s52
	s_or_b32 s0, s0, s54
.LBB47_6750:
	s_or_b32 exec_lo, exec_lo, s51
	s_delay_alu instid0(SALU_CYCLE_1)
	s_and_not1_b32 vcc_lo, s45, exec_lo
	s_and_b32 s51, s53, exec_lo
	s_and_b32 s0, s0, exec_lo
	s_or_b32 s51, vcc_lo, s51
                                        ; implicit-def: $vgpr1_vgpr2
                                        ; implicit-def: $vgpr3
                                        ; implicit-def: $vgpr15
.LBB47_6751:
	s_and_not1_saveexec_b32 s49, s49
	s_cbranch_execz .LBB47_6767
; %bb.6752:
	s_mov_b32 s52, exec_lo
	v_cmpx_lt_i16_e32 26, v3
	s_xor_b32 s52, exec_lo, s52
	s_cbranch_execz .LBB47_6758
; %bb.6753:
	v_cmp_lt_i16_e32 vcc_lo, 27, v3
	s_waitcnt vmcnt(0) lgkmcnt(0)
	v_cvt_u32_f32_e32 v3, v15
	s_and_saveexec_b32 s53, vcc_lo
	s_delay_alu instid0(SALU_CYCLE_1)
	s_xor_b32 vcc_lo, exec_lo, s53
	s_cbranch_execz .LBB47_6755
; %bb.6754:
	flat_store_b32 v[1:2], v3
                                        ; implicit-def: $vgpr1_vgpr2
                                        ; implicit-def: $vgpr3
.LBB47_6755:
	s_and_not1_saveexec_b32 vcc_lo, vcc_lo
	s_cbranch_execz .LBB47_6757
; %bb.6756:
	flat_store_b16 v[1:2], v3
.LBB47_6757:
	s_or_b32 exec_lo, exec_lo, vcc_lo
                                        ; implicit-def: $vgpr1_vgpr2
                                        ; implicit-def: $vgpr15
.LBB47_6758:
	s_and_not1_saveexec_b32 s52, s52
	s_cbranch_execz .LBB47_6766
; %bb.6759:
	s_waitcnt vmcnt(0) lgkmcnt(0)
	v_and_b32_e32 v3, 0x7fffffff, v15
	v_mov_b32_e32 v4, 0x80
	s_mov_b32 s53, exec_lo
	s_delay_alu instid0(VALU_DEP_2)
	v_cmpx_gt_u32_e32 0x43800000, v3
	s_cbranch_execz .LBB47_6765
; %bb.6760:
	v_cmp_lt_u32_e32 vcc_lo, 0x3bffffff, v3
	s_mov_b32 s54, 0
                                        ; implicit-def: $vgpr3
	s_and_saveexec_b32 s55, vcc_lo
	s_delay_alu instid0(SALU_CYCLE_1)
	s_xor_b32 vcc_lo, exec_lo, s55
	s_cbranch_execnz .LBB47_7486
; %bb.6761:
	s_or_saveexec_b32 s55, vcc_lo
                                        ; implicit-def: $vcc_lo
	s_delay_alu instid0(SALU_CYCLE_1)
	s_xor_b32 exec_lo, exec_lo, s55
	s_cbranch_execnz .LBB47_7487
.LBB47_6762:
	s_or_b32 exec_lo, exec_lo, s55
	v_mov_b32_e32 v4, vcc_lo
	s_and_saveexec_b32 vcc_lo, s54
.LBB47_6763:
	v_lshrrev_b32_e32 v4, 24, v15
	s_delay_alu instid0(VALU_DEP_1)
	v_and_or_b32 v4, 0x80, v4, v3
.LBB47_6764:
	s_or_b32 exec_lo, exec_lo, vcc_lo
.LBB47_6765:
	s_delay_alu instid0(SALU_CYCLE_1)
	s_or_b32 exec_lo, exec_lo, s53
	flat_store_b8 v[1:2], v4
.LBB47_6766:
	s_or_b32 exec_lo, exec_lo, s52
	s_delay_alu instid0(SALU_CYCLE_1)
	s_or_b32 s0, s0, exec_lo
.LBB47_6767:
	s_or_b32 exec_lo, exec_lo, s49
	s_delay_alu instid0(SALU_CYCLE_1)
	s_and_not1_b32 vcc_lo, s45, exec_lo
	s_and_b32 s49, s51, exec_lo
	s_and_b32 s0, s0, exec_lo
	s_or_b32 s49, vcc_lo, s49
                                        ; implicit-def: $vgpr3
                                        ; implicit-def: $vgpr15
                                        ; implicit-def: $vgpr1_vgpr2
.LBB47_6768:
	s_and_not1_saveexec_b32 s50, s50
	s_cbranch_execz .LBB47_6812
; %bb.6769:
	s_mov_b32 s52, s0
	s_mov_b32 s51, exec_lo
	v_cmpx_lt_i16_e32 22, v3
	s_xor_b32 s51, exec_lo, s51
	s_cbranch_execz .LBB47_6801
; %bb.6770:
	s_mov_b32 s52, exec_lo
	v_cmpx_lt_i16_e32 23, v3
	s_xor_b32 s52, exec_lo, s52
	s_cbranch_execz .LBB47_6790
; %bb.6771:
	;; [unrolled: 5-line block ×3, first 2 shown]
	s_waitcnt vmcnt(0) lgkmcnt(0)
	v_and_b32_e32 v3, 0x7fffffff, v15
	v_mov_b32_e32 v4, 0x80
	s_mov_b32 s54, exec_lo
	s_delay_alu instid0(VALU_DEP_2)
	v_cmpx_gt_u32_e32 0x47800000, v3
	s_cbranch_execz .LBB47_6778
; %bb.6773:
	v_cmp_lt_u32_e32 vcc_lo, 0x37ffffff, v3
	s_mov_b32 s55, 0
                                        ; implicit-def: $vgpr3
	s_and_saveexec_b32 s56, vcc_lo
	s_delay_alu instid0(SALU_CYCLE_1)
	s_xor_b32 vcc_lo, exec_lo, s56
	s_cbranch_execnz .LBB47_7610
; %bb.6774:
	s_or_saveexec_b32 s56, vcc_lo
                                        ; implicit-def: $vcc_lo
	s_delay_alu instid0(SALU_CYCLE_1)
	s_xor_b32 exec_lo, exec_lo, s56
	s_cbranch_execnz .LBB47_7611
.LBB47_6775:
	s_or_b32 exec_lo, exec_lo, s56
	v_mov_b32_e32 v4, vcc_lo
	s_and_saveexec_b32 vcc_lo, s55
.LBB47_6776:
	v_lshrrev_b32_e32 v4, 24, v15
	s_delay_alu instid0(VALU_DEP_1)
	v_and_or_b32 v4, 0x80, v4, v3
.LBB47_6777:
	s_or_b32 exec_lo, exec_lo, vcc_lo
.LBB47_6778:
	s_delay_alu instid0(SALU_CYCLE_1)
	s_or_b32 exec_lo, exec_lo, s54
	flat_store_b8 v[1:2], v4
                                        ; implicit-def: $vgpr15
                                        ; implicit-def: $vgpr1_vgpr2
.LBB47_6779:
	s_and_not1_saveexec_b32 s53, s53
	s_cbranch_execz .LBB47_6789
; %bb.6780:
	s_waitcnt vmcnt(0) lgkmcnt(0)
	v_and_b32_e32 v4, 0x7fffffff, v15
	s_mov_b32 s54, exec_lo
                                        ; implicit-def: $vgpr3
	s_delay_alu instid0(VALU_DEP_1)
	v_cmpx_gt_u32_e32 0x43f00000, v4
	s_xor_b32 s54, exec_lo, s54
	s_cbranch_execz .LBB47_6786
; %bb.6781:
	s_mov_b32 s55, exec_lo
                                        ; implicit-def: $vgpr3
	v_cmpx_lt_u32_e32 0x3c7fffff, v4
	s_xor_b32 s55, exec_lo, s55
; %bb.6782:
	v_bfe_u32 v3, v15, 20, 1
	s_delay_alu instid0(VALU_DEP_1) | instskip(NEXT) | instid1(VALU_DEP_1)
	v_add3_u32 v3, v15, v3, 0x407ffff
	v_and_b32_e32 v4, 0xff00000, v3
	v_lshrrev_b32_e32 v3, 20, v3
	s_delay_alu instid0(VALU_DEP_2) | instskip(NEXT) | instid1(VALU_DEP_2)
	v_cmp_ne_u32_e32 vcc_lo, 0x7f00000, v4
	v_cndmask_b32_e32 v3, 0x7e, v3, vcc_lo
; %bb.6783:
	s_and_not1_saveexec_b32 vcc_lo, s55
; %bb.6784:
	v_add_f32_e64 v3, 0x46800000, |v15|
; %bb.6785:
	s_or_b32 exec_lo, exec_lo, vcc_lo
                                        ; implicit-def: $vgpr4
.LBB47_6786:
	s_and_not1_saveexec_b32 s54, s54
; %bb.6787:
	v_mov_b32_e32 v3, 0x7f
	v_cmp_lt_u32_e32 vcc_lo, 0x7f800000, v4
	s_delay_alu instid0(VALU_DEP_2)
	v_cndmask_b32_e32 v3, 0x7e, v3, vcc_lo
; %bb.6788:
	s_or_b32 exec_lo, exec_lo, s54
	v_lshrrev_b32_e32 v4, 24, v15
	s_delay_alu instid0(VALU_DEP_1)
	v_and_or_b32 v3, 0x80, v4, v3
	flat_store_b8 v[1:2], v3
.LBB47_6789:
	s_or_b32 exec_lo, exec_lo, s53
                                        ; implicit-def: $vgpr15
                                        ; implicit-def: $vgpr1_vgpr2
.LBB47_6790:
	s_and_not1_saveexec_b32 s52, s52
	s_cbranch_execz .LBB47_6800
; %bb.6791:
	s_waitcnt vmcnt(0) lgkmcnt(0)
	v_and_b32_e32 v4, 0x7fffffff, v15
	s_mov_b32 s53, exec_lo
                                        ; implicit-def: $vgpr3
	s_delay_alu instid0(VALU_DEP_1)
	v_cmpx_gt_u32_e32 0x47800000, v4
	s_xor_b32 s53, exec_lo, s53
	s_cbranch_execz .LBB47_6797
; %bb.6792:
	v_cmp_lt_u32_e32 vcc_lo, 0x387fffff, v4
                                        ; implicit-def: $vgpr3
	s_and_saveexec_b32 s54, vcc_lo
	s_delay_alu instid0(SALU_CYCLE_1)
	s_xor_b32 vcc_lo, exec_lo, s54
; %bb.6793:
	v_bfe_u32 v3, v15, 21, 1
	s_delay_alu instid0(VALU_DEP_1) | instskip(NEXT) | instid1(VALU_DEP_1)
	v_add3_u32 v3, v15, v3, 0x80fffff
	v_lshrrev_b32_e32 v3, 21, v3
; %bb.6794:
	s_and_not1_saveexec_b32 vcc_lo, vcc_lo
; %bb.6795:
	v_add_f32_e64 v3, 0x43000000, |v15|
; %bb.6796:
	s_or_b32 exec_lo, exec_lo, vcc_lo
                                        ; implicit-def: $vgpr4
.LBB47_6797:
	s_and_not1_saveexec_b32 s53, s53
; %bb.6798:
	v_mov_b32_e32 v3, 0x7f
	v_cmp_lt_u32_e32 vcc_lo, 0x7f800000, v4
	s_delay_alu instid0(VALU_DEP_2)
	v_cndmask_b32_e32 v3, 0x7c, v3, vcc_lo
; %bb.6799:
	s_or_b32 exec_lo, exec_lo, s53
	v_lshrrev_b32_e32 v4, 24, v15
	s_delay_alu instid0(VALU_DEP_1)
	v_and_or_b32 v3, 0x80, v4, v3
	flat_store_b8 v[1:2], v3
.LBB47_6800:
	s_or_b32 exec_lo, exec_lo, s52
	s_delay_alu instid0(SALU_CYCLE_1)
	s_or_b32 s52, s0, exec_lo
                                        ; implicit-def: $vgpr3
                                        ; implicit-def: $vgpr15
                                        ; implicit-def: $vgpr1_vgpr2
.LBB47_6801:
	s_or_saveexec_b32 s51, s51
	s_mov_b32 vcc_lo, s49
	s_xor_b32 exec_lo, exec_lo, s51
	s_cbranch_execz .LBB47_6811
; %bb.6802:
	s_mov_b32 s53, s52
	s_mov_b32 s54, s49
	s_mov_b32 s55, exec_lo
	v_cmpx_lt_i16_e32 14, v3
	s_xor_b32 s55, exec_lo, s55
	s_cbranch_execz .LBB47_6806
; %bb.6803:
	s_mov_b32 s56, -1
	s_mov_b32 s53, s52
	s_mov_b32 s54, exec_lo
	v_cmpx_eq_u16_e32 15, v3
	s_cbranch_execz .LBB47_6805
; %bb.6804:
	s_waitcnt vmcnt(0) lgkmcnt(0)
	v_bfe_u32 v3, v15, 16, 1
	v_cmp_o_f32_e32 vcc_lo, v15, v15
	s_xor_b32 s56, exec_lo, -1
	s_or_b32 s53, s52, exec_lo
	s_delay_alu instid0(VALU_DEP_2) | instskip(NEXT) | instid1(VALU_DEP_1)
	v_add3_u32 v3, v15, v3, 0x7fff
	v_lshrrev_b32_e32 v3, 16, v3
	s_delay_alu instid0(VALU_DEP_1)
	v_cndmask_b32_e32 v3, 0x7fc0, v3, vcc_lo
	flat_store_b16 v[1:2], v3
.LBB47_6805:
	s_or_b32 exec_lo, exec_lo, s54
	s_delay_alu instid0(SALU_CYCLE_1)
	s_and_not1_b32 vcc_lo, s49, exec_lo
	s_and_b32 s54, s56, exec_lo
	s_and_not1_b32 s56, s52, exec_lo
	s_and_b32 s53, s53, exec_lo
	s_or_b32 s54, vcc_lo, s54
	s_or_b32 s53, s56, s53
                                        ; implicit-def: $vgpr3
                                        ; implicit-def: $vgpr15
                                        ; implicit-def: $vgpr1_vgpr2
.LBB47_6806:
	s_and_not1_saveexec_b32 s55, s55
	s_cbranch_execz .LBB47_6810
; %bb.6807:
	s_mov_b32 s57, -1
	s_mov_b32 s56, s53
	s_mov_b32 s58, exec_lo
	v_cmpx_eq_u16_e32 11, v3
	s_cbranch_execz .LBB47_6809
; %bb.6808:
	s_waitcnt vmcnt(0) lgkmcnt(0)
	v_cmp_neq_f32_e32 vcc_lo, 0, v15
	s_xor_b32 s57, exec_lo, -1
	s_or_b32 s56, s53, exec_lo
	v_cndmask_b32_e64 v3, 0, 1, vcc_lo
	flat_store_b8 v[1:2], v3
.LBB47_6809:
	s_or_b32 exec_lo, exec_lo, s58
	s_delay_alu instid0(SALU_CYCLE_1)
	s_and_not1_b32 vcc_lo, s54, exec_lo
	s_and_b32 s54, s57, exec_lo
	s_and_not1_b32 s53, s53, exec_lo
	s_and_b32 s56, s56, exec_lo
	s_or_b32 s54, vcc_lo, s54
	s_or_b32 s53, s53, s56
.LBB47_6810:
	s_or_b32 exec_lo, exec_lo, s55
	s_delay_alu instid0(SALU_CYCLE_1)
	s_and_not1_b32 vcc_lo, s49, exec_lo
	s_and_b32 s54, s54, exec_lo
	s_and_not1_b32 s52, s52, exec_lo
	s_and_b32 s53, s53, exec_lo
	s_or_b32 vcc_lo, vcc_lo, s54
	s_or_b32 s52, s52, s53
.LBB47_6811:
	s_or_b32 exec_lo, exec_lo, s51
	s_delay_alu instid0(SALU_CYCLE_1)
	s_and_not1_b32 s49, s49, exec_lo
	s_and_b32 vcc_lo, vcc_lo, exec_lo
	s_and_not1_b32 s0, s0, exec_lo
	s_and_b32 s51, s52, exec_lo
	s_or_b32 s49, s49, vcc_lo
	s_or_b32 s0, s0, s51
.LBB47_6812:
	s_or_b32 exec_lo, exec_lo, s50
	s_delay_alu instid0(SALU_CYCLE_1)
	s_and_not1_b32 vcc_lo, s45, exec_lo
	s_and_b32 s49, s49, exec_lo
	s_and_b32 s0, s0, exec_lo
	s_or_b32 s49, vcc_lo, s49
                                        ; implicit-def: $vgpr3
                                        ; implicit-def: $vgpr15
                                        ; implicit-def: $vgpr1_vgpr2
	s_and_not1_saveexec_b32 s47, s47
	s_cbranch_execz .LBB47_3986
.LBB47_6813:
	s_mov_b32 s50, exec_lo
	v_cmpx_lt_i16_e32 4, v3
	s_xor_b32 s50, exec_lo, s50
	s_cbranch_execz .LBB47_6835
; %bb.6814:
	s_mov_b32 s51, exec_lo
	v_cmpx_lt_i16_e32 7, v3
	s_xor_b32 s51, exec_lo, s51
	s_cbranch_execz .LBB47_6824
; %bb.6815:
	;; [unrolled: 5-line block ×3, first 2 shown]
	v_cmp_lt_i16_e32 vcc_lo, 9, v3
	s_and_saveexec_b32 s53, vcc_lo
	s_delay_alu instid0(SALU_CYCLE_1)
	s_xor_b32 vcc_lo, exec_lo, s53
	s_cbranch_execz .LBB47_6818
; %bb.6817:
	s_waitcnt vmcnt(0) lgkmcnt(0)
	v_cvt_f64_f32_e32 v[15:16], v15
	v_mov_b32_e32 v17, 0
	s_delay_alu instid0(VALU_DEP_1)
	v_mov_b32_e32 v18, v17
	flat_store_b128 v[1:2], v[15:18]
                                        ; implicit-def: $vgpr15
                                        ; implicit-def: $vgpr1_vgpr2
.LBB47_6818:
	s_and_not1_saveexec_b32 vcc_lo, vcc_lo
	s_cbranch_execz .LBB47_6820
; %bb.6819:
	s_waitcnt vmcnt(0) lgkmcnt(0)
	v_mov_b32_e32 v16, 0
	flat_store_b64 v[1:2], v[15:16]
.LBB47_6820:
	s_or_b32 exec_lo, exec_lo, vcc_lo
                                        ; implicit-def: $vgpr15
                                        ; implicit-def: $vgpr1_vgpr2
.LBB47_6821:
	s_and_not1_saveexec_b32 vcc_lo, s52
	s_cbranch_execz .LBB47_6823
; %bb.6822:
	s_waitcnt vmcnt(0) lgkmcnt(0)
	v_cvt_f16_f32_e32 v3, v15
	s_delay_alu instid0(VALU_DEP_1)
	v_and_b32_e32 v3, 0xffff, v3
	flat_store_b32 v[1:2], v3
.LBB47_6823:
	s_or_b32 exec_lo, exec_lo, vcc_lo
                                        ; implicit-def: $vgpr15
                                        ; implicit-def: $vgpr1_vgpr2
                                        ; implicit-def: $vgpr3
.LBB47_6824:
	s_and_not1_saveexec_b32 s51, s51
	s_cbranch_execz .LBB47_6834
; %bb.6825:
	s_mov_b32 s52, exec_lo
	v_cmpx_lt_i16_e32 5, v3
	s_xor_b32 s52, exec_lo, s52
	s_cbranch_execz .LBB47_6831
; %bb.6826:
	v_cmp_lt_i16_e32 vcc_lo, 6, v3
	s_and_saveexec_b32 s53, vcc_lo
	s_delay_alu instid0(SALU_CYCLE_1)
	s_xor_b32 vcc_lo, exec_lo, s53
	s_cbranch_execz .LBB47_6828
; %bb.6827:
	s_waitcnt vmcnt(0) lgkmcnt(0)
	v_cvt_f64_f32_e32 v[3:4], v15
                                        ; implicit-def: $vgpr15
	flat_store_b64 v[1:2], v[3:4]
                                        ; implicit-def: $vgpr1_vgpr2
.LBB47_6828:
	s_and_not1_saveexec_b32 vcc_lo, vcc_lo
	s_cbranch_execz .LBB47_6830
; %bb.6829:
	s_waitcnt vmcnt(0) lgkmcnt(0)
	flat_store_b32 v[1:2], v15
.LBB47_6830:
	s_or_b32 exec_lo, exec_lo, vcc_lo
                                        ; implicit-def: $vgpr15
                                        ; implicit-def: $vgpr1_vgpr2
.LBB47_6831:
	s_and_not1_saveexec_b32 vcc_lo, s52
	s_cbranch_execz .LBB47_6833
; %bb.6832:
	s_waitcnt vmcnt(0) lgkmcnt(0)
	v_cvt_f16_f32_e32 v3, v15
	flat_store_b16 v[1:2], v3
.LBB47_6833:
	s_or_b32 exec_lo, exec_lo, vcc_lo
.LBB47_6834:
	s_delay_alu instid0(SALU_CYCLE_1)
	s_or_b32 exec_lo, exec_lo, s51
                                        ; implicit-def: $vgpr3
                                        ; implicit-def: $vgpr15
                                        ; implicit-def: $vgpr1_vgpr2
.LBB47_6835:
	s_and_not1_saveexec_b32 s50, s50
	s_cbranch_execz .LBB47_6853
; %bb.6836:
	s_mov_b32 s51, exec_lo
	v_cmpx_lt_i16_e32 1, v3
	s_xor_b32 s51, exec_lo, s51
	s_cbranch_execz .LBB47_6846
; %bb.6837:
	s_mov_b32 s52, exec_lo
	v_cmpx_lt_i16_e32 2, v3
	s_xor_b32 s52, exec_lo, s52
	;; [unrolled: 5-line block ×3, first 2 shown]
	s_cbranch_execz .LBB47_6840
; %bb.6839:
	s_waitcnt vmcnt(0) lgkmcnt(0)
	v_trunc_f32_e32 v3, v15
                                        ; implicit-def: $vgpr15
	s_delay_alu instid0(VALU_DEP_1) | instskip(SKIP_1) | instid1(VALU_DEP_2)
	v_mul_f32_e64 v4, 0x2f800000, |v3|
	v_ashrrev_i32_e32 v10, 31, v3
	v_floor_f32_e32 v4, v4
	s_delay_alu instid0(VALU_DEP_1) | instskip(SKIP_1) | instid1(VALU_DEP_2)
	v_fma_f32 v5, 0xcf800000, v4, |v3|
	v_cvt_u32_f32_e32 v4, v4
	v_cvt_u32_f32_e32 v3, v5
	s_delay_alu instid0(VALU_DEP_2) | instskip(NEXT) | instid1(VALU_DEP_2)
	v_xor_b32_e32 v4, v4, v10
	v_xor_b32_e32 v3, v3, v10
	s_delay_alu instid0(VALU_DEP_1) | instskip(NEXT) | instid1(VALU_DEP_3)
	v_sub_co_u32 v3, vcc_lo, v3, v10
	v_sub_co_ci_u32_e32 v4, vcc_lo, v4, v10, vcc_lo
	flat_store_b64 v[1:2], v[3:4]
                                        ; implicit-def: $vgpr1_vgpr2
.LBB47_6840:
	s_and_not1_saveexec_b32 vcc_lo, s53
	s_cbranch_execz .LBB47_6842
; %bb.6841:
	s_waitcnt vmcnt(0) lgkmcnt(0)
	v_cvt_i32_f32_e32 v3, v15
	flat_store_b32 v[1:2], v3
.LBB47_6842:
	s_or_b32 exec_lo, exec_lo, vcc_lo
                                        ; implicit-def: $vgpr15
                                        ; implicit-def: $vgpr1_vgpr2
.LBB47_6843:
	s_and_not1_saveexec_b32 vcc_lo, s52
	s_cbranch_execz .LBB47_6845
; %bb.6844:
	s_waitcnt vmcnt(0) lgkmcnt(0)
	v_cvt_i32_f32_e32 v3, v15
	flat_store_b16 v[1:2], v3
.LBB47_6845:
	s_or_b32 exec_lo, exec_lo, vcc_lo
                                        ; implicit-def: $vgpr15
                                        ; implicit-def: $vgpr1_vgpr2
                                        ; implicit-def: $vgpr3
.LBB47_6846:
	s_and_not1_saveexec_b32 s51, s51
	s_cbranch_execz .LBB47_6852
; %bb.6847:
	v_cmp_lt_i16_e32 vcc_lo, 0, v3
	s_and_saveexec_b32 s52, vcc_lo
	s_delay_alu instid0(SALU_CYCLE_1)
	s_xor_b32 vcc_lo, exec_lo, s52
	s_cbranch_execz .LBB47_6849
; %bb.6848:
	s_waitcnt vmcnt(0) lgkmcnt(0)
	v_cvt_i32_f32_e32 v3, v15
                                        ; implicit-def: $vgpr15
	flat_store_b8 v[1:2], v3
                                        ; implicit-def: $vgpr1_vgpr2
.LBB47_6849:
	s_and_not1_saveexec_b32 vcc_lo, vcc_lo
	s_cbranch_execz .LBB47_6851
; %bb.6850:
	s_waitcnt vmcnt(0) lgkmcnt(0)
	v_trunc_f32_e32 v3, v15
	s_delay_alu instid0(VALU_DEP_1) | instskip(NEXT) | instid1(VALU_DEP_1)
	v_mul_f32_e64 v4, 0x2f800000, |v3|
	v_floor_f32_e32 v4, v4
	s_delay_alu instid0(VALU_DEP_1) | instskip(SKIP_1) | instid1(VALU_DEP_2)
	v_fma_f32 v4, 0xcf800000, v4, |v3|
	v_ashrrev_i32_e32 v3, 31, v3
	v_cvt_u32_f32_e32 v4, v4
	s_delay_alu instid0(VALU_DEP_1) | instskip(NEXT) | instid1(VALU_DEP_1)
	v_xor_b32_e32 v4, v4, v3
	v_sub_nc_u32_e32 v3, v4, v3
	flat_store_b8 v[1:2], v3
.LBB47_6851:
	s_or_b32 exec_lo, exec_lo, vcc_lo
.LBB47_6852:
	s_delay_alu instid0(SALU_CYCLE_1)
	s_or_b32 exec_lo, exec_lo, s51
.LBB47_6853:
	s_delay_alu instid0(SALU_CYCLE_1) | instskip(NEXT) | instid1(SALU_CYCLE_1)
	s_or_b32 exec_lo, exec_lo, s50
	s_or_b32 s0, s0, exec_lo
	s_or_b32 exec_lo, exec_lo, s47
	s_mov_b32 vcc_lo, 0
	s_and_saveexec_b32 s47, s0
	s_cbranch_execnz .LBB47_3987
	s_branch .LBB47_3988
.LBB47_6854:
	v_bfe_u32 v3, v21, 21, 1
	s_mov_b32 s43, exec_lo
	s_delay_alu instid0(VALU_DEP_1) | instskip(NEXT) | instid1(VALU_DEP_1)
	v_add3_u32 v3, v21, v3, 0x88fffff
	v_lshrrev_b32_e32 v3, 21, v3
	s_or_saveexec_b32 s44, vcc_lo
                                        ; implicit-def: $vcc_lo
	s_delay_alu instid0(SALU_CYCLE_1)
	s_xor_b32 exec_lo, exec_lo, s44
	s_cbranch_execz .LBB47_6019
.LBB47_6855:
	v_add_f32_e64 v3, 0x42800000, |v21|
	s_and_not1_b32 s43, s43, exec_lo
	s_delay_alu instid0(VALU_DEP_1) | instskip(NEXT) | instid1(VALU_DEP_1)
	v_and_b32_e32 v3, 0xff, v3
	v_cmp_ne_u32_e32 vcc_lo, 0, v3
	s_and_b32 s45, vcc_lo, exec_lo
	s_mov_b32 vcc_lo, 0
	s_or_b32 s43, s43, s45
	s_or_b32 exec_lo, exec_lo, s44
	v_mov_b32_e32 v4, vcc_lo
	s_and_saveexec_b32 vcc_lo, s43
	s_cbranch_execnz .LBB47_6020
	s_branch .LBB47_6021
.LBB47_6856:
	v_bfe_u32 v3, v20, 20, 1
	s_mov_b32 s44, exec_lo
	s_delay_alu instid0(VALU_DEP_1) | instskip(NEXT) | instid1(VALU_DEP_1)
	v_add3_u32 v3, v20, v3, 0x487ffff
	v_lshrrev_b32_e32 v3, 20, v3
	s_or_saveexec_b32 s45, vcc_lo
                                        ; implicit-def: $vcc_lo
	s_delay_alu instid0(SALU_CYCLE_1)
	s_xor_b32 exec_lo, exec_lo, s45
	s_cbranch_execz .LBB47_6132
.LBB47_6857:
	v_add_f32_e64 v3, 0x46000000, |v20|
	s_and_not1_b32 s44, s44, exec_lo
	s_delay_alu instid0(VALU_DEP_1) | instskip(NEXT) | instid1(VALU_DEP_1)
	v_and_b32_e32 v3, 0xff, v3
	v_cmp_ne_u32_e32 vcc_lo, 0, v3
	s_and_b32 s46, vcc_lo, exec_lo
	s_mov_b32 vcc_lo, 0
	s_or_b32 s44, s44, s46
	s_or_b32 exec_lo, exec_lo, s45
	v_mov_b32_e32 v4, vcc_lo
	s_and_saveexec_b32 vcc_lo, s44
	s_cbranch_execnz .LBB47_6133
	s_branch .LBB47_6134
.LBB47_6858:
	s_mov_b32 s51, s47
	s_mov_b32 s52, exec_lo
	v_cmpx_lt_i16_e32 25, v3
	s_xor_b32 s52, exec_lo, s52
	s_cbranch_execz .LBB47_6894
; %bb.6859:
	s_mov_b32 s53, s47
	s_mov_b32 s51, exec_lo
	v_cmpx_lt_i16_e32 28, v3
	s_xor_b32 s51, exec_lo, s51
	s_cbranch_execz .LBB47_6877
; %bb.6860:
	;; [unrolled: 6-line block ×3, first 2 shown]
	s_mov_b32 s54, 0
	s_mov_b32 s55, s47
	s_mov_b32 s0, exec_lo
	v_cmpx_lt_i16_e32 45, v3
	s_xor_b32 s0, exec_lo, s0
	s_cbranch_execz .LBB47_6865
; %bb.6862:
	s_mov_b32 s56, -1
	s_mov_b32 s55, exec_lo
	v_cmpx_eq_u16_e32 46, v3
	s_cbranch_execz .LBB47_6864
; %bb.6863:
	v_bfe_u32 v3, v14, 16, 1
	v_cmp_o_f32_e32 vcc_lo, v14, v14
	s_mov_b32 s54, exec_lo
	s_xor_b32 s56, exec_lo, -1
	s_delay_alu instid0(VALU_DEP_2) | instskip(NEXT) | instid1(VALU_DEP_1)
	v_add3_u32 v3, v14, v3, 0x7fff
	v_lshrrev_b32_e32 v3, 16, v3
	s_delay_alu instid0(VALU_DEP_1)
	v_cndmask_b32_e32 v3, 0x7fc0, v3, vcc_lo
	flat_store_b32 v[1:2], v3
.LBB47_6864:
	s_or_b32 exec_lo, exec_lo, s55
	s_delay_alu instid0(SALU_CYCLE_1)
	s_and_not1_b32 vcc_lo, s47, exec_lo
	s_and_b32 s55, s56, exec_lo
	s_and_b32 s54, s54, exec_lo
	s_or_b32 s55, vcc_lo, s55
                                        ; implicit-def: $vgpr3
                                        ; implicit-def: $vgpr1_vgpr2
                                        ; implicit-def: $vgpr14
.LBB47_6865:
	s_and_not1_saveexec_b32 s56, s0
	s_cbranch_execz .LBB47_6871
; %bb.6866:
	s_mov_b32 s58, -1
	s_mov_b32 s0, s54
	s_mov_b32 s57, exec_lo
	v_cmpx_eq_u16_e32 44, v3
	s_cbranch_execz .LBB47_6870
; %bb.6867:
	v_bfe_u32 v4, v14, 23, 8
	v_mov_b32_e32 v3, 0xff
	s_mov_b32 s58, exec_lo
	s_delay_alu instid0(VALU_DEP_2)
	v_cmpx_ne_u32_e32 0xff, v4
; %bb.6868:
	v_and_b32_e32 v3, 0x400000, v14
	v_and_or_b32 v4, 0x3fffff, v14, v4
	s_delay_alu instid0(VALU_DEP_2) | instskip(NEXT) | instid1(VALU_DEP_2)
	v_cmp_ne_u32_e32 vcc_lo, 0, v3
	v_cmp_ne_u32_e64 s0, 0, v4
	v_lshrrev_b32_e32 v3, 23, v14
	s_delay_alu instid0(VALU_DEP_2) | instskip(NEXT) | instid1(SALU_CYCLE_1)
	s_and_b32 s0, vcc_lo, s0
	v_cndmask_b32_e64 v4, 0, 1, s0
	s_delay_alu instid0(VALU_DEP_1)
	v_add_nc_u32_e32 v3, v3, v4
; %bb.6869:
	s_or_b32 exec_lo, exec_lo, s58
	s_delay_alu instid0(SALU_CYCLE_1)
	s_xor_b32 s58, exec_lo, -1
	s_or_b32 s0, s54, exec_lo
	flat_store_b8 v[1:2], v3
.LBB47_6870:
	s_or_b32 exec_lo, exec_lo, s57
	s_delay_alu instid0(SALU_CYCLE_1)
	s_and_not1_b32 vcc_lo, s55, exec_lo
	s_and_b32 s55, s58, exec_lo
	s_and_not1_b32 s54, s54, exec_lo
	s_and_b32 s0, s0, exec_lo
	s_or_b32 s55, vcc_lo, s55
	s_or_b32 s54, s54, s0
.LBB47_6871:
	s_or_b32 exec_lo, exec_lo, s56
	s_delay_alu instid0(SALU_CYCLE_1) | instskip(SKIP_1) | instid1(SALU_CYCLE_1)
	s_and_not1_b32 s0, s47, exec_lo
	s_and_b32 vcc_lo, s55, exec_lo
                                        ; implicit-def: $vgpr3
                                        ; implicit-def: $vgpr14
                                        ; implicit-def: $vgpr1_vgpr2
	s_or_b32 s55, s0, vcc_lo
	s_and_b32 s0, s54, exec_lo
.LBB47_6872:
	s_and_not1_saveexec_b32 s53, s53
	s_cbranch_execz .LBB47_6876
; %bb.6873:
	s_mov_b32 s57, -1
	s_mov_b32 s56, s0
	s_mov_b32 s54, exec_lo
	v_cmpx_eq_u16_e32 29, v3
	s_cbranch_execz .LBB47_6875
; %bb.6874:
	v_trunc_f32_e32 v3, v14
	s_xor_b32 s57, exec_lo, -1
	s_or_b32 s56, s0, exec_lo
	s_delay_alu instid0(VALU_DEP_1) | instskip(NEXT) | instid1(VALU_DEP_1)
	v_mul_f32_e32 v4, 0x2f800000, v3
	v_floor_f32_e32 v4, v4
	s_delay_alu instid0(VALU_DEP_1) | instskip(SKIP_1) | instid1(VALU_DEP_2)
	v_fmamk_f32 v3, v4, 0xcf800000, v3
	v_cvt_u32_f32_e32 v4, v4
	v_cvt_u32_f32_e32 v3, v3
	flat_store_b64 v[1:2], v[3:4]
.LBB47_6875:
	s_or_b32 exec_lo, exec_lo, s54
	s_delay_alu instid0(SALU_CYCLE_1)
	s_and_not1_b32 vcc_lo, s55, exec_lo
	s_and_b32 s54, s57, exec_lo
	s_and_not1_b32 s0, s0, exec_lo
	s_and_b32 s56, s56, exec_lo
	s_or_b32 s55, vcc_lo, s54
	s_or_b32 s0, s0, s56
.LBB47_6876:
	s_or_b32 exec_lo, exec_lo, s53
	s_delay_alu instid0(SALU_CYCLE_1)
	s_and_not1_b32 vcc_lo, s47, exec_lo
	s_and_b32 s53, s55, exec_lo
	s_and_b32 s0, s0, exec_lo
	s_or_b32 s53, vcc_lo, s53
                                        ; implicit-def: $vgpr1_vgpr2
                                        ; implicit-def: $vgpr3
                                        ; implicit-def: $vgpr14
.LBB47_6877:
	s_and_not1_saveexec_b32 s51, s51
	s_cbranch_execz .LBB47_6893
; %bb.6878:
	s_mov_b32 s54, exec_lo
	v_cmpx_lt_i16_e32 26, v3
	s_xor_b32 s54, exec_lo, s54
	s_cbranch_execz .LBB47_6884
; %bb.6879:
	v_cmp_lt_i16_e32 vcc_lo, 27, v3
	s_and_saveexec_b32 s55, vcc_lo
	s_delay_alu instid0(SALU_CYCLE_1)
	s_xor_b32 vcc_lo, exec_lo, s55
	s_cbranch_execz .LBB47_6881
; %bb.6880:
	v_cvt_u32_f32_e32 v3, v14
                                        ; implicit-def: $vgpr14
	flat_store_b32 v[1:2], v3
                                        ; implicit-def: $vgpr1_vgpr2
.LBB47_6881:
	s_and_not1_saveexec_b32 vcc_lo, vcc_lo
	s_cbranch_execz .LBB47_6883
; %bb.6882:
	v_cvt_u32_f32_e32 v3, v14
	flat_store_b16 v[1:2], v3
.LBB47_6883:
	s_or_b32 exec_lo, exec_lo, vcc_lo
                                        ; implicit-def: $vgpr1_vgpr2
                                        ; implicit-def: $vgpr14
.LBB47_6884:
	s_and_not1_saveexec_b32 s54, s54
	s_cbranch_execz .LBB47_6892
; %bb.6885:
	v_and_b32_e32 v3, 0x7fffffff, v14
	v_mov_b32_e32 v4, 0x80
	s_mov_b32 s55, exec_lo
	s_delay_alu instid0(VALU_DEP_2)
	v_cmpx_gt_u32_e32 0x43800000, v3
	s_cbranch_execz .LBB47_6891
; %bb.6886:
	v_cmp_lt_u32_e32 vcc_lo, 0x3bffffff, v3
	s_mov_b32 s56, 0
                                        ; implicit-def: $vgpr3
	s_and_saveexec_b32 s57, vcc_lo
	s_delay_alu instid0(SALU_CYCLE_1)
	s_xor_b32 vcc_lo, exec_lo, s57
	s_cbranch_execnz .LBB47_7612
; %bb.6887:
	s_or_saveexec_b32 s57, vcc_lo
                                        ; implicit-def: $vcc_lo
	s_delay_alu instid0(SALU_CYCLE_1)
	s_xor_b32 exec_lo, exec_lo, s57
	s_cbranch_execnz .LBB47_7613
.LBB47_6888:
	s_or_b32 exec_lo, exec_lo, s57
	v_mov_b32_e32 v4, vcc_lo
	s_and_saveexec_b32 vcc_lo, s56
.LBB47_6889:
	v_lshrrev_b32_e32 v4, 24, v14
	s_delay_alu instid0(VALU_DEP_1)
	v_and_or_b32 v4, 0x80, v4, v3
.LBB47_6890:
	s_or_b32 exec_lo, exec_lo, vcc_lo
.LBB47_6891:
	s_delay_alu instid0(SALU_CYCLE_1)
	s_or_b32 exec_lo, exec_lo, s55
	flat_store_b8 v[1:2], v4
.LBB47_6892:
	s_or_b32 exec_lo, exec_lo, s54
	s_delay_alu instid0(SALU_CYCLE_1)
	s_or_b32 s0, s0, exec_lo
.LBB47_6893:
	s_or_b32 exec_lo, exec_lo, s51
	s_delay_alu instid0(SALU_CYCLE_1)
	s_and_not1_b32 vcc_lo, s47, exec_lo
	s_and_b32 s51, s53, exec_lo
	s_and_b32 s0, s0, exec_lo
	s_or_b32 s51, vcc_lo, s51
                                        ; implicit-def: $vgpr3
                                        ; implicit-def: $vgpr14
                                        ; implicit-def: $vgpr1_vgpr2
.LBB47_6894:
	s_and_not1_saveexec_b32 s52, s52
	s_cbranch_execz .LBB47_6938
; %bb.6895:
	s_mov_b32 s54, s0
	s_mov_b32 s53, exec_lo
	v_cmpx_lt_i16_e32 22, v3
	s_xor_b32 s53, exec_lo, s53
	s_cbranch_execz .LBB47_6927
; %bb.6896:
	s_mov_b32 s54, exec_lo
	v_cmpx_lt_i16_e32 23, v3
	s_xor_b32 s54, exec_lo, s54
	s_cbranch_execz .LBB47_6916
; %bb.6897:
	;; [unrolled: 5-line block ×3, first 2 shown]
	v_and_b32_e32 v3, 0x7fffffff, v14
	v_mov_b32_e32 v4, 0x80
	s_mov_b32 s56, exec_lo
	s_delay_alu instid0(VALU_DEP_2)
	v_cmpx_gt_u32_e32 0x47800000, v3
	s_cbranch_execz .LBB47_6904
; %bb.6899:
	v_cmp_lt_u32_e32 vcc_lo, 0x37ffffff, v3
	s_mov_b32 s57, 0
                                        ; implicit-def: $vgpr3
	s_and_saveexec_b32 s58, vcc_lo
	s_delay_alu instid0(SALU_CYCLE_1)
	s_xor_b32 vcc_lo, exec_lo, s58
	s_cbranch_execnz .LBB47_7736
; %bb.6900:
	s_or_saveexec_b32 s58, vcc_lo
                                        ; implicit-def: $vcc_lo
	s_delay_alu instid0(SALU_CYCLE_1)
	s_xor_b32 exec_lo, exec_lo, s58
	s_cbranch_execnz .LBB47_7737
.LBB47_6901:
	s_or_b32 exec_lo, exec_lo, s58
	v_mov_b32_e32 v4, vcc_lo
	s_and_saveexec_b32 vcc_lo, s57
.LBB47_6902:
	v_lshrrev_b32_e32 v4, 24, v14
	s_delay_alu instid0(VALU_DEP_1)
	v_and_or_b32 v4, 0x80, v4, v3
.LBB47_6903:
	s_or_b32 exec_lo, exec_lo, vcc_lo
.LBB47_6904:
	s_delay_alu instid0(SALU_CYCLE_1)
	s_or_b32 exec_lo, exec_lo, s56
	flat_store_b8 v[1:2], v4
                                        ; implicit-def: $vgpr14
                                        ; implicit-def: $vgpr1_vgpr2
.LBB47_6905:
	s_and_not1_saveexec_b32 s55, s55
	s_cbranch_execz .LBB47_6915
; %bb.6906:
	v_and_b32_e32 v4, 0x7fffffff, v14
	s_mov_b32 s56, exec_lo
                                        ; implicit-def: $vgpr3
	s_delay_alu instid0(VALU_DEP_1)
	v_cmpx_gt_u32_e32 0x43f00000, v4
	s_xor_b32 s56, exec_lo, s56
	s_cbranch_execz .LBB47_6912
; %bb.6907:
	s_mov_b32 s57, exec_lo
                                        ; implicit-def: $vgpr3
	v_cmpx_lt_u32_e32 0x3c7fffff, v4
	s_xor_b32 s57, exec_lo, s57
; %bb.6908:
	v_bfe_u32 v3, v14, 20, 1
	s_delay_alu instid0(VALU_DEP_1) | instskip(NEXT) | instid1(VALU_DEP_1)
	v_add3_u32 v3, v14, v3, 0x407ffff
	v_and_b32_e32 v4, 0xff00000, v3
	v_lshrrev_b32_e32 v3, 20, v3
	s_delay_alu instid0(VALU_DEP_2) | instskip(NEXT) | instid1(VALU_DEP_2)
	v_cmp_ne_u32_e32 vcc_lo, 0x7f00000, v4
	v_cndmask_b32_e32 v3, 0x7e, v3, vcc_lo
; %bb.6909:
	s_and_not1_saveexec_b32 vcc_lo, s57
; %bb.6910:
	v_add_f32_e64 v3, 0x46800000, |v14|
; %bb.6911:
	s_or_b32 exec_lo, exec_lo, vcc_lo
                                        ; implicit-def: $vgpr4
.LBB47_6912:
	s_and_not1_saveexec_b32 s56, s56
; %bb.6913:
	v_mov_b32_e32 v3, 0x7f
	v_cmp_lt_u32_e32 vcc_lo, 0x7f800000, v4
	s_delay_alu instid0(VALU_DEP_2)
	v_cndmask_b32_e32 v3, 0x7e, v3, vcc_lo
; %bb.6914:
	s_or_b32 exec_lo, exec_lo, s56
	v_lshrrev_b32_e32 v4, 24, v14
	s_delay_alu instid0(VALU_DEP_1)
	v_and_or_b32 v3, 0x80, v4, v3
	flat_store_b8 v[1:2], v3
.LBB47_6915:
	s_or_b32 exec_lo, exec_lo, s55
                                        ; implicit-def: $vgpr14
                                        ; implicit-def: $vgpr1_vgpr2
.LBB47_6916:
	s_and_not1_saveexec_b32 s54, s54
	s_cbranch_execz .LBB47_6926
; %bb.6917:
	v_and_b32_e32 v4, 0x7fffffff, v14
	s_mov_b32 s55, exec_lo
                                        ; implicit-def: $vgpr3
	s_delay_alu instid0(VALU_DEP_1)
	v_cmpx_gt_u32_e32 0x47800000, v4
	s_xor_b32 s55, exec_lo, s55
	s_cbranch_execz .LBB47_6923
; %bb.6918:
	v_cmp_lt_u32_e32 vcc_lo, 0x387fffff, v4
                                        ; implicit-def: $vgpr3
	s_and_saveexec_b32 s56, vcc_lo
	s_delay_alu instid0(SALU_CYCLE_1)
	s_xor_b32 vcc_lo, exec_lo, s56
; %bb.6919:
	v_bfe_u32 v3, v14, 21, 1
	s_delay_alu instid0(VALU_DEP_1) | instskip(NEXT) | instid1(VALU_DEP_1)
	v_add3_u32 v3, v14, v3, 0x80fffff
	v_lshrrev_b32_e32 v3, 21, v3
; %bb.6920:
	s_and_not1_saveexec_b32 vcc_lo, vcc_lo
; %bb.6921:
	v_add_f32_e64 v3, 0x43000000, |v14|
; %bb.6922:
	s_or_b32 exec_lo, exec_lo, vcc_lo
                                        ; implicit-def: $vgpr4
.LBB47_6923:
	s_and_not1_saveexec_b32 s55, s55
; %bb.6924:
	v_mov_b32_e32 v3, 0x7f
	v_cmp_lt_u32_e32 vcc_lo, 0x7f800000, v4
	s_delay_alu instid0(VALU_DEP_2)
	v_cndmask_b32_e32 v3, 0x7c, v3, vcc_lo
; %bb.6925:
	s_or_b32 exec_lo, exec_lo, s55
	v_lshrrev_b32_e32 v4, 24, v14
	s_delay_alu instid0(VALU_DEP_1)
	v_and_or_b32 v3, 0x80, v4, v3
	flat_store_b8 v[1:2], v3
.LBB47_6926:
	s_or_b32 exec_lo, exec_lo, s54
	s_delay_alu instid0(SALU_CYCLE_1)
	s_or_b32 s54, s0, exec_lo
                                        ; implicit-def: $vgpr3
                                        ; implicit-def: $vgpr14
                                        ; implicit-def: $vgpr1_vgpr2
.LBB47_6927:
	s_or_saveexec_b32 s53, s53
	s_mov_b32 vcc_lo, s51
	s_xor_b32 exec_lo, exec_lo, s53
	s_cbranch_execz .LBB47_6937
; %bb.6928:
	s_mov_b32 s55, s54
	s_mov_b32 s56, s51
	s_mov_b32 s57, exec_lo
	v_cmpx_lt_i16_e32 14, v3
	s_xor_b32 s57, exec_lo, s57
	s_cbranch_execz .LBB47_6932
; %bb.6929:
	s_mov_b32 s58, -1
	s_mov_b32 s55, s54
	s_mov_b32 s56, exec_lo
	v_cmpx_eq_u16_e32 15, v3
	s_cbranch_execz .LBB47_6931
; %bb.6930:
	v_bfe_u32 v3, v14, 16, 1
	v_cmp_o_f32_e32 vcc_lo, v14, v14
	s_xor_b32 s58, exec_lo, -1
	s_or_b32 s55, s54, exec_lo
	s_delay_alu instid0(VALU_DEP_2) | instskip(NEXT) | instid1(VALU_DEP_1)
	v_add3_u32 v3, v14, v3, 0x7fff
	v_lshrrev_b32_e32 v3, 16, v3
	s_delay_alu instid0(VALU_DEP_1)
	v_cndmask_b32_e32 v3, 0x7fc0, v3, vcc_lo
	flat_store_b16 v[1:2], v3
.LBB47_6931:
	s_or_b32 exec_lo, exec_lo, s56
	s_delay_alu instid0(SALU_CYCLE_1)
	s_and_not1_b32 vcc_lo, s51, exec_lo
	s_and_b32 s56, s58, exec_lo
	s_and_not1_b32 s58, s54, exec_lo
	s_and_b32 s55, s55, exec_lo
	s_or_b32 s56, vcc_lo, s56
	s_or_b32 s55, s58, s55
                                        ; implicit-def: $vgpr3
                                        ; implicit-def: $vgpr14
                                        ; implicit-def: $vgpr1_vgpr2
.LBB47_6932:
	s_and_not1_saveexec_b32 s57, s57
	s_cbranch_execz .LBB47_6936
; %bb.6933:
	s_mov_b32 s59, -1
	s_mov_b32 s58, s55
	s_mov_b32 s60, exec_lo
	v_cmpx_eq_u16_e32 11, v3
	s_cbranch_execz .LBB47_6935
; %bb.6934:
	v_cmp_neq_f32_e32 vcc_lo, 0, v14
	s_xor_b32 s59, exec_lo, -1
	s_or_b32 s58, s55, exec_lo
	v_cndmask_b32_e64 v3, 0, 1, vcc_lo
	flat_store_b8 v[1:2], v3
.LBB47_6935:
	s_or_b32 exec_lo, exec_lo, s60
	s_delay_alu instid0(SALU_CYCLE_1)
	s_and_not1_b32 vcc_lo, s56, exec_lo
	s_and_b32 s56, s59, exec_lo
	s_and_not1_b32 s55, s55, exec_lo
	s_and_b32 s58, s58, exec_lo
	s_or_b32 s56, vcc_lo, s56
	s_or_b32 s55, s55, s58
.LBB47_6936:
	s_or_b32 exec_lo, exec_lo, s57
	s_delay_alu instid0(SALU_CYCLE_1)
	s_and_not1_b32 vcc_lo, s51, exec_lo
	s_and_b32 s56, s56, exec_lo
	s_and_not1_b32 s54, s54, exec_lo
	s_and_b32 s55, s55, exec_lo
	s_or_b32 vcc_lo, vcc_lo, s56
	s_or_b32 s54, s54, s55
.LBB47_6937:
	s_or_b32 exec_lo, exec_lo, s53
	s_delay_alu instid0(SALU_CYCLE_1)
	s_and_not1_b32 s51, s51, exec_lo
	s_and_b32 vcc_lo, vcc_lo, exec_lo
	s_and_not1_b32 s0, s0, exec_lo
	s_and_b32 s53, s54, exec_lo
	s_or_b32 s51, s51, vcc_lo
	s_or_b32 s0, s0, s53
.LBB47_6938:
	s_or_b32 exec_lo, exec_lo, s52
	s_delay_alu instid0(SALU_CYCLE_1)
	s_and_not1_b32 vcc_lo, s47, exec_lo
	s_and_b32 s51, s51, exec_lo
	s_and_b32 s0, s0, exec_lo
	s_or_b32 s51, vcc_lo, s51
                                        ; implicit-def: $vgpr3
                                        ; implicit-def: $vgpr14
                                        ; implicit-def: $vgpr1_vgpr2
	s_and_not1_saveexec_b32 s49, s49
	s_cbranch_execz .LBB47_3993
.LBB47_6939:
	s_mov_b32 s52, exec_lo
	v_cmpx_lt_i16_e32 4, v3
	s_xor_b32 s52, exec_lo, s52
	s_cbranch_execz .LBB47_6961
; %bb.6940:
	s_mov_b32 s53, exec_lo
	v_cmpx_lt_i16_e32 7, v3
	s_xor_b32 s53, exec_lo, s53
	s_cbranch_execz .LBB47_6950
; %bb.6941:
	;; [unrolled: 5-line block ×3, first 2 shown]
	v_cmp_lt_i16_e32 vcc_lo, 9, v3
	s_and_saveexec_b32 s55, vcc_lo
	s_delay_alu instid0(SALU_CYCLE_1)
	s_xor_b32 vcc_lo, exec_lo, s55
	s_cbranch_execz .LBB47_6944
; %bb.6943:
	s_waitcnt vmcnt(0) lgkmcnt(0)
	v_cvt_f64_f32_e32 v[14:15], v14
	v_mov_b32_e32 v16, 0
	s_delay_alu instid0(VALU_DEP_1)
	v_mov_b32_e32 v17, v16
	flat_store_b128 v[1:2], v[14:17]
                                        ; implicit-def: $vgpr14
                                        ; implicit-def: $vgpr1_vgpr2
.LBB47_6944:
	s_and_not1_saveexec_b32 vcc_lo, vcc_lo
	s_cbranch_execz .LBB47_6946
; %bb.6945:
	s_waitcnt vmcnt(0) lgkmcnt(0)
	v_mov_b32_e32 v15, 0
	flat_store_b64 v[1:2], v[14:15]
.LBB47_6946:
	s_or_b32 exec_lo, exec_lo, vcc_lo
                                        ; implicit-def: $vgpr14
                                        ; implicit-def: $vgpr1_vgpr2
.LBB47_6947:
	s_and_not1_saveexec_b32 vcc_lo, s54
	s_cbranch_execz .LBB47_6949
; %bb.6948:
	v_cvt_f16_f32_e32 v3, v14
	s_delay_alu instid0(VALU_DEP_1)
	v_and_b32_e32 v3, 0xffff, v3
	flat_store_b32 v[1:2], v3
.LBB47_6949:
	s_or_b32 exec_lo, exec_lo, vcc_lo
                                        ; implicit-def: $vgpr14
                                        ; implicit-def: $vgpr1_vgpr2
                                        ; implicit-def: $vgpr3
.LBB47_6950:
	s_and_not1_saveexec_b32 s53, s53
	s_cbranch_execz .LBB47_6960
; %bb.6951:
	s_mov_b32 s54, exec_lo
	v_cmpx_lt_i16_e32 5, v3
	s_xor_b32 s54, exec_lo, s54
	s_cbranch_execz .LBB47_6957
; %bb.6952:
	v_cmp_lt_i16_e32 vcc_lo, 6, v3
	s_and_saveexec_b32 s55, vcc_lo
	s_delay_alu instid0(SALU_CYCLE_1)
	s_xor_b32 vcc_lo, exec_lo, s55
	s_cbranch_execz .LBB47_6954
; %bb.6953:
	v_cvt_f64_f32_e32 v[3:4], v14
                                        ; implicit-def: $vgpr14
	flat_store_b64 v[1:2], v[3:4]
                                        ; implicit-def: $vgpr1_vgpr2
.LBB47_6954:
	s_and_not1_saveexec_b32 vcc_lo, vcc_lo
	s_cbranch_execz .LBB47_6956
; %bb.6955:
	flat_store_b32 v[1:2], v14
.LBB47_6956:
	s_or_b32 exec_lo, exec_lo, vcc_lo
                                        ; implicit-def: $vgpr14
                                        ; implicit-def: $vgpr1_vgpr2
.LBB47_6957:
	s_and_not1_saveexec_b32 vcc_lo, s54
	s_cbranch_execz .LBB47_6959
; %bb.6958:
	v_cvt_f16_f32_e32 v3, v14
	flat_store_b16 v[1:2], v3
.LBB47_6959:
	s_or_b32 exec_lo, exec_lo, vcc_lo
.LBB47_6960:
	s_delay_alu instid0(SALU_CYCLE_1)
	s_or_b32 exec_lo, exec_lo, s53
                                        ; implicit-def: $vgpr3
                                        ; implicit-def: $vgpr14
                                        ; implicit-def: $vgpr1_vgpr2
.LBB47_6961:
	s_and_not1_saveexec_b32 s52, s52
	s_cbranch_execz .LBB47_6979
; %bb.6962:
	s_mov_b32 s53, exec_lo
	v_cmpx_lt_i16_e32 1, v3
	s_xor_b32 s53, exec_lo, s53
	s_cbranch_execz .LBB47_6972
; %bb.6963:
	s_mov_b32 s54, exec_lo
	v_cmpx_lt_i16_e32 2, v3
	s_xor_b32 s54, exec_lo, s54
	;; [unrolled: 5-line block ×3, first 2 shown]
	s_cbranch_execz .LBB47_6966
; %bb.6965:
	v_trunc_f32_e32 v3, v14
                                        ; implicit-def: $vgpr14
	s_delay_alu instid0(VALU_DEP_1) | instskip(SKIP_1) | instid1(VALU_DEP_2)
	v_mul_f32_e64 v4, 0x2f800000, |v3|
	v_ashrrev_i32_e32 v10, 31, v3
	v_floor_f32_e32 v4, v4
	s_delay_alu instid0(VALU_DEP_1) | instskip(SKIP_1) | instid1(VALU_DEP_2)
	v_fma_f32 v5, 0xcf800000, v4, |v3|
	v_cvt_u32_f32_e32 v4, v4
	v_cvt_u32_f32_e32 v3, v5
	s_delay_alu instid0(VALU_DEP_2) | instskip(NEXT) | instid1(VALU_DEP_2)
	v_xor_b32_e32 v4, v4, v10
	v_xor_b32_e32 v3, v3, v10
	s_delay_alu instid0(VALU_DEP_1) | instskip(NEXT) | instid1(VALU_DEP_3)
	v_sub_co_u32 v3, vcc_lo, v3, v10
	v_sub_co_ci_u32_e32 v4, vcc_lo, v4, v10, vcc_lo
	flat_store_b64 v[1:2], v[3:4]
                                        ; implicit-def: $vgpr1_vgpr2
.LBB47_6966:
	s_and_not1_saveexec_b32 vcc_lo, s55
	s_cbranch_execz .LBB47_6968
; %bb.6967:
	v_cvt_i32_f32_e32 v3, v14
	flat_store_b32 v[1:2], v3
.LBB47_6968:
	s_or_b32 exec_lo, exec_lo, vcc_lo
                                        ; implicit-def: $vgpr14
                                        ; implicit-def: $vgpr1_vgpr2
.LBB47_6969:
	s_and_not1_saveexec_b32 vcc_lo, s54
	s_cbranch_execz .LBB47_6971
; %bb.6970:
	v_cvt_i32_f32_e32 v3, v14
	flat_store_b16 v[1:2], v3
.LBB47_6971:
	s_or_b32 exec_lo, exec_lo, vcc_lo
                                        ; implicit-def: $vgpr14
                                        ; implicit-def: $vgpr1_vgpr2
                                        ; implicit-def: $vgpr3
.LBB47_6972:
	s_and_not1_saveexec_b32 s53, s53
	s_cbranch_execz .LBB47_6978
; %bb.6973:
	v_cmp_lt_i16_e32 vcc_lo, 0, v3
	s_and_saveexec_b32 s54, vcc_lo
	s_delay_alu instid0(SALU_CYCLE_1)
	s_xor_b32 vcc_lo, exec_lo, s54
	s_cbranch_execz .LBB47_6975
; %bb.6974:
	v_cvt_i32_f32_e32 v3, v14
                                        ; implicit-def: $vgpr14
	flat_store_b8 v[1:2], v3
                                        ; implicit-def: $vgpr1_vgpr2
.LBB47_6975:
	s_and_not1_saveexec_b32 vcc_lo, vcc_lo
	s_cbranch_execz .LBB47_6977
; %bb.6976:
	v_trunc_f32_e32 v3, v14
	s_delay_alu instid0(VALU_DEP_1) | instskip(NEXT) | instid1(VALU_DEP_1)
	v_mul_f32_e64 v4, 0x2f800000, |v3|
	v_floor_f32_e32 v4, v4
	s_delay_alu instid0(VALU_DEP_1) | instskip(SKIP_1) | instid1(VALU_DEP_2)
	v_fma_f32 v4, 0xcf800000, v4, |v3|
	v_ashrrev_i32_e32 v3, 31, v3
	v_cvt_u32_f32_e32 v4, v4
	s_delay_alu instid0(VALU_DEP_1) | instskip(NEXT) | instid1(VALU_DEP_1)
	v_xor_b32_e32 v4, v4, v3
	v_sub_nc_u32_e32 v3, v4, v3
	flat_store_b8 v[1:2], v3
.LBB47_6977:
	s_or_b32 exec_lo, exec_lo, vcc_lo
.LBB47_6978:
	s_delay_alu instid0(SALU_CYCLE_1)
	s_or_b32 exec_lo, exec_lo, s53
.LBB47_6979:
	s_delay_alu instid0(SALU_CYCLE_1) | instskip(NEXT) | instid1(SALU_CYCLE_1)
	s_or_b32 exec_lo, exec_lo, s52
	s_or_b32 s0, s0, exec_lo
	s_or_b32 exec_lo, exec_lo, s49
	s_mov_b32 vcc_lo, 0
	s_and_saveexec_b32 s49, s0
	s_cbranch_execnz .LBB47_3994
	s_branch .LBB47_3995
.LBB47_6980:
	v_bfe_u32 v3, v20, 21, 1
	s_mov_b32 s45, exec_lo
	s_delay_alu instid0(VALU_DEP_1) | instskip(NEXT) | instid1(VALU_DEP_1)
	v_add3_u32 v3, v20, v3, 0x88fffff
	v_lshrrev_b32_e32 v3, 21, v3
	s_or_saveexec_b32 s46, vcc_lo
                                        ; implicit-def: $vcc_lo
	s_delay_alu instid0(SALU_CYCLE_1)
	s_xor_b32 exec_lo, exec_lo, s46
	s_cbranch_execz .LBB47_6145
.LBB47_6981:
	v_add_f32_e64 v3, 0x42800000, |v20|
	s_and_not1_b32 s45, s45, exec_lo
	s_delay_alu instid0(VALU_DEP_1) | instskip(NEXT) | instid1(VALU_DEP_1)
	v_and_b32_e32 v3, 0xff, v3
	v_cmp_ne_u32_e32 vcc_lo, 0, v3
	s_and_b32 s47, vcc_lo, exec_lo
	s_mov_b32 vcc_lo, 0
	s_or_b32 s45, s45, s47
	s_or_b32 exec_lo, exec_lo, s46
	v_mov_b32_e32 v4, vcc_lo
	s_and_saveexec_b32 vcc_lo, s45
	s_cbranch_execnz .LBB47_6146
	s_branch .LBB47_6147
.LBB47_6982:
	v_bfe_u32 v3, v19, 20, 1
	s_mov_b32 s46, exec_lo
	s_delay_alu instid0(VALU_DEP_1) | instskip(NEXT) | instid1(VALU_DEP_1)
	v_add3_u32 v3, v19, v3, 0x487ffff
	v_lshrrev_b32_e32 v3, 20, v3
	s_or_saveexec_b32 s47, vcc_lo
                                        ; implicit-def: $vcc_lo
	s_delay_alu instid0(SALU_CYCLE_1)
	s_xor_b32 exec_lo, exec_lo, s47
	s_cbranch_execz .LBB47_6258
.LBB47_6983:
	v_add_f32_e64 v3, 0x46000000, |v19|
	s_and_not1_b32 s46, s46, exec_lo
	s_delay_alu instid0(VALU_DEP_1) | instskip(NEXT) | instid1(VALU_DEP_1)
	v_and_b32_e32 v3, 0xff, v3
	v_cmp_ne_u32_e32 vcc_lo, 0, v3
	s_and_b32 s48, vcc_lo, exec_lo
	s_mov_b32 vcc_lo, 0
	s_or_b32 s46, s46, s48
	s_or_b32 exec_lo, exec_lo, s47
	v_mov_b32_e32 v4, vcc_lo
	s_and_saveexec_b32 vcc_lo, s46
	s_cbranch_execnz .LBB47_6259
	s_branch .LBB47_6260
.LBB47_6984:
	s_mov_b32 s53, s49
	s_mov_b32 s54, exec_lo
	v_cmpx_lt_i16_e32 25, v3
	s_xor_b32 s54, exec_lo, s54
	s_cbranch_execz .LBB47_7020
; %bb.6985:
	s_mov_b32 s55, s49
	s_mov_b32 s53, exec_lo
	v_cmpx_lt_i16_e32 28, v3
	s_xor_b32 s53, exec_lo, s53
	s_cbranch_execz .LBB47_7003
; %bb.6986:
	;; [unrolled: 6-line block ×3, first 2 shown]
	s_mov_b32 s56, 0
	s_mov_b32 s57, s49
	s_mov_b32 s0, exec_lo
	v_cmpx_lt_i16_e32 45, v3
	s_xor_b32 s0, exec_lo, s0
	s_cbranch_execz .LBB47_6991
; %bb.6988:
	s_mov_b32 s58, -1
	s_mov_b32 s57, exec_lo
	v_cmpx_eq_u16_e32 46, v3
	s_cbranch_execz .LBB47_6990
; %bb.6989:
	v_bfe_u32 v3, v13, 16, 1
	v_cmp_o_f32_e32 vcc_lo, v13, v13
	s_mov_b32 s56, exec_lo
	s_xor_b32 s58, exec_lo, -1
	s_delay_alu instid0(VALU_DEP_2) | instskip(NEXT) | instid1(VALU_DEP_1)
	v_add3_u32 v3, v13, v3, 0x7fff
	v_lshrrev_b32_e32 v3, 16, v3
	s_delay_alu instid0(VALU_DEP_1)
	v_cndmask_b32_e32 v3, 0x7fc0, v3, vcc_lo
	flat_store_b32 v[1:2], v3
.LBB47_6990:
	s_or_b32 exec_lo, exec_lo, s57
	s_delay_alu instid0(SALU_CYCLE_1)
	s_and_not1_b32 vcc_lo, s49, exec_lo
	s_and_b32 s57, s58, exec_lo
	s_and_b32 s56, s56, exec_lo
	s_or_b32 s57, vcc_lo, s57
                                        ; implicit-def: $vgpr3
                                        ; implicit-def: $vgpr1_vgpr2
                                        ; implicit-def: $vgpr13
.LBB47_6991:
	s_and_not1_saveexec_b32 s58, s0
	s_cbranch_execz .LBB47_6997
; %bb.6992:
	s_mov_b32 s60, -1
	s_mov_b32 s0, s56
	s_mov_b32 s59, exec_lo
	v_cmpx_eq_u16_e32 44, v3
	s_cbranch_execz .LBB47_6996
; %bb.6993:
	v_bfe_u32 v4, v13, 23, 8
	v_mov_b32_e32 v3, 0xff
	s_mov_b32 s60, exec_lo
	s_delay_alu instid0(VALU_DEP_2)
	v_cmpx_ne_u32_e32 0xff, v4
; %bb.6994:
	v_and_b32_e32 v3, 0x400000, v13
	v_and_or_b32 v4, 0x3fffff, v13, v4
	s_delay_alu instid0(VALU_DEP_2) | instskip(NEXT) | instid1(VALU_DEP_2)
	v_cmp_ne_u32_e32 vcc_lo, 0, v3
	v_cmp_ne_u32_e64 s0, 0, v4
	v_lshrrev_b32_e32 v3, 23, v13
	s_delay_alu instid0(VALU_DEP_2) | instskip(NEXT) | instid1(SALU_CYCLE_1)
	s_and_b32 s0, vcc_lo, s0
	v_cndmask_b32_e64 v4, 0, 1, s0
	s_delay_alu instid0(VALU_DEP_1)
	v_add_nc_u32_e32 v3, v3, v4
; %bb.6995:
	s_or_b32 exec_lo, exec_lo, s60
	s_delay_alu instid0(SALU_CYCLE_1)
	s_xor_b32 s60, exec_lo, -1
	s_or_b32 s0, s56, exec_lo
	flat_store_b8 v[1:2], v3
.LBB47_6996:
	s_or_b32 exec_lo, exec_lo, s59
	s_delay_alu instid0(SALU_CYCLE_1)
	s_and_not1_b32 vcc_lo, s57, exec_lo
	s_and_b32 s57, s60, exec_lo
	s_and_not1_b32 s56, s56, exec_lo
	s_and_b32 s0, s0, exec_lo
	s_or_b32 s57, vcc_lo, s57
	s_or_b32 s56, s56, s0
.LBB47_6997:
	s_or_b32 exec_lo, exec_lo, s58
	s_delay_alu instid0(SALU_CYCLE_1) | instskip(SKIP_1) | instid1(SALU_CYCLE_1)
	s_and_not1_b32 s0, s49, exec_lo
	s_and_b32 vcc_lo, s57, exec_lo
                                        ; implicit-def: $vgpr3
                                        ; implicit-def: $vgpr13
                                        ; implicit-def: $vgpr1_vgpr2
	s_or_b32 s57, s0, vcc_lo
	s_and_b32 s0, s56, exec_lo
.LBB47_6998:
	s_and_not1_saveexec_b32 s55, s55
	s_cbranch_execz .LBB47_7002
; %bb.6999:
	s_mov_b32 s59, -1
	s_mov_b32 s58, s0
	s_mov_b32 s56, exec_lo
	v_cmpx_eq_u16_e32 29, v3
	s_cbranch_execz .LBB47_7001
; %bb.7000:
	v_trunc_f32_e32 v3, v13
	s_xor_b32 s59, exec_lo, -1
	s_or_b32 s58, s0, exec_lo
	s_delay_alu instid0(VALU_DEP_1) | instskip(NEXT) | instid1(VALU_DEP_1)
	v_mul_f32_e32 v4, 0x2f800000, v3
	v_floor_f32_e32 v4, v4
	s_delay_alu instid0(VALU_DEP_1) | instskip(SKIP_1) | instid1(VALU_DEP_2)
	v_fmamk_f32 v3, v4, 0xcf800000, v3
	v_cvt_u32_f32_e32 v4, v4
	v_cvt_u32_f32_e32 v3, v3
	flat_store_b64 v[1:2], v[3:4]
.LBB47_7001:
	s_or_b32 exec_lo, exec_lo, s56
	s_delay_alu instid0(SALU_CYCLE_1)
	s_and_not1_b32 vcc_lo, s57, exec_lo
	s_and_b32 s56, s59, exec_lo
	s_and_not1_b32 s0, s0, exec_lo
	s_and_b32 s58, s58, exec_lo
	s_or_b32 s57, vcc_lo, s56
	s_or_b32 s0, s0, s58
.LBB47_7002:
	s_or_b32 exec_lo, exec_lo, s55
	s_delay_alu instid0(SALU_CYCLE_1)
	s_and_not1_b32 vcc_lo, s49, exec_lo
	s_and_b32 s55, s57, exec_lo
	s_and_b32 s0, s0, exec_lo
	s_or_b32 s55, vcc_lo, s55
                                        ; implicit-def: $vgpr1_vgpr2
                                        ; implicit-def: $vgpr3
                                        ; implicit-def: $vgpr13
.LBB47_7003:
	s_and_not1_saveexec_b32 s53, s53
	s_cbranch_execz .LBB47_7019
; %bb.7004:
	s_mov_b32 s56, exec_lo
	v_cmpx_lt_i16_e32 26, v3
	s_xor_b32 s56, exec_lo, s56
	s_cbranch_execz .LBB47_7010
; %bb.7005:
	v_cmp_lt_i16_e32 vcc_lo, 27, v3
	s_and_saveexec_b32 s57, vcc_lo
	s_delay_alu instid0(SALU_CYCLE_1)
	s_xor_b32 vcc_lo, exec_lo, s57
	s_cbranch_execz .LBB47_7007
; %bb.7006:
	v_cvt_u32_f32_e32 v3, v13
                                        ; implicit-def: $vgpr13
	flat_store_b32 v[1:2], v3
                                        ; implicit-def: $vgpr1_vgpr2
.LBB47_7007:
	s_and_not1_saveexec_b32 vcc_lo, vcc_lo
	s_cbranch_execz .LBB47_7009
; %bb.7008:
	v_cvt_u32_f32_e32 v3, v13
	flat_store_b16 v[1:2], v3
.LBB47_7009:
	s_or_b32 exec_lo, exec_lo, vcc_lo
                                        ; implicit-def: $vgpr1_vgpr2
                                        ; implicit-def: $vgpr13
.LBB47_7010:
	s_and_not1_saveexec_b32 s56, s56
	s_cbranch_execz .LBB47_7018
; %bb.7011:
	v_and_b32_e32 v3, 0x7fffffff, v13
	v_mov_b32_e32 v4, 0x80
	s_mov_b32 s57, exec_lo
	s_delay_alu instid0(VALU_DEP_2)
	v_cmpx_gt_u32_e32 0x43800000, v3
	s_cbranch_execz .LBB47_7017
; %bb.7012:
	v_cmp_lt_u32_e32 vcc_lo, 0x3bffffff, v3
	s_mov_b32 s58, 0
                                        ; implicit-def: $vgpr3
	s_and_saveexec_b32 s59, vcc_lo
	s_delay_alu instid0(SALU_CYCLE_1)
	s_xor_b32 vcc_lo, exec_lo, s59
	s_cbranch_execnz .LBB47_7738
; %bb.7013:
	s_or_saveexec_b32 s59, vcc_lo
                                        ; implicit-def: $vcc_lo
	s_delay_alu instid0(SALU_CYCLE_1)
	s_xor_b32 exec_lo, exec_lo, s59
	s_cbranch_execnz .LBB47_7739
.LBB47_7014:
	s_or_b32 exec_lo, exec_lo, s59
	v_mov_b32_e32 v4, vcc_lo
	s_and_saveexec_b32 vcc_lo, s58
.LBB47_7015:
	v_lshrrev_b32_e32 v4, 24, v13
	s_delay_alu instid0(VALU_DEP_1)
	v_and_or_b32 v4, 0x80, v4, v3
.LBB47_7016:
	s_or_b32 exec_lo, exec_lo, vcc_lo
.LBB47_7017:
	s_delay_alu instid0(SALU_CYCLE_1)
	s_or_b32 exec_lo, exec_lo, s57
	flat_store_b8 v[1:2], v4
.LBB47_7018:
	s_or_b32 exec_lo, exec_lo, s56
	s_delay_alu instid0(SALU_CYCLE_1)
	s_or_b32 s0, s0, exec_lo
.LBB47_7019:
	s_or_b32 exec_lo, exec_lo, s53
	s_delay_alu instid0(SALU_CYCLE_1)
	s_and_not1_b32 vcc_lo, s49, exec_lo
	s_and_b32 s53, s55, exec_lo
	s_and_b32 s0, s0, exec_lo
	s_or_b32 s53, vcc_lo, s53
                                        ; implicit-def: $vgpr3
                                        ; implicit-def: $vgpr13
                                        ; implicit-def: $vgpr1_vgpr2
.LBB47_7020:
	s_and_not1_saveexec_b32 s54, s54
	s_cbranch_execz .LBB47_7064
; %bb.7021:
	s_mov_b32 s56, s0
	s_mov_b32 s55, exec_lo
	v_cmpx_lt_i16_e32 22, v3
	s_xor_b32 s55, exec_lo, s55
	s_cbranch_execz .LBB47_7053
; %bb.7022:
	s_mov_b32 s56, exec_lo
	v_cmpx_lt_i16_e32 23, v3
	s_xor_b32 s56, exec_lo, s56
	s_cbranch_execz .LBB47_7042
; %bb.7023:
	;; [unrolled: 5-line block ×3, first 2 shown]
	v_and_b32_e32 v3, 0x7fffffff, v13
	v_mov_b32_e32 v4, 0x80
	s_mov_b32 s58, exec_lo
	s_delay_alu instid0(VALU_DEP_2)
	v_cmpx_gt_u32_e32 0x47800000, v3
	s_cbranch_execz .LBB47_7030
; %bb.7025:
	v_cmp_lt_u32_e32 vcc_lo, 0x37ffffff, v3
	s_mov_b32 s59, 0
                                        ; implicit-def: $vgpr3
	s_and_saveexec_b32 s60, vcc_lo
	s_delay_alu instid0(SALU_CYCLE_1)
	s_xor_b32 vcc_lo, exec_lo, s60
	s_cbranch_execnz .LBB47_7862
; %bb.7026:
	s_or_saveexec_b32 s60, vcc_lo
                                        ; implicit-def: $vcc_lo
	s_delay_alu instid0(SALU_CYCLE_1)
	s_xor_b32 exec_lo, exec_lo, s60
	s_cbranch_execnz .LBB47_7863
.LBB47_7027:
	s_or_b32 exec_lo, exec_lo, s60
	v_mov_b32_e32 v4, vcc_lo
	s_and_saveexec_b32 vcc_lo, s59
.LBB47_7028:
	v_lshrrev_b32_e32 v4, 24, v13
	s_delay_alu instid0(VALU_DEP_1)
	v_and_or_b32 v4, 0x80, v4, v3
.LBB47_7029:
	s_or_b32 exec_lo, exec_lo, vcc_lo
.LBB47_7030:
	s_delay_alu instid0(SALU_CYCLE_1)
	s_or_b32 exec_lo, exec_lo, s58
	flat_store_b8 v[1:2], v4
                                        ; implicit-def: $vgpr13
                                        ; implicit-def: $vgpr1_vgpr2
.LBB47_7031:
	s_and_not1_saveexec_b32 s57, s57
	s_cbranch_execz .LBB47_7041
; %bb.7032:
	v_and_b32_e32 v4, 0x7fffffff, v13
	s_mov_b32 s58, exec_lo
                                        ; implicit-def: $vgpr3
	s_delay_alu instid0(VALU_DEP_1)
	v_cmpx_gt_u32_e32 0x43f00000, v4
	s_xor_b32 s58, exec_lo, s58
	s_cbranch_execz .LBB47_7038
; %bb.7033:
	s_mov_b32 s59, exec_lo
                                        ; implicit-def: $vgpr3
	v_cmpx_lt_u32_e32 0x3c7fffff, v4
	s_xor_b32 s59, exec_lo, s59
; %bb.7034:
	v_bfe_u32 v3, v13, 20, 1
	s_delay_alu instid0(VALU_DEP_1) | instskip(NEXT) | instid1(VALU_DEP_1)
	v_add3_u32 v3, v13, v3, 0x407ffff
	v_and_b32_e32 v4, 0xff00000, v3
	v_lshrrev_b32_e32 v3, 20, v3
	s_delay_alu instid0(VALU_DEP_2) | instskip(NEXT) | instid1(VALU_DEP_2)
	v_cmp_ne_u32_e32 vcc_lo, 0x7f00000, v4
	v_cndmask_b32_e32 v3, 0x7e, v3, vcc_lo
; %bb.7035:
	s_and_not1_saveexec_b32 vcc_lo, s59
; %bb.7036:
	v_add_f32_e64 v3, 0x46800000, |v13|
; %bb.7037:
	s_or_b32 exec_lo, exec_lo, vcc_lo
                                        ; implicit-def: $vgpr4
.LBB47_7038:
	s_and_not1_saveexec_b32 s58, s58
; %bb.7039:
	v_mov_b32_e32 v3, 0x7f
	v_cmp_lt_u32_e32 vcc_lo, 0x7f800000, v4
	s_delay_alu instid0(VALU_DEP_2)
	v_cndmask_b32_e32 v3, 0x7e, v3, vcc_lo
; %bb.7040:
	s_or_b32 exec_lo, exec_lo, s58
	v_lshrrev_b32_e32 v4, 24, v13
	s_delay_alu instid0(VALU_DEP_1)
	v_and_or_b32 v3, 0x80, v4, v3
	flat_store_b8 v[1:2], v3
.LBB47_7041:
	s_or_b32 exec_lo, exec_lo, s57
                                        ; implicit-def: $vgpr13
                                        ; implicit-def: $vgpr1_vgpr2
.LBB47_7042:
	s_and_not1_saveexec_b32 s56, s56
	s_cbranch_execz .LBB47_7052
; %bb.7043:
	v_and_b32_e32 v4, 0x7fffffff, v13
	s_mov_b32 s57, exec_lo
                                        ; implicit-def: $vgpr3
	s_delay_alu instid0(VALU_DEP_1)
	v_cmpx_gt_u32_e32 0x47800000, v4
	s_xor_b32 s57, exec_lo, s57
	s_cbranch_execz .LBB47_7049
; %bb.7044:
	v_cmp_lt_u32_e32 vcc_lo, 0x387fffff, v4
                                        ; implicit-def: $vgpr3
	s_and_saveexec_b32 s58, vcc_lo
	s_delay_alu instid0(SALU_CYCLE_1)
	s_xor_b32 vcc_lo, exec_lo, s58
; %bb.7045:
	v_bfe_u32 v3, v13, 21, 1
	s_delay_alu instid0(VALU_DEP_1) | instskip(NEXT) | instid1(VALU_DEP_1)
	v_add3_u32 v3, v13, v3, 0x80fffff
	v_lshrrev_b32_e32 v3, 21, v3
; %bb.7046:
	s_and_not1_saveexec_b32 vcc_lo, vcc_lo
; %bb.7047:
	v_add_f32_e64 v3, 0x43000000, |v13|
; %bb.7048:
	s_or_b32 exec_lo, exec_lo, vcc_lo
                                        ; implicit-def: $vgpr4
.LBB47_7049:
	s_and_not1_saveexec_b32 s57, s57
; %bb.7050:
	v_mov_b32_e32 v3, 0x7f
	v_cmp_lt_u32_e32 vcc_lo, 0x7f800000, v4
	s_delay_alu instid0(VALU_DEP_2)
	v_cndmask_b32_e32 v3, 0x7c, v3, vcc_lo
; %bb.7051:
	s_or_b32 exec_lo, exec_lo, s57
	v_lshrrev_b32_e32 v4, 24, v13
	s_delay_alu instid0(VALU_DEP_1)
	v_and_or_b32 v3, 0x80, v4, v3
	flat_store_b8 v[1:2], v3
.LBB47_7052:
	s_or_b32 exec_lo, exec_lo, s56
	s_delay_alu instid0(SALU_CYCLE_1)
	s_or_b32 s56, s0, exec_lo
                                        ; implicit-def: $vgpr3
                                        ; implicit-def: $vgpr13
                                        ; implicit-def: $vgpr1_vgpr2
.LBB47_7053:
	s_or_saveexec_b32 s55, s55
	s_mov_b32 vcc_lo, s53
	s_xor_b32 exec_lo, exec_lo, s55
	s_cbranch_execz .LBB47_7063
; %bb.7054:
	s_mov_b32 s57, s56
	s_mov_b32 s58, s53
	s_mov_b32 s59, exec_lo
	v_cmpx_lt_i16_e32 14, v3
	s_xor_b32 s59, exec_lo, s59
	s_cbranch_execz .LBB47_7058
; %bb.7055:
	s_mov_b32 s60, -1
	s_mov_b32 s57, s56
	s_mov_b32 s58, exec_lo
	v_cmpx_eq_u16_e32 15, v3
	s_cbranch_execz .LBB47_7057
; %bb.7056:
	v_bfe_u32 v3, v13, 16, 1
	v_cmp_o_f32_e32 vcc_lo, v13, v13
	s_xor_b32 s60, exec_lo, -1
	s_or_b32 s57, s56, exec_lo
	s_delay_alu instid0(VALU_DEP_2) | instskip(NEXT) | instid1(VALU_DEP_1)
	v_add3_u32 v3, v13, v3, 0x7fff
	v_lshrrev_b32_e32 v3, 16, v3
	s_delay_alu instid0(VALU_DEP_1)
	v_cndmask_b32_e32 v3, 0x7fc0, v3, vcc_lo
	flat_store_b16 v[1:2], v3
.LBB47_7057:
	s_or_b32 exec_lo, exec_lo, s58
	s_delay_alu instid0(SALU_CYCLE_1)
	s_and_not1_b32 vcc_lo, s53, exec_lo
	s_and_b32 s58, s60, exec_lo
	s_and_not1_b32 s60, s56, exec_lo
	s_and_b32 s57, s57, exec_lo
	s_or_b32 s58, vcc_lo, s58
	s_or_b32 s57, s60, s57
                                        ; implicit-def: $vgpr3
                                        ; implicit-def: $vgpr13
                                        ; implicit-def: $vgpr1_vgpr2
.LBB47_7058:
	s_and_not1_saveexec_b32 s59, s59
	s_cbranch_execz .LBB47_7062
; %bb.7059:
	s_mov_b32 s61, -1
	s_mov_b32 s60, s57
	s_mov_b32 s62, exec_lo
	v_cmpx_eq_u16_e32 11, v3
	s_cbranch_execz .LBB47_7061
; %bb.7060:
	v_cmp_neq_f32_e32 vcc_lo, 0, v13
	s_xor_b32 s61, exec_lo, -1
	s_or_b32 s60, s57, exec_lo
	v_cndmask_b32_e64 v3, 0, 1, vcc_lo
	flat_store_b8 v[1:2], v3
.LBB47_7061:
	s_or_b32 exec_lo, exec_lo, s62
	s_delay_alu instid0(SALU_CYCLE_1)
	s_and_not1_b32 vcc_lo, s58, exec_lo
	s_and_b32 s58, s61, exec_lo
	s_and_not1_b32 s57, s57, exec_lo
	s_and_b32 s60, s60, exec_lo
	s_or_b32 s58, vcc_lo, s58
	s_or_b32 s57, s57, s60
.LBB47_7062:
	s_or_b32 exec_lo, exec_lo, s59
	s_delay_alu instid0(SALU_CYCLE_1)
	s_and_not1_b32 vcc_lo, s53, exec_lo
	s_and_b32 s58, s58, exec_lo
	s_and_not1_b32 s56, s56, exec_lo
	s_and_b32 s57, s57, exec_lo
	s_or_b32 vcc_lo, vcc_lo, s58
	s_or_b32 s56, s56, s57
.LBB47_7063:
	s_or_b32 exec_lo, exec_lo, s55
	s_delay_alu instid0(SALU_CYCLE_1)
	s_and_not1_b32 s53, s53, exec_lo
	s_and_b32 vcc_lo, vcc_lo, exec_lo
	s_and_not1_b32 s0, s0, exec_lo
	s_and_b32 s55, s56, exec_lo
	s_or_b32 s53, s53, vcc_lo
	s_or_b32 s0, s0, s55
.LBB47_7064:
	s_or_b32 exec_lo, exec_lo, s54
	s_delay_alu instid0(SALU_CYCLE_1)
	s_and_not1_b32 vcc_lo, s49, exec_lo
	s_and_b32 s53, s53, exec_lo
	s_and_b32 s0, s0, exec_lo
	s_or_b32 s53, vcc_lo, s53
                                        ; implicit-def: $vgpr3
                                        ; implicit-def: $vgpr13
                                        ; implicit-def: $vgpr1_vgpr2
	s_and_not1_saveexec_b32 s51, s51
	s_cbranch_execz .LBB47_4000
.LBB47_7065:
	s_mov_b32 s54, exec_lo
	v_cmpx_lt_i16_e32 4, v3
	s_xor_b32 s54, exec_lo, s54
	s_cbranch_execz .LBB47_7087
; %bb.7066:
	s_mov_b32 s55, exec_lo
	v_cmpx_lt_i16_e32 7, v3
	s_xor_b32 s55, exec_lo, s55
	s_cbranch_execz .LBB47_7076
; %bb.7067:
	;; [unrolled: 5-line block ×3, first 2 shown]
	v_cmp_lt_i16_e32 vcc_lo, 9, v3
	s_and_saveexec_b32 s57, vcc_lo
	s_delay_alu instid0(SALU_CYCLE_1)
	s_xor_b32 vcc_lo, exec_lo, s57
	s_cbranch_execz .LBB47_7070
; %bb.7069:
	v_cvt_f64_f32_e32 v[13:14], v13
	s_waitcnt vmcnt(0) lgkmcnt(0)
	v_mov_b32_e32 v15, 0
	s_delay_alu instid0(VALU_DEP_1)
	v_mov_b32_e32 v16, v15
	flat_store_b128 v[1:2], v[13:16]
                                        ; implicit-def: $vgpr13
                                        ; implicit-def: $vgpr1_vgpr2
.LBB47_7070:
	s_and_not1_saveexec_b32 vcc_lo, vcc_lo
	s_cbranch_execz .LBB47_7072
; %bb.7071:
	v_mov_b32_e32 v14, 0
	flat_store_b64 v[1:2], v[13:14]
.LBB47_7072:
	s_or_b32 exec_lo, exec_lo, vcc_lo
                                        ; implicit-def: $vgpr13
                                        ; implicit-def: $vgpr1_vgpr2
.LBB47_7073:
	s_and_not1_saveexec_b32 vcc_lo, s56
	s_cbranch_execz .LBB47_7075
; %bb.7074:
	v_cvt_f16_f32_e32 v3, v13
	s_delay_alu instid0(VALU_DEP_1)
	v_and_b32_e32 v3, 0xffff, v3
	flat_store_b32 v[1:2], v3
.LBB47_7075:
	s_or_b32 exec_lo, exec_lo, vcc_lo
                                        ; implicit-def: $vgpr13
                                        ; implicit-def: $vgpr1_vgpr2
                                        ; implicit-def: $vgpr3
.LBB47_7076:
	s_and_not1_saveexec_b32 s55, s55
	s_cbranch_execz .LBB47_7086
; %bb.7077:
	s_mov_b32 s56, exec_lo
	v_cmpx_lt_i16_e32 5, v3
	s_xor_b32 s56, exec_lo, s56
	s_cbranch_execz .LBB47_7083
; %bb.7078:
	v_cmp_lt_i16_e32 vcc_lo, 6, v3
	s_and_saveexec_b32 s57, vcc_lo
	s_delay_alu instid0(SALU_CYCLE_1)
	s_xor_b32 vcc_lo, exec_lo, s57
	s_cbranch_execz .LBB47_7080
; %bb.7079:
	v_cvt_f64_f32_e32 v[3:4], v13
                                        ; implicit-def: $vgpr13
	flat_store_b64 v[1:2], v[3:4]
                                        ; implicit-def: $vgpr1_vgpr2
.LBB47_7080:
	s_and_not1_saveexec_b32 vcc_lo, vcc_lo
	s_cbranch_execz .LBB47_7082
; %bb.7081:
	flat_store_b32 v[1:2], v13
.LBB47_7082:
	s_or_b32 exec_lo, exec_lo, vcc_lo
                                        ; implicit-def: $vgpr13
                                        ; implicit-def: $vgpr1_vgpr2
.LBB47_7083:
	s_and_not1_saveexec_b32 vcc_lo, s56
	s_cbranch_execz .LBB47_7085
; %bb.7084:
	v_cvt_f16_f32_e32 v3, v13
	flat_store_b16 v[1:2], v3
.LBB47_7085:
	s_or_b32 exec_lo, exec_lo, vcc_lo
.LBB47_7086:
	s_delay_alu instid0(SALU_CYCLE_1)
	s_or_b32 exec_lo, exec_lo, s55
                                        ; implicit-def: $vgpr3
                                        ; implicit-def: $vgpr13
                                        ; implicit-def: $vgpr1_vgpr2
.LBB47_7087:
	s_and_not1_saveexec_b32 s54, s54
	s_cbranch_execz .LBB47_7105
; %bb.7088:
	s_mov_b32 s55, exec_lo
	v_cmpx_lt_i16_e32 1, v3
	s_xor_b32 s55, exec_lo, s55
	s_cbranch_execz .LBB47_7098
; %bb.7089:
	s_mov_b32 s56, exec_lo
	v_cmpx_lt_i16_e32 2, v3
	s_xor_b32 s56, exec_lo, s56
	;; [unrolled: 5-line block ×3, first 2 shown]
	s_cbranch_execz .LBB47_7092
; %bb.7091:
	v_trunc_f32_e32 v3, v13
                                        ; implicit-def: $vgpr13
	s_delay_alu instid0(VALU_DEP_1) | instskip(SKIP_1) | instid1(VALU_DEP_2)
	v_mul_f32_e64 v4, 0x2f800000, |v3|
	v_ashrrev_i32_e32 v10, 31, v3
	v_floor_f32_e32 v4, v4
	s_delay_alu instid0(VALU_DEP_1) | instskip(SKIP_1) | instid1(VALU_DEP_2)
	v_fma_f32 v5, 0xcf800000, v4, |v3|
	v_cvt_u32_f32_e32 v4, v4
	v_cvt_u32_f32_e32 v3, v5
	s_delay_alu instid0(VALU_DEP_2) | instskip(NEXT) | instid1(VALU_DEP_2)
	v_xor_b32_e32 v4, v4, v10
	v_xor_b32_e32 v3, v3, v10
	s_delay_alu instid0(VALU_DEP_1) | instskip(NEXT) | instid1(VALU_DEP_3)
	v_sub_co_u32 v3, vcc_lo, v3, v10
	v_sub_co_ci_u32_e32 v4, vcc_lo, v4, v10, vcc_lo
	flat_store_b64 v[1:2], v[3:4]
                                        ; implicit-def: $vgpr1_vgpr2
.LBB47_7092:
	s_and_not1_saveexec_b32 vcc_lo, s57
	s_cbranch_execz .LBB47_7094
; %bb.7093:
	v_cvt_i32_f32_e32 v3, v13
	flat_store_b32 v[1:2], v3
.LBB47_7094:
	s_or_b32 exec_lo, exec_lo, vcc_lo
                                        ; implicit-def: $vgpr13
                                        ; implicit-def: $vgpr1_vgpr2
.LBB47_7095:
	s_and_not1_saveexec_b32 vcc_lo, s56
	s_cbranch_execz .LBB47_7097
; %bb.7096:
	v_cvt_i32_f32_e32 v3, v13
	flat_store_b16 v[1:2], v3
.LBB47_7097:
	s_or_b32 exec_lo, exec_lo, vcc_lo
                                        ; implicit-def: $vgpr13
                                        ; implicit-def: $vgpr1_vgpr2
                                        ; implicit-def: $vgpr3
.LBB47_7098:
	s_and_not1_saveexec_b32 s55, s55
	s_cbranch_execz .LBB47_7104
; %bb.7099:
	v_cmp_lt_i16_e32 vcc_lo, 0, v3
	s_and_saveexec_b32 s56, vcc_lo
	s_delay_alu instid0(SALU_CYCLE_1)
	s_xor_b32 vcc_lo, exec_lo, s56
	s_cbranch_execz .LBB47_7101
; %bb.7100:
	v_cvt_i32_f32_e32 v3, v13
                                        ; implicit-def: $vgpr13
	flat_store_b8 v[1:2], v3
                                        ; implicit-def: $vgpr1_vgpr2
.LBB47_7101:
	s_and_not1_saveexec_b32 vcc_lo, vcc_lo
	s_cbranch_execz .LBB47_7103
; %bb.7102:
	v_trunc_f32_e32 v3, v13
	s_delay_alu instid0(VALU_DEP_1) | instskip(NEXT) | instid1(VALU_DEP_1)
	v_mul_f32_e64 v4, 0x2f800000, |v3|
	v_floor_f32_e32 v4, v4
	s_delay_alu instid0(VALU_DEP_1) | instskip(SKIP_1) | instid1(VALU_DEP_2)
	v_fma_f32 v4, 0xcf800000, v4, |v3|
	v_ashrrev_i32_e32 v3, 31, v3
	v_cvt_u32_f32_e32 v4, v4
	s_delay_alu instid0(VALU_DEP_1) | instskip(NEXT) | instid1(VALU_DEP_1)
	v_xor_b32_e32 v4, v4, v3
	v_sub_nc_u32_e32 v3, v4, v3
	flat_store_b8 v[1:2], v3
.LBB47_7103:
	s_or_b32 exec_lo, exec_lo, vcc_lo
.LBB47_7104:
	s_delay_alu instid0(SALU_CYCLE_1)
	s_or_b32 exec_lo, exec_lo, s55
.LBB47_7105:
	s_delay_alu instid0(SALU_CYCLE_1) | instskip(NEXT) | instid1(SALU_CYCLE_1)
	s_or_b32 exec_lo, exec_lo, s54
	s_or_b32 s0, s0, exec_lo
	s_or_b32 exec_lo, exec_lo, s51
	s_mov_b32 vcc_lo, 0
	s_and_saveexec_b32 s51, s0
	s_cbranch_execnz .LBB47_4001
	s_branch .LBB47_4002
.LBB47_7106:
	v_bfe_u32 v3, v19, 21, 1
	s_mov_b32 s47, exec_lo
	s_delay_alu instid0(VALU_DEP_1) | instskip(NEXT) | instid1(VALU_DEP_1)
	v_add3_u32 v3, v19, v3, 0x88fffff
	v_lshrrev_b32_e32 v3, 21, v3
	s_or_saveexec_b32 s48, vcc_lo
                                        ; implicit-def: $vcc_lo
	s_delay_alu instid0(SALU_CYCLE_1)
	s_xor_b32 exec_lo, exec_lo, s48
	s_cbranch_execz .LBB47_6271
.LBB47_7107:
	v_add_f32_e64 v3, 0x42800000, |v19|
	s_and_not1_b32 s47, s47, exec_lo
	s_delay_alu instid0(VALU_DEP_1) | instskip(NEXT) | instid1(VALU_DEP_1)
	v_and_b32_e32 v3, 0xff, v3
	v_cmp_ne_u32_e32 vcc_lo, 0, v3
	s_and_b32 s49, vcc_lo, exec_lo
	s_mov_b32 vcc_lo, 0
	s_or_b32 s47, s47, s49
	s_or_b32 exec_lo, exec_lo, s48
	v_mov_b32_e32 v4, vcc_lo
	s_and_saveexec_b32 vcc_lo, s47
	s_cbranch_execnz .LBB47_6272
	s_branch .LBB47_6273
.LBB47_7108:
	v_bfe_u32 v3, v18, 20, 1
	s_mov_b32 s48, exec_lo
	s_delay_alu instid0(VALU_DEP_1) | instskip(NEXT) | instid1(VALU_DEP_1)
	v_add3_u32 v3, v18, v3, 0x487ffff
	v_lshrrev_b32_e32 v3, 20, v3
	s_or_saveexec_b32 s49, vcc_lo
                                        ; implicit-def: $vcc_lo
	s_delay_alu instid0(SALU_CYCLE_1)
	s_xor_b32 exec_lo, exec_lo, s49
	s_cbranch_execz .LBB47_6384
.LBB47_7109:
	v_add_f32_e64 v3, 0x46000000, |v18|
	s_and_not1_b32 s48, s48, exec_lo
	s_delay_alu instid0(VALU_DEP_1) | instskip(NEXT) | instid1(VALU_DEP_1)
	v_and_b32_e32 v3, 0xff, v3
	v_cmp_ne_u32_e32 vcc_lo, 0, v3
	s_and_b32 s50, vcc_lo, exec_lo
	s_mov_b32 vcc_lo, 0
	s_or_b32 s48, s48, s50
	s_or_b32 exec_lo, exec_lo, s49
	v_mov_b32_e32 v4, vcc_lo
	s_and_saveexec_b32 vcc_lo, s48
	s_cbranch_execnz .LBB47_6385
	s_branch .LBB47_6386
.LBB47_7110:
	s_mov_b32 s55, s51
	s_mov_b32 s56, exec_lo
	v_cmpx_lt_i16_e32 25, v3
	s_xor_b32 s56, exec_lo, s56
	s_cbranch_execz .LBB47_7146
; %bb.7111:
	s_mov_b32 s57, s51
	s_mov_b32 s55, exec_lo
	v_cmpx_lt_i16_e32 28, v3
	s_xor_b32 s55, exec_lo, s55
	s_cbranch_execz .LBB47_7129
; %bb.7112:
	s_mov_b32 s59, s51
	s_mov_b32 s57, exec_lo
	v_cmpx_lt_i16_e32 43, v3
	s_xor_b32 s57, exec_lo, s57
	s_cbranch_execz .LBB47_7124
; %bb.7113:
	s_mov_b32 s58, 0
	s_mov_b32 s59, s51
	s_mov_b32 s0, exec_lo
	v_cmpx_lt_i16_e32 45, v3
	s_xor_b32 s0, exec_lo, s0
	s_cbranch_execz .LBB47_7117
; %bb.7114:
	s_mov_b32 s60, -1
	s_mov_b32 s59, exec_lo
	v_cmpx_eq_u16_e32 46, v3
	s_cbranch_execz .LBB47_7116
; %bb.7115:
	v_bfe_u32 v3, v49, 16, 1
	v_cmp_o_f32_e32 vcc_lo, v49, v49
	s_mov_b32 s58, exec_lo
	s_xor_b32 s60, exec_lo, -1
	s_delay_alu instid0(VALU_DEP_2) | instskip(NEXT) | instid1(VALU_DEP_1)
	v_add3_u32 v3, v49, v3, 0x7fff
	v_lshrrev_b32_e32 v3, 16, v3
	s_delay_alu instid0(VALU_DEP_1)
	v_cndmask_b32_e32 v3, 0x7fc0, v3, vcc_lo
	flat_store_b32 v[1:2], v3
.LBB47_7116:
	s_or_b32 exec_lo, exec_lo, s59
	s_delay_alu instid0(SALU_CYCLE_1)
	s_and_not1_b32 vcc_lo, s51, exec_lo
	s_and_b32 s59, s60, exec_lo
	s_and_b32 s58, s58, exec_lo
	s_or_b32 s59, vcc_lo, s59
                                        ; implicit-def: $vgpr3
                                        ; implicit-def: $vgpr1_vgpr2
                                        ; implicit-def: $vgpr49
.LBB47_7117:
	s_and_not1_saveexec_b32 s60, s0
	s_cbranch_execz .LBB47_7123
; %bb.7118:
	s_mov_b32 s62, -1
	s_mov_b32 s0, s58
	s_mov_b32 s61, exec_lo
	v_cmpx_eq_u16_e32 44, v3
	s_cbranch_execz .LBB47_7122
; %bb.7119:
	v_bfe_u32 v4, v49, 23, 8
	v_mov_b32_e32 v3, 0xff
	s_mov_b32 s62, exec_lo
	s_delay_alu instid0(VALU_DEP_2)
	v_cmpx_ne_u32_e32 0xff, v4
; %bb.7120:
	v_and_b32_e32 v3, 0x400000, v49
	v_and_or_b32 v4, 0x3fffff, v49, v4
	s_delay_alu instid0(VALU_DEP_2) | instskip(NEXT) | instid1(VALU_DEP_2)
	v_cmp_ne_u32_e32 vcc_lo, 0, v3
	v_cmp_ne_u32_e64 s0, 0, v4
	v_lshrrev_b32_e32 v3, 23, v49
	s_delay_alu instid0(VALU_DEP_2) | instskip(NEXT) | instid1(SALU_CYCLE_1)
	s_and_b32 s0, vcc_lo, s0
	v_cndmask_b32_e64 v4, 0, 1, s0
	s_delay_alu instid0(VALU_DEP_1)
	v_add_nc_u32_e32 v3, v3, v4
; %bb.7121:
	s_or_b32 exec_lo, exec_lo, s62
	s_delay_alu instid0(SALU_CYCLE_1)
	s_xor_b32 s62, exec_lo, -1
	s_or_b32 s0, s58, exec_lo
	flat_store_b8 v[1:2], v3
.LBB47_7122:
	s_or_b32 exec_lo, exec_lo, s61
	s_delay_alu instid0(SALU_CYCLE_1)
	s_and_not1_b32 vcc_lo, s59, exec_lo
	s_and_b32 s59, s62, exec_lo
	s_and_not1_b32 s58, s58, exec_lo
	s_and_b32 s0, s0, exec_lo
	s_or_b32 s59, vcc_lo, s59
	s_or_b32 s58, s58, s0
.LBB47_7123:
	s_or_b32 exec_lo, exec_lo, s60
	s_delay_alu instid0(SALU_CYCLE_1) | instskip(SKIP_1) | instid1(SALU_CYCLE_1)
	s_and_not1_b32 s0, s51, exec_lo
	s_and_b32 vcc_lo, s59, exec_lo
                                        ; implicit-def: $vgpr3
                                        ; implicit-def: $vgpr49
                                        ; implicit-def: $vgpr1_vgpr2
	s_or_b32 s59, s0, vcc_lo
	s_and_b32 s0, s58, exec_lo
.LBB47_7124:
	s_and_not1_saveexec_b32 s57, s57
	s_cbranch_execz .LBB47_7128
; %bb.7125:
	s_mov_b32 s61, -1
	s_mov_b32 s60, s0
	s_mov_b32 s58, exec_lo
	v_cmpx_eq_u16_e32 29, v3
	s_cbranch_execz .LBB47_7127
; %bb.7126:
	v_trunc_f32_e32 v3, v49
	s_xor_b32 s61, exec_lo, -1
	s_or_b32 s60, s0, exec_lo
	s_delay_alu instid0(VALU_DEP_1) | instskip(NEXT) | instid1(VALU_DEP_1)
	v_mul_f32_e32 v4, 0x2f800000, v3
	v_floor_f32_e32 v4, v4
	s_delay_alu instid0(VALU_DEP_1) | instskip(SKIP_1) | instid1(VALU_DEP_2)
	v_fmamk_f32 v3, v4, 0xcf800000, v3
	v_cvt_u32_f32_e32 v4, v4
	v_cvt_u32_f32_e32 v3, v3
	flat_store_b64 v[1:2], v[3:4]
.LBB47_7127:
	s_or_b32 exec_lo, exec_lo, s58
	s_delay_alu instid0(SALU_CYCLE_1)
	s_and_not1_b32 vcc_lo, s59, exec_lo
	s_and_b32 s58, s61, exec_lo
	s_and_not1_b32 s0, s0, exec_lo
	s_and_b32 s60, s60, exec_lo
	s_or_b32 s59, vcc_lo, s58
	s_or_b32 s0, s0, s60
.LBB47_7128:
	s_or_b32 exec_lo, exec_lo, s57
	s_delay_alu instid0(SALU_CYCLE_1)
	s_and_not1_b32 vcc_lo, s51, exec_lo
	s_and_b32 s57, s59, exec_lo
	s_and_b32 s0, s0, exec_lo
	s_or_b32 s57, vcc_lo, s57
                                        ; implicit-def: $vgpr1_vgpr2
                                        ; implicit-def: $vgpr3
                                        ; implicit-def: $vgpr49
.LBB47_7129:
	s_and_not1_saveexec_b32 s55, s55
	s_cbranch_execz .LBB47_7145
; %bb.7130:
	s_mov_b32 s58, exec_lo
	v_cmpx_lt_i16_e32 26, v3
	s_xor_b32 s58, exec_lo, s58
	s_cbranch_execz .LBB47_7136
; %bb.7131:
	v_cmp_lt_i16_e32 vcc_lo, 27, v3
	s_and_saveexec_b32 s59, vcc_lo
	s_delay_alu instid0(SALU_CYCLE_1)
	s_xor_b32 vcc_lo, exec_lo, s59
	s_cbranch_execz .LBB47_7133
; %bb.7132:
	v_cvt_u32_f32_e32 v3, v49
                                        ; implicit-def: $vgpr49
	flat_store_b32 v[1:2], v3
                                        ; implicit-def: $vgpr1_vgpr2
.LBB47_7133:
	s_and_not1_saveexec_b32 vcc_lo, vcc_lo
	s_cbranch_execz .LBB47_7135
; %bb.7134:
	v_cvt_u32_f32_e32 v3, v49
	flat_store_b16 v[1:2], v3
.LBB47_7135:
	s_or_b32 exec_lo, exec_lo, vcc_lo
                                        ; implicit-def: $vgpr1_vgpr2
                                        ; implicit-def: $vgpr49
.LBB47_7136:
	s_and_not1_saveexec_b32 s58, s58
	s_cbranch_execz .LBB47_7144
; %bb.7137:
	v_and_b32_e32 v3, 0x7fffffff, v49
	v_mov_b32_e32 v4, 0x80
	s_mov_b32 s59, exec_lo
	s_delay_alu instid0(VALU_DEP_2)
	v_cmpx_gt_u32_e32 0x43800000, v3
	s_cbranch_execz .LBB47_7143
; %bb.7138:
	v_cmp_lt_u32_e32 vcc_lo, 0x3bffffff, v3
	s_mov_b32 s60, 0
                                        ; implicit-def: $vgpr3
	s_and_saveexec_b32 s61, vcc_lo
	s_delay_alu instid0(SALU_CYCLE_1)
	s_xor_b32 vcc_lo, exec_lo, s61
	s_cbranch_execnz .LBB47_7864
; %bb.7139:
	s_or_saveexec_b32 s61, vcc_lo
                                        ; implicit-def: $vcc_lo
	s_delay_alu instid0(SALU_CYCLE_1)
	s_xor_b32 exec_lo, exec_lo, s61
	s_cbranch_execnz .LBB47_7865
.LBB47_7140:
	s_or_b32 exec_lo, exec_lo, s61
	v_mov_b32_e32 v4, vcc_lo
	s_and_saveexec_b32 vcc_lo, s60
.LBB47_7141:
	v_lshrrev_b32_e32 v4, 24, v49
	s_delay_alu instid0(VALU_DEP_1)
	v_and_or_b32 v4, 0x80, v4, v3
.LBB47_7142:
	s_or_b32 exec_lo, exec_lo, vcc_lo
.LBB47_7143:
	s_delay_alu instid0(SALU_CYCLE_1)
	s_or_b32 exec_lo, exec_lo, s59
	flat_store_b8 v[1:2], v4
.LBB47_7144:
	s_or_b32 exec_lo, exec_lo, s58
	s_delay_alu instid0(SALU_CYCLE_1)
	s_or_b32 s0, s0, exec_lo
.LBB47_7145:
	s_or_b32 exec_lo, exec_lo, s55
	s_delay_alu instid0(SALU_CYCLE_1)
	s_and_not1_b32 vcc_lo, s51, exec_lo
	s_and_b32 s55, s57, exec_lo
	s_and_b32 s0, s0, exec_lo
	s_or_b32 s55, vcc_lo, s55
                                        ; implicit-def: $vgpr3
                                        ; implicit-def: $vgpr49
                                        ; implicit-def: $vgpr1_vgpr2
.LBB47_7146:
	s_and_not1_saveexec_b32 s56, s56
	s_cbranch_execz .LBB47_7190
; %bb.7147:
	s_mov_b32 s58, s0
	s_mov_b32 s57, exec_lo
	v_cmpx_lt_i16_e32 22, v3
	s_xor_b32 s57, exec_lo, s57
	s_cbranch_execz .LBB47_7179
; %bb.7148:
	s_mov_b32 s58, exec_lo
	v_cmpx_lt_i16_e32 23, v3
	s_xor_b32 s58, exec_lo, s58
	s_cbranch_execz .LBB47_7168
; %bb.7149:
	;; [unrolled: 5-line block ×3, first 2 shown]
	v_and_b32_e32 v3, 0x7fffffff, v49
	v_mov_b32_e32 v4, 0x80
	s_mov_b32 s60, exec_lo
	s_delay_alu instid0(VALU_DEP_2)
	v_cmpx_gt_u32_e32 0x47800000, v3
	s_cbranch_execz .LBB47_7156
; %bb.7151:
	v_cmp_lt_u32_e32 vcc_lo, 0x37ffffff, v3
	s_mov_b32 s61, 0
                                        ; implicit-def: $vgpr3
	s_and_saveexec_b32 s62, vcc_lo
	s_delay_alu instid0(SALU_CYCLE_1)
	s_xor_b32 vcc_lo, exec_lo, s62
	s_cbranch_execnz .LBB47_7988
; %bb.7152:
	s_or_saveexec_b32 s62, vcc_lo
                                        ; implicit-def: $vcc_lo
	s_delay_alu instid0(SALU_CYCLE_1)
	s_xor_b32 exec_lo, exec_lo, s62
	s_cbranch_execnz .LBB47_7989
.LBB47_7153:
	s_or_b32 exec_lo, exec_lo, s62
	v_mov_b32_e32 v4, vcc_lo
	s_and_saveexec_b32 vcc_lo, s61
.LBB47_7154:
	v_lshrrev_b32_e32 v4, 24, v49
	s_delay_alu instid0(VALU_DEP_1)
	v_and_or_b32 v4, 0x80, v4, v3
.LBB47_7155:
	s_or_b32 exec_lo, exec_lo, vcc_lo
.LBB47_7156:
	s_delay_alu instid0(SALU_CYCLE_1)
	s_or_b32 exec_lo, exec_lo, s60
	flat_store_b8 v[1:2], v4
                                        ; implicit-def: $vgpr49
                                        ; implicit-def: $vgpr1_vgpr2
.LBB47_7157:
	s_and_not1_saveexec_b32 s59, s59
	s_cbranch_execz .LBB47_7167
; %bb.7158:
	v_and_b32_e32 v4, 0x7fffffff, v49
	s_mov_b32 s60, exec_lo
                                        ; implicit-def: $vgpr3
	s_delay_alu instid0(VALU_DEP_1)
	v_cmpx_gt_u32_e32 0x43f00000, v4
	s_xor_b32 s60, exec_lo, s60
	s_cbranch_execz .LBB47_7164
; %bb.7159:
	s_mov_b32 s61, exec_lo
                                        ; implicit-def: $vgpr3
	v_cmpx_lt_u32_e32 0x3c7fffff, v4
	s_xor_b32 s61, exec_lo, s61
; %bb.7160:
	v_bfe_u32 v3, v49, 20, 1
	s_delay_alu instid0(VALU_DEP_1) | instskip(NEXT) | instid1(VALU_DEP_1)
	v_add3_u32 v3, v49, v3, 0x407ffff
	v_and_b32_e32 v4, 0xff00000, v3
	v_lshrrev_b32_e32 v3, 20, v3
	s_delay_alu instid0(VALU_DEP_2) | instskip(NEXT) | instid1(VALU_DEP_2)
	v_cmp_ne_u32_e32 vcc_lo, 0x7f00000, v4
	v_cndmask_b32_e32 v3, 0x7e, v3, vcc_lo
; %bb.7161:
	s_and_not1_saveexec_b32 vcc_lo, s61
; %bb.7162:
	v_add_f32_e64 v3, 0x46800000, |v49|
; %bb.7163:
	s_or_b32 exec_lo, exec_lo, vcc_lo
                                        ; implicit-def: $vgpr4
.LBB47_7164:
	s_and_not1_saveexec_b32 s60, s60
; %bb.7165:
	v_mov_b32_e32 v3, 0x7f
	v_cmp_lt_u32_e32 vcc_lo, 0x7f800000, v4
	s_delay_alu instid0(VALU_DEP_2)
	v_cndmask_b32_e32 v3, 0x7e, v3, vcc_lo
; %bb.7166:
	s_or_b32 exec_lo, exec_lo, s60
	v_lshrrev_b32_e32 v4, 24, v49
	s_delay_alu instid0(VALU_DEP_1)
	v_and_or_b32 v3, 0x80, v4, v3
	flat_store_b8 v[1:2], v3
.LBB47_7167:
	s_or_b32 exec_lo, exec_lo, s59
                                        ; implicit-def: $vgpr49
                                        ; implicit-def: $vgpr1_vgpr2
.LBB47_7168:
	s_and_not1_saveexec_b32 s58, s58
	s_cbranch_execz .LBB47_7178
; %bb.7169:
	v_and_b32_e32 v4, 0x7fffffff, v49
	s_mov_b32 s59, exec_lo
                                        ; implicit-def: $vgpr3
	s_delay_alu instid0(VALU_DEP_1)
	v_cmpx_gt_u32_e32 0x47800000, v4
	s_xor_b32 s59, exec_lo, s59
	s_cbranch_execz .LBB47_7175
; %bb.7170:
	v_cmp_lt_u32_e32 vcc_lo, 0x387fffff, v4
                                        ; implicit-def: $vgpr3
	s_and_saveexec_b32 s60, vcc_lo
	s_delay_alu instid0(SALU_CYCLE_1)
	s_xor_b32 vcc_lo, exec_lo, s60
; %bb.7171:
	v_bfe_u32 v3, v49, 21, 1
	s_delay_alu instid0(VALU_DEP_1) | instskip(NEXT) | instid1(VALU_DEP_1)
	v_add3_u32 v3, v49, v3, 0x80fffff
	v_lshrrev_b32_e32 v3, 21, v3
; %bb.7172:
	s_and_not1_saveexec_b32 vcc_lo, vcc_lo
; %bb.7173:
	v_add_f32_e64 v3, 0x43000000, |v49|
; %bb.7174:
	s_or_b32 exec_lo, exec_lo, vcc_lo
                                        ; implicit-def: $vgpr4
.LBB47_7175:
	s_and_not1_saveexec_b32 s59, s59
; %bb.7176:
	v_mov_b32_e32 v3, 0x7f
	v_cmp_lt_u32_e32 vcc_lo, 0x7f800000, v4
	s_delay_alu instid0(VALU_DEP_2)
	v_cndmask_b32_e32 v3, 0x7c, v3, vcc_lo
; %bb.7177:
	s_or_b32 exec_lo, exec_lo, s59
	v_lshrrev_b32_e32 v4, 24, v49
	s_delay_alu instid0(VALU_DEP_1)
	v_and_or_b32 v3, 0x80, v4, v3
	flat_store_b8 v[1:2], v3
.LBB47_7178:
	s_or_b32 exec_lo, exec_lo, s58
	s_delay_alu instid0(SALU_CYCLE_1)
	s_or_b32 s58, s0, exec_lo
                                        ; implicit-def: $vgpr3
                                        ; implicit-def: $vgpr49
                                        ; implicit-def: $vgpr1_vgpr2
.LBB47_7179:
	s_or_saveexec_b32 s57, s57
	s_mov_b32 vcc_lo, s55
	s_xor_b32 exec_lo, exec_lo, s57
	s_cbranch_execz .LBB47_7189
; %bb.7180:
	s_mov_b32 s59, s58
	s_mov_b32 s60, s55
	s_mov_b32 s61, exec_lo
	v_cmpx_lt_i16_e32 14, v3
	s_xor_b32 s61, exec_lo, s61
	s_cbranch_execz .LBB47_7184
; %bb.7181:
	s_mov_b32 s62, -1
	s_mov_b32 s59, s58
	s_mov_b32 s60, exec_lo
	v_cmpx_eq_u16_e32 15, v3
	s_cbranch_execz .LBB47_7183
; %bb.7182:
	v_bfe_u32 v3, v49, 16, 1
	v_cmp_o_f32_e32 vcc_lo, v49, v49
	s_xor_b32 s62, exec_lo, -1
	s_or_b32 s59, s58, exec_lo
	s_delay_alu instid0(VALU_DEP_2) | instskip(NEXT) | instid1(VALU_DEP_1)
	v_add3_u32 v3, v49, v3, 0x7fff
	v_lshrrev_b32_e32 v3, 16, v3
	s_delay_alu instid0(VALU_DEP_1)
	v_cndmask_b32_e32 v3, 0x7fc0, v3, vcc_lo
	flat_store_b16 v[1:2], v3
.LBB47_7183:
	s_or_b32 exec_lo, exec_lo, s60
	s_delay_alu instid0(SALU_CYCLE_1)
	s_and_not1_b32 vcc_lo, s55, exec_lo
	s_and_b32 s60, s62, exec_lo
	s_and_not1_b32 s62, s58, exec_lo
	s_and_b32 s59, s59, exec_lo
	s_or_b32 s60, vcc_lo, s60
	s_or_b32 s59, s62, s59
                                        ; implicit-def: $vgpr3
                                        ; implicit-def: $vgpr49
                                        ; implicit-def: $vgpr1_vgpr2
.LBB47_7184:
	s_and_not1_saveexec_b32 s61, s61
	s_cbranch_execz .LBB47_7188
; %bb.7185:
	s_mov_b32 s63, -1
	s_mov_b32 s62, s59
	s_mov_b32 s64, exec_lo
	v_cmpx_eq_u16_e32 11, v3
	s_cbranch_execz .LBB47_7187
; %bb.7186:
	v_cmp_neq_f32_e32 vcc_lo, 0, v49
	s_xor_b32 s63, exec_lo, -1
	s_or_b32 s62, s59, exec_lo
	v_cndmask_b32_e64 v3, 0, 1, vcc_lo
	flat_store_b8 v[1:2], v3
.LBB47_7187:
	s_or_b32 exec_lo, exec_lo, s64
	s_delay_alu instid0(SALU_CYCLE_1)
	s_and_not1_b32 vcc_lo, s60, exec_lo
	s_and_b32 s60, s63, exec_lo
	s_and_not1_b32 s59, s59, exec_lo
	s_and_b32 s62, s62, exec_lo
	s_or_b32 s60, vcc_lo, s60
	s_or_b32 s59, s59, s62
.LBB47_7188:
	s_or_b32 exec_lo, exec_lo, s61
	s_delay_alu instid0(SALU_CYCLE_1)
	s_and_not1_b32 vcc_lo, s55, exec_lo
	s_and_b32 s60, s60, exec_lo
	s_and_not1_b32 s58, s58, exec_lo
	s_and_b32 s59, s59, exec_lo
	s_or_b32 vcc_lo, vcc_lo, s60
	s_or_b32 s58, s58, s59
.LBB47_7189:
	s_or_b32 exec_lo, exec_lo, s57
	s_delay_alu instid0(SALU_CYCLE_1)
	s_and_not1_b32 s55, s55, exec_lo
	s_and_b32 vcc_lo, vcc_lo, exec_lo
	s_and_not1_b32 s0, s0, exec_lo
	s_and_b32 s57, s58, exec_lo
	s_or_b32 s55, s55, vcc_lo
	s_or_b32 s0, s0, s57
.LBB47_7190:
	s_or_b32 exec_lo, exec_lo, s56
	s_delay_alu instid0(SALU_CYCLE_1)
	s_and_not1_b32 vcc_lo, s51, exec_lo
	s_and_b32 s55, s55, exec_lo
	s_and_b32 s0, s0, exec_lo
	s_or_b32 s55, vcc_lo, s55
                                        ; implicit-def: $vgpr3
                                        ; implicit-def: $vgpr49
                                        ; implicit-def: $vgpr1_vgpr2
	s_and_not1_saveexec_b32 s53, s53
	s_cbranch_execz .LBB47_4007
.LBB47_7191:
	s_mov_b32 s56, exec_lo
	v_cmpx_lt_i16_e32 4, v3
	s_xor_b32 s56, exec_lo, s56
	s_cbranch_execz .LBB47_7213
; %bb.7192:
	s_mov_b32 s57, exec_lo
	v_cmpx_lt_i16_e32 7, v3
	s_xor_b32 s57, exec_lo, s57
	s_cbranch_execz .LBB47_7202
; %bb.7193:
	;; [unrolled: 5-line block ×3, first 2 shown]
	v_cmp_lt_i16_e32 vcc_lo, 9, v3
	s_and_saveexec_b32 s59, vcc_lo
	s_delay_alu instid0(SALU_CYCLE_1)
	s_xor_b32 vcc_lo, exec_lo, s59
	s_cbranch_execz .LBB47_7196
; %bb.7195:
	v_cvt_f64_f32_e32 v[13:14], v49
	s_waitcnt vmcnt(0) lgkmcnt(0)
	v_mov_b32_e32 v15, 0
                                        ; implicit-def: $vgpr49
	s_delay_alu instid0(VALU_DEP_1)
	v_mov_b32_e32 v16, v15
	flat_store_b128 v[1:2], v[13:16]
                                        ; implicit-def: $vgpr1_vgpr2
.LBB47_7196:
	s_and_not1_saveexec_b32 vcc_lo, vcc_lo
	s_cbranch_execz .LBB47_7198
; %bb.7197:
	v_mov_b32_e32 v50, 0
	flat_store_b64 v[1:2], v[49:50]
.LBB47_7198:
	s_or_b32 exec_lo, exec_lo, vcc_lo
                                        ; implicit-def: $vgpr49
                                        ; implicit-def: $vgpr1_vgpr2
.LBB47_7199:
	s_and_not1_saveexec_b32 vcc_lo, s58
	s_cbranch_execz .LBB47_7201
; %bb.7200:
	v_cvt_f16_f32_e32 v3, v49
	s_delay_alu instid0(VALU_DEP_1)
	v_and_b32_e32 v3, 0xffff, v3
	flat_store_b32 v[1:2], v3
.LBB47_7201:
	s_or_b32 exec_lo, exec_lo, vcc_lo
                                        ; implicit-def: $vgpr49
                                        ; implicit-def: $vgpr1_vgpr2
                                        ; implicit-def: $vgpr3
.LBB47_7202:
	s_and_not1_saveexec_b32 s57, s57
	s_cbranch_execz .LBB47_7212
; %bb.7203:
	s_mov_b32 s58, exec_lo
	v_cmpx_lt_i16_e32 5, v3
	s_xor_b32 s58, exec_lo, s58
	s_cbranch_execz .LBB47_7209
; %bb.7204:
	v_cmp_lt_i16_e32 vcc_lo, 6, v3
	s_and_saveexec_b32 s59, vcc_lo
	s_delay_alu instid0(SALU_CYCLE_1)
	s_xor_b32 vcc_lo, exec_lo, s59
	s_cbranch_execz .LBB47_7206
; %bb.7205:
	v_cvt_f64_f32_e32 v[3:4], v49
                                        ; implicit-def: $vgpr49
	flat_store_b64 v[1:2], v[3:4]
                                        ; implicit-def: $vgpr1_vgpr2
.LBB47_7206:
	s_and_not1_saveexec_b32 vcc_lo, vcc_lo
	s_cbranch_execz .LBB47_7208
; %bb.7207:
	flat_store_b32 v[1:2], v49
.LBB47_7208:
	s_or_b32 exec_lo, exec_lo, vcc_lo
                                        ; implicit-def: $vgpr49
                                        ; implicit-def: $vgpr1_vgpr2
.LBB47_7209:
	s_and_not1_saveexec_b32 vcc_lo, s58
	s_cbranch_execz .LBB47_7211
; %bb.7210:
	v_cvt_f16_f32_e32 v3, v49
	flat_store_b16 v[1:2], v3
.LBB47_7211:
	s_or_b32 exec_lo, exec_lo, vcc_lo
.LBB47_7212:
	s_delay_alu instid0(SALU_CYCLE_1)
	s_or_b32 exec_lo, exec_lo, s57
                                        ; implicit-def: $vgpr3
                                        ; implicit-def: $vgpr49
                                        ; implicit-def: $vgpr1_vgpr2
.LBB47_7213:
	s_and_not1_saveexec_b32 s56, s56
	s_cbranch_execz .LBB47_7231
; %bb.7214:
	s_mov_b32 s57, exec_lo
	v_cmpx_lt_i16_e32 1, v3
	s_xor_b32 s57, exec_lo, s57
	s_cbranch_execz .LBB47_7224
; %bb.7215:
	s_mov_b32 s58, exec_lo
	v_cmpx_lt_i16_e32 2, v3
	s_xor_b32 s58, exec_lo, s58
	;; [unrolled: 5-line block ×3, first 2 shown]
	s_cbranch_execz .LBB47_7218
; %bb.7217:
	v_trunc_f32_e32 v3, v49
                                        ; implicit-def: $vgpr49
	s_delay_alu instid0(VALU_DEP_1) | instskip(SKIP_1) | instid1(VALU_DEP_2)
	v_mul_f32_e64 v4, 0x2f800000, |v3|
	v_ashrrev_i32_e32 v10, 31, v3
	v_floor_f32_e32 v4, v4
	s_delay_alu instid0(VALU_DEP_1) | instskip(SKIP_1) | instid1(VALU_DEP_2)
	v_fma_f32 v5, 0xcf800000, v4, |v3|
	v_cvt_u32_f32_e32 v4, v4
	v_cvt_u32_f32_e32 v3, v5
	s_delay_alu instid0(VALU_DEP_2) | instskip(NEXT) | instid1(VALU_DEP_2)
	v_xor_b32_e32 v4, v4, v10
	v_xor_b32_e32 v3, v3, v10
	s_delay_alu instid0(VALU_DEP_1) | instskip(NEXT) | instid1(VALU_DEP_3)
	v_sub_co_u32 v3, vcc_lo, v3, v10
	v_sub_co_ci_u32_e32 v4, vcc_lo, v4, v10, vcc_lo
	flat_store_b64 v[1:2], v[3:4]
                                        ; implicit-def: $vgpr1_vgpr2
.LBB47_7218:
	s_and_not1_saveexec_b32 vcc_lo, s59
	s_cbranch_execz .LBB47_7220
; %bb.7219:
	v_cvt_i32_f32_e32 v3, v49
	flat_store_b32 v[1:2], v3
.LBB47_7220:
	s_or_b32 exec_lo, exec_lo, vcc_lo
                                        ; implicit-def: $vgpr49
                                        ; implicit-def: $vgpr1_vgpr2
.LBB47_7221:
	s_and_not1_saveexec_b32 vcc_lo, s58
	s_cbranch_execz .LBB47_7223
; %bb.7222:
	v_cvt_i32_f32_e32 v3, v49
	flat_store_b16 v[1:2], v3
.LBB47_7223:
	s_or_b32 exec_lo, exec_lo, vcc_lo
                                        ; implicit-def: $vgpr49
                                        ; implicit-def: $vgpr1_vgpr2
                                        ; implicit-def: $vgpr3
.LBB47_7224:
	s_and_not1_saveexec_b32 s57, s57
	s_cbranch_execz .LBB47_7230
; %bb.7225:
	v_cmp_lt_i16_e32 vcc_lo, 0, v3
	s_and_saveexec_b32 s58, vcc_lo
	s_delay_alu instid0(SALU_CYCLE_1)
	s_xor_b32 vcc_lo, exec_lo, s58
	s_cbranch_execz .LBB47_7227
; %bb.7226:
	v_cvt_i32_f32_e32 v3, v49
                                        ; implicit-def: $vgpr49
	flat_store_b8 v[1:2], v3
                                        ; implicit-def: $vgpr1_vgpr2
.LBB47_7227:
	s_and_not1_saveexec_b32 vcc_lo, vcc_lo
	s_cbranch_execz .LBB47_7229
; %bb.7228:
	v_trunc_f32_e32 v3, v49
	s_delay_alu instid0(VALU_DEP_1) | instskip(NEXT) | instid1(VALU_DEP_1)
	v_mul_f32_e64 v4, 0x2f800000, |v3|
	v_floor_f32_e32 v4, v4
	s_delay_alu instid0(VALU_DEP_1) | instskip(SKIP_1) | instid1(VALU_DEP_2)
	v_fma_f32 v4, 0xcf800000, v4, |v3|
	v_ashrrev_i32_e32 v3, 31, v3
	v_cvt_u32_f32_e32 v4, v4
	s_delay_alu instid0(VALU_DEP_1) | instskip(NEXT) | instid1(VALU_DEP_1)
	v_xor_b32_e32 v4, v4, v3
	v_sub_nc_u32_e32 v3, v4, v3
	flat_store_b8 v[1:2], v3
.LBB47_7229:
	s_or_b32 exec_lo, exec_lo, vcc_lo
.LBB47_7230:
	s_delay_alu instid0(SALU_CYCLE_1)
	s_or_b32 exec_lo, exec_lo, s57
.LBB47_7231:
	s_delay_alu instid0(SALU_CYCLE_1) | instskip(NEXT) | instid1(SALU_CYCLE_1)
	s_or_b32 exec_lo, exec_lo, s56
	s_or_b32 s0, s0, exec_lo
	s_or_b32 exec_lo, exec_lo, s53
	s_mov_b32 vcc_lo, 0
	s_and_saveexec_b32 s53, s0
	s_cbranch_execnz .LBB47_4008
	s_branch .LBB47_4009
.LBB47_7232:
	v_bfe_u32 v3, v18, 21, 1
	s_mov_b32 s49, exec_lo
	s_delay_alu instid0(VALU_DEP_1) | instskip(NEXT) | instid1(VALU_DEP_1)
	v_add3_u32 v3, v18, v3, 0x88fffff
	v_lshrrev_b32_e32 v3, 21, v3
	s_or_saveexec_b32 s50, vcc_lo
                                        ; implicit-def: $vcc_lo
	s_delay_alu instid0(SALU_CYCLE_1)
	s_xor_b32 exec_lo, exec_lo, s50
	s_cbranch_execz .LBB47_6397
.LBB47_7233:
	v_add_f32_e64 v3, 0x42800000, |v18|
	s_and_not1_b32 s49, s49, exec_lo
	s_delay_alu instid0(VALU_DEP_1) | instskip(NEXT) | instid1(VALU_DEP_1)
	v_and_b32_e32 v3, 0xff, v3
	v_cmp_ne_u32_e32 vcc_lo, 0, v3
	s_and_b32 s51, vcc_lo, exec_lo
	s_mov_b32 vcc_lo, 0
	s_or_b32 s49, s49, s51
	s_or_b32 exec_lo, exec_lo, s50
	v_mov_b32_e32 v4, vcc_lo
	s_and_saveexec_b32 vcc_lo, s49
	s_cbranch_execnz .LBB47_6398
	s_branch .LBB47_6399
.LBB47_7234:
	v_bfe_u32 v3, v17, 20, 1
	s_mov_b32 s50, exec_lo
	s_delay_alu instid0(VALU_DEP_1) | instskip(NEXT) | instid1(VALU_DEP_1)
	v_add3_u32 v3, v17, v3, 0x487ffff
	v_lshrrev_b32_e32 v3, 20, v3
	s_or_saveexec_b32 s51, vcc_lo
                                        ; implicit-def: $vcc_lo
	s_delay_alu instid0(SALU_CYCLE_1)
	s_xor_b32 exec_lo, exec_lo, s51
	s_cbranch_execz .LBB47_6510
.LBB47_7235:
	v_add_f32_e64 v3, 0x46000000, |v17|
	s_and_not1_b32 s50, s50, exec_lo
	s_delay_alu instid0(VALU_DEP_1) | instskip(NEXT) | instid1(VALU_DEP_1)
	v_and_b32_e32 v3, 0xff, v3
	v_cmp_ne_u32_e32 vcc_lo, 0, v3
	s_and_b32 s52, vcc_lo, exec_lo
	s_mov_b32 vcc_lo, 0
	s_or_b32 s50, s50, s52
	s_or_b32 exec_lo, exec_lo, s51
	v_mov_b32_e32 v4, vcc_lo
	s_and_saveexec_b32 vcc_lo, s50
	s_cbranch_execnz .LBB47_6511
	s_branch .LBB47_6512
.LBB47_7236:
	s_mov_b32 s57, s53
	s_mov_b32 s58, exec_lo
	v_cmpx_lt_i16_e32 25, v3
	s_xor_b32 s58, exec_lo, s58
	s_cbranch_execz .LBB47_7272
; %bb.7237:
	s_mov_b32 s59, s53
	s_mov_b32 s57, exec_lo
	v_cmpx_lt_i16_e32 28, v3
	s_xor_b32 s57, exec_lo, s57
	s_cbranch_execz .LBB47_7255
; %bb.7238:
	;; [unrolled: 6-line block ×3, first 2 shown]
	s_mov_b32 s60, 0
	s_mov_b32 s61, s53
	s_mov_b32 s0, exec_lo
	v_cmpx_lt_i16_e32 45, v3
	s_xor_b32 s0, exec_lo, s0
	s_cbranch_execz .LBB47_7243
; %bb.7240:
	s_mov_b32 s62, -1
	s_mov_b32 s61, exec_lo
	v_cmpx_eq_u16_e32 46, v3
	s_cbranch_execz .LBB47_7242
; %bb.7241:
	v_bfe_u32 v3, v48, 16, 1
	v_cmp_o_f32_e32 vcc_lo, v48, v48
	s_mov_b32 s60, exec_lo
	s_xor_b32 s62, exec_lo, -1
	s_delay_alu instid0(VALU_DEP_2) | instskip(NEXT) | instid1(VALU_DEP_1)
	v_add3_u32 v3, v48, v3, 0x7fff
	v_lshrrev_b32_e32 v3, 16, v3
	s_delay_alu instid0(VALU_DEP_1)
	v_cndmask_b32_e32 v3, 0x7fc0, v3, vcc_lo
	flat_store_b32 v[1:2], v3
.LBB47_7242:
	s_or_b32 exec_lo, exec_lo, s61
	s_delay_alu instid0(SALU_CYCLE_1)
	s_and_not1_b32 vcc_lo, s53, exec_lo
	s_and_b32 s61, s62, exec_lo
	s_and_b32 s60, s60, exec_lo
	s_or_b32 s61, vcc_lo, s61
                                        ; implicit-def: $vgpr3
                                        ; implicit-def: $vgpr1_vgpr2
                                        ; implicit-def: $vgpr48
.LBB47_7243:
	s_and_not1_saveexec_b32 s62, s0
	s_cbranch_execz .LBB47_7249
; %bb.7244:
	s_mov_b32 s64, -1
	s_mov_b32 s0, s60
	s_mov_b32 s63, exec_lo
	v_cmpx_eq_u16_e32 44, v3
	s_cbranch_execz .LBB47_7248
; %bb.7245:
	v_bfe_u32 v4, v48, 23, 8
	v_mov_b32_e32 v3, 0xff
	s_mov_b32 s64, exec_lo
	s_delay_alu instid0(VALU_DEP_2)
	v_cmpx_ne_u32_e32 0xff, v4
; %bb.7246:
	v_and_b32_e32 v3, 0x400000, v48
	v_and_or_b32 v4, 0x3fffff, v48, v4
	s_delay_alu instid0(VALU_DEP_2) | instskip(NEXT) | instid1(VALU_DEP_2)
	v_cmp_ne_u32_e32 vcc_lo, 0, v3
	v_cmp_ne_u32_e64 s0, 0, v4
	v_lshrrev_b32_e32 v3, 23, v48
	s_delay_alu instid0(VALU_DEP_2) | instskip(NEXT) | instid1(SALU_CYCLE_1)
	s_and_b32 s0, vcc_lo, s0
	v_cndmask_b32_e64 v4, 0, 1, s0
	s_delay_alu instid0(VALU_DEP_1)
	v_add_nc_u32_e32 v3, v3, v4
; %bb.7247:
	s_or_b32 exec_lo, exec_lo, s64
	s_delay_alu instid0(SALU_CYCLE_1)
	s_xor_b32 s64, exec_lo, -1
	s_or_b32 s0, s60, exec_lo
	flat_store_b8 v[1:2], v3
.LBB47_7248:
	s_or_b32 exec_lo, exec_lo, s63
	s_delay_alu instid0(SALU_CYCLE_1)
	s_and_not1_b32 vcc_lo, s61, exec_lo
	s_and_b32 s61, s64, exec_lo
	s_and_not1_b32 s60, s60, exec_lo
	s_and_b32 s0, s0, exec_lo
	s_or_b32 s61, vcc_lo, s61
	s_or_b32 s60, s60, s0
.LBB47_7249:
	s_or_b32 exec_lo, exec_lo, s62
	s_delay_alu instid0(SALU_CYCLE_1) | instskip(SKIP_1) | instid1(SALU_CYCLE_1)
	s_and_not1_b32 s0, s53, exec_lo
	s_and_b32 vcc_lo, s61, exec_lo
                                        ; implicit-def: $vgpr3
                                        ; implicit-def: $vgpr48
                                        ; implicit-def: $vgpr1_vgpr2
	s_or_b32 s61, s0, vcc_lo
	s_and_b32 s0, s60, exec_lo
.LBB47_7250:
	s_and_not1_saveexec_b32 s59, s59
	s_cbranch_execz .LBB47_7254
; %bb.7251:
	s_mov_b32 s63, -1
	s_mov_b32 s62, s0
	s_mov_b32 s60, exec_lo
	v_cmpx_eq_u16_e32 29, v3
	s_cbranch_execz .LBB47_7253
; %bb.7252:
	v_trunc_f32_e32 v3, v48
	s_xor_b32 s63, exec_lo, -1
	s_or_b32 s62, s0, exec_lo
	s_delay_alu instid0(VALU_DEP_1) | instskip(NEXT) | instid1(VALU_DEP_1)
	v_mul_f32_e32 v4, 0x2f800000, v3
	v_floor_f32_e32 v4, v4
	s_delay_alu instid0(VALU_DEP_1) | instskip(SKIP_1) | instid1(VALU_DEP_2)
	v_fmamk_f32 v3, v4, 0xcf800000, v3
	v_cvt_u32_f32_e32 v4, v4
	v_cvt_u32_f32_e32 v3, v3
	flat_store_b64 v[1:2], v[3:4]
.LBB47_7253:
	s_or_b32 exec_lo, exec_lo, s60
	s_delay_alu instid0(SALU_CYCLE_1)
	s_and_not1_b32 vcc_lo, s61, exec_lo
	s_and_b32 s60, s63, exec_lo
	s_and_not1_b32 s0, s0, exec_lo
	s_and_b32 s62, s62, exec_lo
	s_or_b32 s61, vcc_lo, s60
	s_or_b32 s0, s0, s62
.LBB47_7254:
	s_or_b32 exec_lo, exec_lo, s59
	s_delay_alu instid0(SALU_CYCLE_1)
	s_and_not1_b32 vcc_lo, s53, exec_lo
	s_and_b32 s59, s61, exec_lo
	s_and_b32 s0, s0, exec_lo
	s_or_b32 s59, vcc_lo, s59
                                        ; implicit-def: $vgpr1_vgpr2
                                        ; implicit-def: $vgpr3
                                        ; implicit-def: $vgpr48
.LBB47_7255:
	s_and_not1_saveexec_b32 s57, s57
	s_cbranch_execz .LBB47_7271
; %bb.7256:
	s_mov_b32 s60, exec_lo
	v_cmpx_lt_i16_e32 26, v3
	s_xor_b32 s60, exec_lo, s60
	s_cbranch_execz .LBB47_7262
; %bb.7257:
	v_cmp_lt_i16_e32 vcc_lo, 27, v3
	s_and_saveexec_b32 s61, vcc_lo
	s_delay_alu instid0(SALU_CYCLE_1)
	s_xor_b32 vcc_lo, exec_lo, s61
	s_cbranch_execz .LBB47_7259
; %bb.7258:
	v_cvt_u32_f32_e32 v3, v48
                                        ; implicit-def: $vgpr48
	flat_store_b32 v[1:2], v3
                                        ; implicit-def: $vgpr1_vgpr2
.LBB47_7259:
	s_and_not1_saveexec_b32 vcc_lo, vcc_lo
	s_cbranch_execz .LBB47_7261
; %bb.7260:
	v_cvt_u32_f32_e32 v3, v48
	flat_store_b16 v[1:2], v3
.LBB47_7261:
	s_or_b32 exec_lo, exec_lo, vcc_lo
                                        ; implicit-def: $vgpr1_vgpr2
                                        ; implicit-def: $vgpr48
.LBB47_7262:
	s_and_not1_saveexec_b32 s60, s60
	s_cbranch_execz .LBB47_7270
; %bb.7263:
	v_and_b32_e32 v3, 0x7fffffff, v48
	v_mov_b32_e32 v4, 0x80
	s_mov_b32 s61, exec_lo
	s_delay_alu instid0(VALU_DEP_2)
	v_cmpx_gt_u32_e32 0x43800000, v3
	s_cbranch_execz .LBB47_7269
; %bb.7264:
	v_cmp_lt_u32_e32 vcc_lo, 0x3bffffff, v3
	s_mov_b32 s62, 0
                                        ; implicit-def: $vgpr3
	s_and_saveexec_b32 s63, vcc_lo
	s_delay_alu instid0(SALU_CYCLE_1)
	s_xor_b32 vcc_lo, exec_lo, s63
	s_cbranch_execnz .LBB47_7990
; %bb.7265:
	s_or_saveexec_b32 s63, vcc_lo
                                        ; implicit-def: $vcc_lo
	s_delay_alu instid0(SALU_CYCLE_1)
	s_xor_b32 exec_lo, exec_lo, s63
	s_cbranch_execnz .LBB47_7991
.LBB47_7266:
	s_or_b32 exec_lo, exec_lo, s63
	v_mov_b32_e32 v4, vcc_lo
	s_and_saveexec_b32 vcc_lo, s62
.LBB47_7267:
	v_lshrrev_b32_e32 v4, 24, v48
	s_delay_alu instid0(VALU_DEP_1)
	v_and_or_b32 v4, 0x80, v4, v3
.LBB47_7268:
	s_or_b32 exec_lo, exec_lo, vcc_lo
.LBB47_7269:
	s_delay_alu instid0(SALU_CYCLE_1)
	s_or_b32 exec_lo, exec_lo, s61
	flat_store_b8 v[1:2], v4
.LBB47_7270:
	s_or_b32 exec_lo, exec_lo, s60
	s_delay_alu instid0(SALU_CYCLE_1)
	s_or_b32 s0, s0, exec_lo
.LBB47_7271:
	s_or_b32 exec_lo, exec_lo, s57
	s_delay_alu instid0(SALU_CYCLE_1)
	s_and_not1_b32 vcc_lo, s53, exec_lo
	s_and_b32 s57, s59, exec_lo
	s_and_b32 s0, s0, exec_lo
	s_or_b32 s57, vcc_lo, s57
                                        ; implicit-def: $vgpr3
                                        ; implicit-def: $vgpr48
                                        ; implicit-def: $vgpr1_vgpr2
.LBB47_7272:
	s_and_not1_saveexec_b32 s58, s58
	s_cbranch_execz .LBB47_7316
; %bb.7273:
	s_mov_b32 s60, s0
	s_mov_b32 s59, exec_lo
	v_cmpx_lt_i16_e32 22, v3
	s_xor_b32 s59, exec_lo, s59
	s_cbranch_execz .LBB47_7305
; %bb.7274:
	s_mov_b32 s60, exec_lo
	v_cmpx_lt_i16_e32 23, v3
	s_xor_b32 s60, exec_lo, s60
	s_cbranch_execz .LBB47_7294
; %bb.7275:
	;; [unrolled: 5-line block ×3, first 2 shown]
	v_and_b32_e32 v3, 0x7fffffff, v48
	v_mov_b32_e32 v4, 0x80
	s_mov_b32 s62, exec_lo
	s_delay_alu instid0(VALU_DEP_2)
	v_cmpx_gt_u32_e32 0x47800000, v3
	s_cbranch_execz .LBB47_7282
; %bb.7277:
	v_cmp_lt_u32_e32 vcc_lo, 0x37ffffff, v3
	s_mov_b32 s63, 0
                                        ; implicit-def: $vgpr3
	s_and_saveexec_b32 s64, vcc_lo
	s_delay_alu instid0(SALU_CYCLE_1)
	s_xor_b32 vcc_lo, exec_lo, s64
	s_cbranch_execnz .LBB47_7992
; %bb.7278:
	s_or_saveexec_b32 s64, vcc_lo
                                        ; implicit-def: $vcc_lo
	s_delay_alu instid0(SALU_CYCLE_1)
	s_xor_b32 exec_lo, exec_lo, s64
	s_cbranch_execnz .LBB47_7993
.LBB47_7279:
	s_or_b32 exec_lo, exec_lo, s64
	v_mov_b32_e32 v4, vcc_lo
	s_and_saveexec_b32 vcc_lo, s63
.LBB47_7280:
	v_lshrrev_b32_e32 v4, 24, v48
	s_delay_alu instid0(VALU_DEP_1)
	v_and_or_b32 v4, 0x80, v4, v3
.LBB47_7281:
	s_or_b32 exec_lo, exec_lo, vcc_lo
.LBB47_7282:
	s_delay_alu instid0(SALU_CYCLE_1)
	s_or_b32 exec_lo, exec_lo, s62
	flat_store_b8 v[1:2], v4
                                        ; implicit-def: $vgpr48
                                        ; implicit-def: $vgpr1_vgpr2
.LBB47_7283:
	s_and_not1_saveexec_b32 s61, s61
	s_cbranch_execz .LBB47_7293
; %bb.7284:
	v_and_b32_e32 v4, 0x7fffffff, v48
	s_mov_b32 s62, exec_lo
                                        ; implicit-def: $vgpr3
	s_delay_alu instid0(VALU_DEP_1)
	v_cmpx_gt_u32_e32 0x43f00000, v4
	s_xor_b32 s62, exec_lo, s62
	s_cbranch_execz .LBB47_7290
; %bb.7285:
	s_mov_b32 s63, exec_lo
                                        ; implicit-def: $vgpr3
	v_cmpx_lt_u32_e32 0x3c7fffff, v4
	s_xor_b32 s63, exec_lo, s63
; %bb.7286:
	v_bfe_u32 v3, v48, 20, 1
	s_delay_alu instid0(VALU_DEP_1) | instskip(NEXT) | instid1(VALU_DEP_1)
	v_add3_u32 v3, v48, v3, 0x407ffff
	v_and_b32_e32 v4, 0xff00000, v3
	v_lshrrev_b32_e32 v3, 20, v3
	s_delay_alu instid0(VALU_DEP_2) | instskip(NEXT) | instid1(VALU_DEP_2)
	v_cmp_ne_u32_e32 vcc_lo, 0x7f00000, v4
	v_cndmask_b32_e32 v3, 0x7e, v3, vcc_lo
; %bb.7287:
	s_and_not1_saveexec_b32 vcc_lo, s63
; %bb.7288:
	v_add_f32_e64 v3, 0x46800000, |v48|
; %bb.7289:
	s_or_b32 exec_lo, exec_lo, vcc_lo
                                        ; implicit-def: $vgpr4
.LBB47_7290:
	s_and_not1_saveexec_b32 s62, s62
; %bb.7291:
	v_mov_b32_e32 v3, 0x7f
	v_cmp_lt_u32_e32 vcc_lo, 0x7f800000, v4
	s_delay_alu instid0(VALU_DEP_2)
	v_cndmask_b32_e32 v3, 0x7e, v3, vcc_lo
; %bb.7292:
	s_or_b32 exec_lo, exec_lo, s62
	v_lshrrev_b32_e32 v4, 24, v48
	s_delay_alu instid0(VALU_DEP_1)
	v_and_or_b32 v3, 0x80, v4, v3
	flat_store_b8 v[1:2], v3
.LBB47_7293:
	s_or_b32 exec_lo, exec_lo, s61
                                        ; implicit-def: $vgpr48
                                        ; implicit-def: $vgpr1_vgpr2
.LBB47_7294:
	s_and_not1_saveexec_b32 s60, s60
	s_cbranch_execz .LBB47_7304
; %bb.7295:
	v_and_b32_e32 v4, 0x7fffffff, v48
	s_mov_b32 s61, exec_lo
                                        ; implicit-def: $vgpr3
	s_delay_alu instid0(VALU_DEP_1)
	v_cmpx_gt_u32_e32 0x47800000, v4
	s_xor_b32 s61, exec_lo, s61
	s_cbranch_execz .LBB47_7301
; %bb.7296:
	v_cmp_lt_u32_e32 vcc_lo, 0x387fffff, v4
                                        ; implicit-def: $vgpr3
	s_and_saveexec_b32 s62, vcc_lo
	s_delay_alu instid0(SALU_CYCLE_1)
	s_xor_b32 vcc_lo, exec_lo, s62
; %bb.7297:
	v_bfe_u32 v3, v48, 21, 1
	s_delay_alu instid0(VALU_DEP_1) | instskip(NEXT) | instid1(VALU_DEP_1)
	v_add3_u32 v3, v48, v3, 0x80fffff
	v_lshrrev_b32_e32 v3, 21, v3
; %bb.7298:
	s_and_not1_saveexec_b32 vcc_lo, vcc_lo
; %bb.7299:
	v_add_f32_e64 v3, 0x43000000, |v48|
; %bb.7300:
	s_or_b32 exec_lo, exec_lo, vcc_lo
                                        ; implicit-def: $vgpr4
.LBB47_7301:
	s_and_not1_saveexec_b32 s61, s61
; %bb.7302:
	v_mov_b32_e32 v3, 0x7f
	v_cmp_lt_u32_e32 vcc_lo, 0x7f800000, v4
	s_delay_alu instid0(VALU_DEP_2)
	v_cndmask_b32_e32 v3, 0x7c, v3, vcc_lo
; %bb.7303:
	s_or_b32 exec_lo, exec_lo, s61
	v_lshrrev_b32_e32 v4, 24, v48
	s_delay_alu instid0(VALU_DEP_1)
	v_and_or_b32 v3, 0x80, v4, v3
	flat_store_b8 v[1:2], v3
.LBB47_7304:
	s_or_b32 exec_lo, exec_lo, s60
	s_delay_alu instid0(SALU_CYCLE_1)
	s_or_b32 s60, s0, exec_lo
                                        ; implicit-def: $vgpr3
                                        ; implicit-def: $vgpr48
                                        ; implicit-def: $vgpr1_vgpr2
.LBB47_7305:
	s_or_saveexec_b32 s59, s59
	s_mov_b32 vcc_lo, s57
	s_xor_b32 exec_lo, exec_lo, s59
	s_cbranch_execz .LBB47_7315
; %bb.7306:
	s_mov_b32 s61, s60
	s_mov_b32 s62, s57
	s_mov_b32 s63, exec_lo
	v_cmpx_lt_i16_e32 14, v3
	s_xor_b32 s63, exec_lo, s63
	s_cbranch_execz .LBB47_7310
; %bb.7307:
	s_mov_b32 s64, -1
	s_mov_b32 s61, s60
	s_mov_b32 s62, exec_lo
	v_cmpx_eq_u16_e32 15, v3
	s_cbranch_execz .LBB47_7309
; %bb.7308:
	v_bfe_u32 v3, v48, 16, 1
	v_cmp_o_f32_e32 vcc_lo, v48, v48
	s_xor_b32 s64, exec_lo, -1
	s_or_b32 s61, s60, exec_lo
	s_delay_alu instid0(VALU_DEP_2) | instskip(NEXT) | instid1(VALU_DEP_1)
	v_add3_u32 v3, v48, v3, 0x7fff
	v_lshrrev_b32_e32 v3, 16, v3
	s_delay_alu instid0(VALU_DEP_1)
	v_cndmask_b32_e32 v3, 0x7fc0, v3, vcc_lo
	flat_store_b16 v[1:2], v3
.LBB47_7309:
	s_or_b32 exec_lo, exec_lo, s62
	s_delay_alu instid0(SALU_CYCLE_1)
	s_and_not1_b32 vcc_lo, s57, exec_lo
	s_and_b32 s62, s64, exec_lo
	s_and_not1_b32 s64, s60, exec_lo
	s_and_b32 s61, s61, exec_lo
	s_or_b32 s62, vcc_lo, s62
	s_or_b32 s61, s64, s61
                                        ; implicit-def: $vgpr3
                                        ; implicit-def: $vgpr48
                                        ; implicit-def: $vgpr1_vgpr2
.LBB47_7310:
	s_and_not1_saveexec_b32 s63, s63
	s_cbranch_execz .LBB47_7314
; %bb.7311:
	s_mov_b32 s65, -1
	s_mov_b32 s64, s61
	s_mov_b32 s66, exec_lo
	v_cmpx_eq_u16_e32 11, v3
	s_cbranch_execz .LBB47_7313
; %bb.7312:
	v_cmp_neq_f32_e32 vcc_lo, 0, v48
	s_xor_b32 s65, exec_lo, -1
	s_or_b32 s64, s61, exec_lo
	v_cndmask_b32_e64 v3, 0, 1, vcc_lo
	flat_store_b8 v[1:2], v3
.LBB47_7313:
	s_or_b32 exec_lo, exec_lo, s66
	s_delay_alu instid0(SALU_CYCLE_1)
	s_and_not1_b32 vcc_lo, s62, exec_lo
	s_and_b32 s62, s65, exec_lo
	s_and_not1_b32 s61, s61, exec_lo
	s_and_b32 s64, s64, exec_lo
	s_or_b32 s62, vcc_lo, s62
	s_or_b32 s61, s61, s64
.LBB47_7314:
	s_or_b32 exec_lo, exec_lo, s63
	s_delay_alu instid0(SALU_CYCLE_1)
	s_and_not1_b32 vcc_lo, s57, exec_lo
	s_and_b32 s62, s62, exec_lo
	s_and_not1_b32 s60, s60, exec_lo
	s_and_b32 s61, s61, exec_lo
	s_or_b32 vcc_lo, vcc_lo, s62
	s_or_b32 s60, s60, s61
.LBB47_7315:
	s_or_b32 exec_lo, exec_lo, s59
	s_delay_alu instid0(SALU_CYCLE_1)
	s_and_not1_b32 s57, s57, exec_lo
	s_and_b32 vcc_lo, vcc_lo, exec_lo
	s_and_not1_b32 s0, s0, exec_lo
	s_and_b32 s59, s60, exec_lo
	s_or_b32 s57, s57, vcc_lo
	s_or_b32 s0, s0, s59
.LBB47_7316:
	s_or_b32 exec_lo, exec_lo, s58
	s_delay_alu instid0(SALU_CYCLE_1)
	s_and_not1_b32 vcc_lo, s53, exec_lo
	s_and_b32 s57, s57, exec_lo
	s_and_b32 s0, s0, exec_lo
	s_or_b32 s57, vcc_lo, s57
                                        ; implicit-def: $vgpr3
                                        ; implicit-def: $vgpr48
                                        ; implicit-def: $vgpr1_vgpr2
	s_and_not1_saveexec_b32 s55, s55
	s_cbranch_execz .LBB47_4014
.LBB47_7317:
	s_mov_b32 s58, exec_lo
	v_cmpx_lt_i16_e32 4, v3
	s_xor_b32 s58, exec_lo, s58
	s_cbranch_execz .LBB47_7339
; %bb.7318:
	s_mov_b32 s59, exec_lo
	v_cmpx_lt_i16_e32 7, v3
	s_xor_b32 s59, exec_lo, s59
	s_cbranch_execz .LBB47_7328
; %bb.7319:
	;; [unrolled: 5-line block ×3, first 2 shown]
	v_cmp_lt_i16_e32 vcc_lo, 9, v3
	s_and_saveexec_b32 s61, vcc_lo
	s_delay_alu instid0(SALU_CYCLE_1)
	s_xor_b32 vcc_lo, exec_lo, s61
	s_cbranch_execz .LBB47_7322
; %bb.7321:
	v_cvt_f64_f32_e32 v[13:14], v48
	s_waitcnt vmcnt(0) lgkmcnt(0)
	v_mov_b32_e32 v15, 0
                                        ; implicit-def: $vgpr48
	s_delay_alu instid0(VALU_DEP_1)
	v_mov_b32_e32 v16, v15
	flat_store_b128 v[1:2], v[13:16]
                                        ; implicit-def: $vgpr1_vgpr2
.LBB47_7322:
	s_and_not1_saveexec_b32 vcc_lo, vcc_lo
	s_cbranch_execz .LBB47_7324
; %bb.7323:
	v_mov_b32_e32 v49, 0
	flat_store_b64 v[1:2], v[48:49]
.LBB47_7324:
	s_or_b32 exec_lo, exec_lo, vcc_lo
                                        ; implicit-def: $vgpr48
                                        ; implicit-def: $vgpr1_vgpr2
.LBB47_7325:
	s_and_not1_saveexec_b32 vcc_lo, s60
	s_cbranch_execz .LBB47_7327
; %bb.7326:
	v_cvt_f16_f32_e32 v3, v48
	s_delay_alu instid0(VALU_DEP_1)
	v_and_b32_e32 v3, 0xffff, v3
	flat_store_b32 v[1:2], v3
.LBB47_7327:
	s_or_b32 exec_lo, exec_lo, vcc_lo
                                        ; implicit-def: $vgpr48
                                        ; implicit-def: $vgpr1_vgpr2
                                        ; implicit-def: $vgpr3
.LBB47_7328:
	s_and_not1_saveexec_b32 s59, s59
	s_cbranch_execz .LBB47_7338
; %bb.7329:
	s_mov_b32 s60, exec_lo
	v_cmpx_lt_i16_e32 5, v3
	s_xor_b32 s60, exec_lo, s60
	s_cbranch_execz .LBB47_7335
; %bb.7330:
	v_cmp_lt_i16_e32 vcc_lo, 6, v3
	s_and_saveexec_b32 s61, vcc_lo
	s_delay_alu instid0(SALU_CYCLE_1)
	s_xor_b32 vcc_lo, exec_lo, s61
	s_cbranch_execz .LBB47_7332
; %bb.7331:
	v_cvt_f64_f32_e32 v[3:4], v48
                                        ; implicit-def: $vgpr48
	flat_store_b64 v[1:2], v[3:4]
                                        ; implicit-def: $vgpr1_vgpr2
.LBB47_7332:
	s_and_not1_saveexec_b32 vcc_lo, vcc_lo
	s_cbranch_execz .LBB47_7334
; %bb.7333:
	flat_store_b32 v[1:2], v48
.LBB47_7334:
	s_or_b32 exec_lo, exec_lo, vcc_lo
                                        ; implicit-def: $vgpr48
                                        ; implicit-def: $vgpr1_vgpr2
.LBB47_7335:
	s_and_not1_saveexec_b32 vcc_lo, s60
	s_cbranch_execz .LBB47_7337
; %bb.7336:
	v_cvt_f16_f32_e32 v3, v48
	flat_store_b16 v[1:2], v3
.LBB47_7337:
	s_or_b32 exec_lo, exec_lo, vcc_lo
.LBB47_7338:
	s_delay_alu instid0(SALU_CYCLE_1)
	s_or_b32 exec_lo, exec_lo, s59
                                        ; implicit-def: $vgpr3
                                        ; implicit-def: $vgpr48
                                        ; implicit-def: $vgpr1_vgpr2
.LBB47_7339:
	s_and_not1_saveexec_b32 s58, s58
	s_cbranch_execz .LBB47_7357
; %bb.7340:
	s_mov_b32 s59, exec_lo
	v_cmpx_lt_i16_e32 1, v3
	s_xor_b32 s59, exec_lo, s59
	s_cbranch_execz .LBB47_7350
; %bb.7341:
	s_mov_b32 s60, exec_lo
	v_cmpx_lt_i16_e32 2, v3
	s_xor_b32 s60, exec_lo, s60
	;; [unrolled: 5-line block ×3, first 2 shown]
	s_cbranch_execz .LBB47_7344
; %bb.7343:
	v_trunc_f32_e32 v3, v48
                                        ; implicit-def: $vgpr48
	s_delay_alu instid0(VALU_DEP_1) | instskip(SKIP_1) | instid1(VALU_DEP_2)
	v_mul_f32_e64 v4, 0x2f800000, |v3|
	v_ashrrev_i32_e32 v10, 31, v3
	v_floor_f32_e32 v4, v4
	s_delay_alu instid0(VALU_DEP_1) | instskip(SKIP_1) | instid1(VALU_DEP_2)
	v_fma_f32 v5, 0xcf800000, v4, |v3|
	v_cvt_u32_f32_e32 v4, v4
	v_cvt_u32_f32_e32 v3, v5
	s_delay_alu instid0(VALU_DEP_2) | instskip(NEXT) | instid1(VALU_DEP_2)
	v_xor_b32_e32 v4, v4, v10
	v_xor_b32_e32 v3, v3, v10
	s_delay_alu instid0(VALU_DEP_1) | instskip(NEXT) | instid1(VALU_DEP_3)
	v_sub_co_u32 v3, vcc_lo, v3, v10
	v_sub_co_ci_u32_e32 v4, vcc_lo, v4, v10, vcc_lo
	flat_store_b64 v[1:2], v[3:4]
                                        ; implicit-def: $vgpr1_vgpr2
.LBB47_7344:
	s_and_not1_saveexec_b32 vcc_lo, s61
	s_cbranch_execz .LBB47_7346
; %bb.7345:
	v_cvt_i32_f32_e32 v3, v48
	flat_store_b32 v[1:2], v3
.LBB47_7346:
	s_or_b32 exec_lo, exec_lo, vcc_lo
                                        ; implicit-def: $vgpr48
                                        ; implicit-def: $vgpr1_vgpr2
.LBB47_7347:
	s_and_not1_saveexec_b32 vcc_lo, s60
	s_cbranch_execz .LBB47_7349
; %bb.7348:
	v_cvt_i32_f32_e32 v3, v48
	flat_store_b16 v[1:2], v3
.LBB47_7349:
	s_or_b32 exec_lo, exec_lo, vcc_lo
                                        ; implicit-def: $vgpr48
                                        ; implicit-def: $vgpr1_vgpr2
                                        ; implicit-def: $vgpr3
.LBB47_7350:
	s_and_not1_saveexec_b32 s59, s59
	s_cbranch_execz .LBB47_7356
; %bb.7351:
	v_cmp_lt_i16_e32 vcc_lo, 0, v3
	s_and_saveexec_b32 s60, vcc_lo
	s_delay_alu instid0(SALU_CYCLE_1)
	s_xor_b32 vcc_lo, exec_lo, s60
	s_cbranch_execz .LBB47_7353
; %bb.7352:
	v_cvt_i32_f32_e32 v3, v48
                                        ; implicit-def: $vgpr48
	flat_store_b8 v[1:2], v3
                                        ; implicit-def: $vgpr1_vgpr2
.LBB47_7353:
	s_and_not1_saveexec_b32 vcc_lo, vcc_lo
	s_cbranch_execz .LBB47_7355
; %bb.7354:
	v_trunc_f32_e32 v3, v48
	s_delay_alu instid0(VALU_DEP_1) | instskip(NEXT) | instid1(VALU_DEP_1)
	v_mul_f32_e64 v4, 0x2f800000, |v3|
	v_floor_f32_e32 v4, v4
	s_delay_alu instid0(VALU_DEP_1) | instskip(SKIP_1) | instid1(VALU_DEP_2)
	v_fma_f32 v4, 0xcf800000, v4, |v3|
	v_ashrrev_i32_e32 v3, 31, v3
	v_cvt_u32_f32_e32 v4, v4
	s_delay_alu instid0(VALU_DEP_1) | instskip(NEXT) | instid1(VALU_DEP_1)
	v_xor_b32_e32 v4, v4, v3
	v_sub_nc_u32_e32 v3, v4, v3
	flat_store_b8 v[1:2], v3
.LBB47_7355:
	s_or_b32 exec_lo, exec_lo, vcc_lo
.LBB47_7356:
	s_delay_alu instid0(SALU_CYCLE_1)
	s_or_b32 exec_lo, exec_lo, s59
.LBB47_7357:
	s_delay_alu instid0(SALU_CYCLE_1) | instskip(NEXT) | instid1(SALU_CYCLE_1)
	s_or_b32 exec_lo, exec_lo, s58
	s_or_b32 s0, s0, exec_lo
	s_or_b32 exec_lo, exec_lo, s55
	s_mov_b32 vcc_lo, 0
	s_and_saveexec_b32 s55, s0
	s_cbranch_execnz .LBB47_4015
	s_branch .LBB47_4016
.LBB47_7358:
	v_bfe_u32 v3, v17, 21, 1
	s_mov_b32 s51, exec_lo
	s_delay_alu instid0(VALU_DEP_1) | instskip(NEXT) | instid1(VALU_DEP_1)
	v_add3_u32 v3, v17, v3, 0x88fffff
	v_lshrrev_b32_e32 v3, 21, v3
	s_or_saveexec_b32 s52, vcc_lo
                                        ; implicit-def: $vcc_lo
	s_delay_alu instid0(SALU_CYCLE_1)
	s_xor_b32 exec_lo, exec_lo, s52
	s_cbranch_execz .LBB47_6523
.LBB47_7359:
	v_add_f32_e64 v3, 0x42800000, |v17|
	s_and_not1_b32 s51, s51, exec_lo
	s_delay_alu instid0(VALU_DEP_1) | instskip(NEXT) | instid1(VALU_DEP_1)
	v_and_b32_e32 v3, 0xff, v3
	v_cmp_ne_u32_e32 vcc_lo, 0, v3
	s_and_b32 s53, vcc_lo, exec_lo
	s_mov_b32 vcc_lo, 0
	s_or_b32 s51, s51, s53
	s_or_b32 exec_lo, exec_lo, s52
	v_mov_b32_e32 v4, vcc_lo
	s_and_saveexec_b32 vcc_lo, s51
	s_cbranch_execnz .LBB47_6524
	s_branch .LBB47_6525
.LBB47_7360:
	v_bfe_u32 v3, v16, 20, 1
	s_mov_b32 s52, exec_lo
	s_delay_alu instid0(VALU_DEP_1) | instskip(NEXT) | instid1(VALU_DEP_1)
	v_add3_u32 v3, v16, v3, 0x487ffff
	v_lshrrev_b32_e32 v3, 20, v3
	s_or_saveexec_b32 s53, vcc_lo
                                        ; implicit-def: $vcc_lo
	s_delay_alu instid0(SALU_CYCLE_1)
	s_xor_b32 exec_lo, exec_lo, s53
	s_cbranch_execz .LBB47_6636
.LBB47_7361:
	v_add_f32_e64 v3, 0x46000000, |v16|
	s_and_not1_b32 s52, s52, exec_lo
	s_delay_alu instid0(VALU_DEP_1) | instskip(NEXT) | instid1(VALU_DEP_1)
	v_and_b32_e32 v3, 0xff, v3
	v_cmp_ne_u32_e32 vcc_lo, 0, v3
	s_and_b32 s54, vcc_lo, exec_lo
	s_mov_b32 vcc_lo, 0
	s_or_b32 s52, s52, s54
	s_or_b32 exec_lo, exec_lo, s53
	v_mov_b32_e32 v4, vcc_lo
	s_and_saveexec_b32 vcc_lo, s52
	s_cbranch_execnz .LBB47_6637
	s_branch .LBB47_6638
.LBB47_7362:
	s_mov_b32 s59, s55
	s_mov_b32 s60, exec_lo
	v_cmpx_lt_i16_e32 25, v3
	s_xor_b32 s60, exec_lo, s60
	s_cbranch_execz .LBB47_7398
; %bb.7363:
	s_mov_b32 s61, s55
	s_mov_b32 s59, exec_lo
	v_cmpx_lt_i16_e32 28, v3
	s_xor_b32 s59, exec_lo, s59
	s_cbranch_execz .LBB47_7381
; %bb.7364:
	;; [unrolled: 6-line block ×3, first 2 shown]
	s_mov_b32 s62, 0
	s_mov_b32 s63, s55
	s_mov_b32 s0, exec_lo
	v_cmpx_lt_i16_e32 45, v3
	s_xor_b32 s0, exec_lo, s0
	s_cbranch_execz .LBB47_7369
; %bb.7366:
	s_mov_b32 s64, -1
	s_mov_b32 s63, exec_lo
	v_cmpx_eq_u16_e32 46, v3
	s_cbranch_execz .LBB47_7368
; %bb.7367:
	v_bfe_u32 v3, v38, 16, 1
	v_cmp_o_f32_e32 vcc_lo, v38, v38
	s_mov_b32 s62, exec_lo
	s_xor_b32 s64, exec_lo, -1
	s_delay_alu instid0(VALU_DEP_2) | instskip(NEXT) | instid1(VALU_DEP_1)
	v_add3_u32 v3, v38, v3, 0x7fff
	v_lshrrev_b32_e32 v3, 16, v3
	s_delay_alu instid0(VALU_DEP_1)
	v_cndmask_b32_e32 v3, 0x7fc0, v3, vcc_lo
	flat_store_b32 v[1:2], v3
.LBB47_7368:
	s_or_b32 exec_lo, exec_lo, s63
	s_delay_alu instid0(SALU_CYCLE_1)
	s_and_not1_b32 vcc_lo, s55, exec_lo
	s_and_b32 s63, s64, exec_lo
	s_and_b32 s62, s62, exec_lo
	s_or_b32 s63, vcc_lo, s63
                                        ; implicit-def: $vgpr3
                                        ; implicit-def: $vgpr1_vgpr2
                                        ; implicit-def: $vgpr38
.LBB47_7369:
	s_and_not1_saveexec_b32 s64, s0
	s_cbranch_execz .LBB47_7375
; %bb.7370:
	s_mov_b32 s66, -1
	s_mov_b32 s0, s62
	s_mov_b32 s65, exec_lo
	v_cmpx_eq_u16_e32 44, v3
	s_cbranch_execz .LBB47_7374
; %bb.7371:
	v_bfe_u32 v4, v38, 23, 8
	v_mov_b32_e32 v3, 0xff
	s_mov_b32 s66, exec_lo
	s_delay_alu instid0(VALU_DEP_2)
	v_cmpx_ne_u32_e32 0xff, v4
; %bb.7372:
	v_and_b32_e32 v3, 0x400000, v38
	v_and_or_b32 v4, 0x3fffff, v38, v4
	s_delay_alu instid0(VALU_DEP_2) | instskip(NEXT) | instid1(VALU_DEP_2)
	v_cmp_ne_u32_e32 vcc_lo, 0, v3
	v_cmp_ne_u32_e64 s0, 0, v4
	v_lshrrev_b32_e32 v3, 23, v38
	s_delay_alu instid0(VALU_DEP_2) | instskip(NEXT) | instid1(SALU_CYCLE_1)
	s_and_b32 s0, vcc_lo, s0
	v_cndmask_b32_e64 v4, 0, 1, s0
	s_delay_alu instid0(VALU_DEP_1)
	v_add_nc_u32_e32 v3, v3, v4
; %bb.7373:
	s_or_b32 exec_lo, exec_lo, s66
	s_delay_alu instid0(SALU_CYCLE_1)
	s_xor_b32 s66, exec_lo, -1
	s_or_b32 s0, s62, exec_lo
	flat_store_b8 v[1:2], v3
.LBB47_7374:
	s_or_b32 exec_lo, exec_lo, s65
	s_delay_alu instid0(SALU_CYCLE_1)
	s_and_not1_b32 vcc_lo, s63, exec_lo
	s_and_b32 s63, s66, exec_lo
	s_and_not1_b32 s62, s62, exec_lo
	s_and_b32 s0, s0, exec_lo
	s_or_b32 s63, vcc_lo, s63
	s_or_b32 s62, s62, s0
.LBB47_7375:
	s_or_b32 exec_lo, exec_lo, s64
	s_delay_alu instid0(SALU_CYCLE_1) | instskip(SKIP_1) | instid1(SALU_CYCLE_1)
	s_and_not1_b32 s0, s55, exec_lo
	s_and_b32 vcc_lo, s63, exec_lo
                                        ; implicit-def: $vgpr3
                                        ; implicit-def: $vgpr38
                                        ; implicit-def: $vgpr1_vgpr2
	s_or_b32 s63, s0, vcc_lo
	s_and_b32 s0, s62, exec_lo
.LBB47_7376:
	s_and_not1_saveexec_b32 s61, s61
	s_cbranch_execz .LBB47_7380
; %bb.7377:
	s_mov_b32 s65, -1
	s_mov_b32 s64, s0
	s_mov_b32 s62, exec_lo
	v_cmpx_eq_u16_e32 29, v3
	s_cbranch_execz .LBB47_7379
; %bb.7378:
	v_trunc_f32_e32 v3, v38
	s_xor_b32 s65, exec_lo, -1
	s_or_b32 s64, s0, exec_lo
	s_delay_alu instid0(VALU_DEP_1) | instskip(NEXT) | instid1(VALU_DEP_1)
	v_mul_f32_e32 v4, 0x2f800000, v3
	v_floor_f32_e32 v4, v4
	s_delay_alu instid0(VALU_DEP_1) | instskip(SKIP_1) | instid1(VALU_DEP_2)
	v_fmamk_f32 v3, v4, 0xcf800000, v3
	v_cvt_u32_f32_e32 v4, v4
	v_cvt_u32_f32_e32 v3, v3
	flat_store_b64 v[1:2], v[3:4]
.LBB47_7379:
	s_or_b32 exec_lo, exec_lo, s62
	s_delay_alu instid0(SALU_CYCLE_1)
	s_and_not1_b32 vcc_lo, s63, exec_lo
	s_and_b32 s62, s65, exec_lo
	s_and_not1_b32 s0, s0, exec_lo
	s_and_b32 s64, s64, exec_lo
	s_or_b32 s63, vcc_lo, s62
	s_or_b32 s0, s0, s64
.LBB47_7380:
	s_or_b32 exec_lo, exec_lo, s61
	s_delay_alu instid0(SALU_CYCLE_1)
	s_and_not1_b32 vcc_lo, s55, exec_lo
	s_and_b32 s61, s63, exec_lo
	s_and_b32 s0, s0, exec_lo
	s_or_b32 s61, vcc_lo, s61
                                        ; implicit-def: $vgpr1_vgpr2
                                        ; implicit-def: $vgpr3
                                        ; implicit-def: $vgpr38
.LBB47_7381:
	s_and_not1_saveexec_b32 s59, s59
	s_cbranch_execz .LBB47_7397
; %bb.7382:
	s_mov_b32 s62, exec_lo
	v_cmpx_lt_i16_e32 26, v3
	s_xor_b32 s62, exec_lo, s62
	s_cbranch_execz .LBB47_7388
; %bb.7383:
	v_cmp_lt_i16_e32 vcc_lo, 27, v3
	v_cvt_u32_f32_e32 v3, v38
	s_and_saveexec_b32 s63, vcc_lo
	s_delay_alu instid0(SALU_CYCLE_1)
	s_xor_b32 vcc_lo, exec_lo, s63
	s_cbranch_execz .LBB47_7385
; %bb.7384:
	flat_store_b32 v[1:2], v3
                                        ; implicit-def: $vgpr1_vgpr2
                                        ; implicit-def: $vgpr3
.LBB47_7385:
	s_and_not1_saveexec_b32 vcc_lo, vcc_lo
	s_cbranch_execz .LBB47_7387
; %bb.7386:
	flat_store_b16 v[1:2], v3
.LBB47_7387:
	s_or_b32 exec_lo, exec_lo, vcc_lo
                                        ; implicit-def: $vgpr1_vgpr2
                                        ; implicit-def: $vgpr38
.LBB47_7388:
	s_and_not1_saveexec_b32 s62, s62
	s_cbranch_execz .LBB47_7396
; %bb.7389:
	v_and_b32_e32 v3, 0x7fffffff, v38
	v_mov_b32_e32 v4, 0x80
	s_mov_b32 s63, exec_lo
	s_delay_alu instid0(VALU_DEP_2)
	v_cmpx_gt_u32_e32 0x43800000, v3
	s_cbranch_execz .LBB47_7395
; %bb.7390:
	v_cmp_lt_u32_e32 vcc_lo, 0x3bffffff, v3
	s_mov_b32 s64, 0
                                        ; implicit-def: $vgpr3
	s_and_saveexec_b32 s65, vcc_lo
	s_delay_alu instid0(SALU_CYCLE_1)
	s_xor_b32 vcc_lo, exec_lo, s65
	s_cbranch_execnz .LBB47_7994
; %bb.7391:
	s_or_saveexec_b32 s65, vcc_lo
                                        ; implicit-def: $vcc_lo
	s_delay_alu instid0(SALU_CYCLE_1)
	s_xor_b32 exec_lo, exec_lo, s65
	s_cbranch_execnz .LBB47_7995
.LBB47_7392:
	s_or_b32 exec_lo, exec_lo, s65
	v_mov_b32_e32 v4, vcc_lo
	s_and_saveexec_b32 vcc_lo, s64
.LBB47_7393:
	v_lshrrev_b32_e32 v4, 24, v38
	s_delay_alu instid0(VALU_DEP_1)
	v_and_or_b32 v4, 0x80, v4, v3
.LBB47_7394:
	s_or_b32 exec_lo, exec_lo, vcc_lo
.LBB47_7395:
	s_delay_alu instid0(SALU_CYCLE_1)
	s_or_b32 exec_lo, exec_lo, s63
	flat_store_b8 v[1:2], v4
.LBB47_7396:
	s_or_b32 exec_lo, exec_lo, s62
	s_delay_alu instid0(SALU_CYCLE_1)
	s_or_b32 s0, s0, exec_lo
.LBB47_7397:
	s_or_b32 exec_lo, exec_lo, s59
	s_delay_alu instid0(SALU_CYCLE_1)
	s_and_not1_b32 vcc_lo, s55, exec_lo
	s_and_b32 s59, s61, exec_lo
	s_and_b32 s0, s0, exec_lo
	s_or_b32 s59, vcc_lo, s59
                                        ; implicit-def: $vgpr3
                                        ; implicit-def: $vgpr38
                                        ; implicit-def: $vgpr1_vgpr2
.LBB47_7398:
	s_and_not1_saveexec_b32 s60, s60
	s_cbranch_execz .LBB47_7442
; %bb.7399:
	s_mov_b32 s62, s0
	s_mov_b32 s61, exec_lo
	v_cmpx_lt_i16_e32 22, v3
	s_xor_b32 s61, exec_lo, s61
	s_cbranch_execz .LBB47_7431
; %bb.7400:
	s_mov_b32 s62, exec_lo
	v_cmpx_lt_i16_e32 23, v3
	s_xor_b32 s62, exec_lo, s62
	s_cbranch_execz .LBB47_7420
; %bb.7401:
	;; [unrolled: 5-line block ×3, first 2 shown]
	v_and_b32_e32 v3, 0x7fffffff, v38
	v_mov_b32_e32 v4, 0x80
	s_mov_b32 s64, exec_lo
	s_delay_alu instid0(VALU_DEP_2)
	v_cmpx_gt_u32_e32 0x47800000, v3
	s_cbranch_execz .LBB47_7408
; %bb.7403:
	v_cmp_lt_u32_e32 vcc_lo, 0x37ffffff, v3
	s_mov_b32 s65, 0
                                        ; implicit-def: $vgpr3
	s_and_saveexec_b32 s66, vcc_lo
	s_delay_alu instid0(SALU_CYCLE_1)
	s_xor_b32 vcc_lo, exec_lo, s66
	s_cbranch_execnz .LBB47_7996
; %bb.7404:
	s_or_saveexec_b32 s66, vcc_lo
                                        ; implicit-def: $vcc_lo
	s_delay_alu instid0(SALU_CYCLE_1)
	s_xor_b32 exec_lo, exec_lo, s66
	s_cbranch_execnz .LBB47_7997
.LBB47_7405:
	s_or_b32 exec_lo, exec_lo, s66
	v_mov_b32_e32 v4, vcc_lo
	s_and_saveexec_b32 vcc_lo, s65
.LBB47_7406:
	v_lshrrev_b32_e32 v4, 24, v38
	s_delay_alu instid0(VALU_DEP_1)
	v_and_or_b32 v4, 0x80, v4, v3
.LBB47_7407:
	s_or_b32 exec_lo, exec_lo, vcc_lo
.LBB47_7408:
	s_delay_alu instid0(SALU_CYCLE_1)
	s_or_b32 exec_lo, exec_lo, s64
	flat_store_b8 v[1:2], v4
                                        ; implicit-def: $vgpr38
                                        ; implicit-def: $vgpr1_vgpr2
.LBB47_7409:
	s_and_not1_saveexec_b32 s63, s63
	s_cbranch_execz .LBB47_7419
; %bb.7410:
	v_and_b32_e32 v4, 0x7fffffff, v38
	s_mov_b32 s64, exec_lo
                                        ; implicit-def: $vgpr3
	s_delay_alu instid0(VALU_DEP_1)
	v_cmpx_gt_u32_e32 0x43f00000, v4
	s_xor_b32 s64, exec_lo, s64
	s_cbranch_execz .LBB47_7416
; %bb.7411:
	s_mov_b32 s65, exec_lo
                                        ; implicit-def: $vgpr3
	v_cmpx_lt_u32_e32 0x3c7fffff, v4
	s_xor_b32 s65, exec_lo, s65
; %bb.7412:
	v_bfe_u32 v3, v38, 20, 1
	s_delay_alu instid0(VALU_DEP_1) | instskip(NEXT) | instid1(VALU_DEP_1)
	v_add3_u32 v3, v38, v3, 0x407ffff
	v_and_b32_e32 v4, 0xff00000, v3
	v_lshrrev_b32_e32 v3, 20, v3
	s_delay_alu instid0(VALU_DEP_2) | instskip(NEXT) | instid1(VALU_DEP_2)
	v_cmp_ne_u32_e32 vcc_lo, 0x7f00000, v4
	v_cndmask_b32_e32 v3, 0x7e, v3, vcc_lo
; %bb.7413:
	s_and_not1_saveexec_b32 vcc_lo, s65
; %bb.7414:
	v_add_f32_e64 v3, 0x46800000, |v38|
; %bb.7415:
	s_or_b32 exec_lo, exec_lo, vcc_lo
                                        ; implicit-def: $vgpr4
.LBB47_7416:
	s_and_not1_saveexec_b32 s64, s64
; %bb.7417:
	v_mov_b32_e32 v3, 0x7f
	v_cmp_lt_u32_e32 vcc_lo, 0x7f800000, v4
	s_delay_alu instid0(VALU_DEP_2)
	v_cndmask_b32_e32 v3, 0x7e, v3, vcc_lo
; %bb.7418:
	s_or_b32 exec_lo, exec_lo, s64
	v_lshrrev_b32_e32 v4, 24, v38
	s_delay_alu instid0(VALU_DEP_1)
	v_and_or_b32 v3, 0x80, v4, v3
	flat_store_b8 v[1:2], v3
.LBB47_7419:
	s_or_b32 exec_lo, exec_lo, s63
                                        ; implicit-def: $vgpr38
                                        ; implicit-def: $vgpr1_vgpr2
.LBB47_7420:
	s_and_not1_saveexec_b32 s62, s62
	s_cbranch_execz .LBB47_7430
; %bb.7421:
	v_and_b32_e32 v4, 0x7fffffff, v38
	s_mov_b32 s63, exec_lo
                                        ; implicit-def: $vgpr3
	s_delay_alu instid0(VALU_DEP_1)
	v_cmpx_gt_u32_e32 0x47800000, v4
	s_xor_b32 s63, exec_lo, s63
	s_cbranch_execz .LBB47_7427
; %bb.7422:
	v_cmp_lt_u32_e32 vcc_lo, 0x387fffff, v4
                                        ; implicit-def: $vgpr3
	s_and_saveexec_b32 s64, vcc_lo
	s_delay_alu instid0(SALU_CYCLE_1)
	s_xor_b32 vcc_lo, exec_lo, s64
; %bb.7423:
	v_bfe_u32 v3, v38, 21, 1
	s_delay_alu instid0(VALU_DEP_1) | instskip(NEXT) | instid1(VALU_DEP_1)
	v_add3_u32 v3, v38, v3, 0x80fffff
	v_lshrrev_b32_e32 v3, 21, v3
; %bb.7424:
	s_and_not1_saveexec_b32 vcc_lo, vcc_lo
; %bb.7425:
	v_add_f32_e64 v3, 0x43000000, |v38|
; %bb.7426:
	s_or_b32 exec_lo, exec_lo, vcc_lo
                                        ; implicit-def: $vgpr4
.LBB47_7427:
	s_and_not1_saveexec_b32 s63, s63
; %bb.7428:
	v_mov_b32_e32 v3, 0x7f
	v_cmp_lt_u32_e32 vcc_lo, 0x7f800000, v4
	s_delay_alu instid0(VALU_DEP_2)
	v_cndmask_b32_e32 v3, 0x7c, v3, vcc_lo
; %bb.7429:
	s_or_b32 exec_lo, exec_lo, s63
	v_lshrrev_b32_e32 v4, 24, v38
	s_delay_alu instid0(VALU_DEP_1)
	v_and_or_b32 v3, 0x80, v4, v3
	flat_store_b8 v[1:2], v3
.LBB47_7430:
	s_or_b32 exec_lo, exec_lo, s62
	s_delay_alu instid0(SALU_CYCLE_1)
	s_or_b32 s62, s0, exec_lo
                                        ; implicit-def: $vgpr3
                                        ; implicit-def: $vgpr38
                                        ; implicit-def: $vgpr1_vgpr2
.LBB47_7431:
	s_or_saveexec_b32 s61, s61
	s_mov_b32 vcc_lo, s59
	s_xor_b32 exec_lo, exec_lo, s61
	s_cbranch_execz .LBB47_7441
; %bb.7432:
	s_mov_b32 s63, s62
	s_mov_b32 s64, s59
	s_mov_b32 s65, exec_lo
	v_cmpx_lt_i16_e32 14, v3
	s_xor_b32 s65, exec_lo, s65
	s_cbranch_execz .LBB47_7436
; %bb.7433:
	s_mov_b32 s66, -1
	s_mov_b32 s63, s62
	s_mov_b32 s64, exec_lo
	v_cmpx_eq_u16_e32 15, v3
	s_cbranch_execz .LBB47_7435
; %bb.7434:
	v_bfe_u32 v3, v38, 16, 1
	v_cmp_o_f32_e32 vcc_lo, v38, v38
	s_xor_b32 s66, exec_lo, -1
	s_or_b32 s63, s62, exec_lo
	s_delay_alu instid0(VALU_DEP_2) | instskip(NEXT) | instid1(VALU_DEP_1)
	v_add3_u32 v3, v38, v3, 0x7fff
	v_lshrrev_b32_e32 v3, 16, v3
	s_delay_alu instid0(VALU_DEP_1)
	v_cndmask_b32_e32 v3, 0x7fc0, v3, vcc_lo
	flat_store_b16 v[1:2], v3
.LBB47_7435:
	s_or_b32 exec_lo, exec_lo, s64
	s_delay_alu instid0(SALU_CYCLE_1)
	s_and_not1_b32 vcc_lo, s59, exec_lo
	s_and_b32 s64, s66, exec_lo
	s_and_not1_b32 s66, s62, exec_lo
	s_and_b32 s63, s63, exec_lo
	s_or_b32 s64, vcc_lo, s64
	s_or_b32 s63, s66, s63
                                        ; implicit-def: $vgpr3
                                        ; implicit-def: $vgpr38
                                        ; implicit-def: $vgpr1_vgpr2
.LBB47_7436:
	s_and_not1_saveexec_b32 s65, s65
	s_cbranch_execz .LBB47_7440
; %bb.7437:
	s_mov_b32 s67, -1
	s_mov_b32 s66, s63
	s_mov_b32 s68, exec_lo
	v_cmpx_eq_u16_e32 11, v3
	s_cbranch_execz .LBB47_7439
; %bb.7438:
	v_cmp_neq_f32_e32 vcc_lo, 0, v38
	s_xor_b32 s67, exec_lo, -1
	s_or_b32 s66, s63, exec_lo
	v_cndmask_b32_e64 v3, 0, 1, vcc_lo
	flat_store_b8 v[1:2], v3
.LBB47_7439:
	s_or_b32 exec_lo, exec_lo, s68
	s_delay_alu instid0(SALU_CYCLE_1)
	s_and_not1_b32 vcc_lo, s64, exec_lo
	s_and_b32 s64, s67, exec_lo
	s_and_not1_b32 s63, s63, exec_lo
	s_and_b32 s66, s66, exec_lo
	s_or_b32 s64, vcc_lo, s64
	s_or_b32 s63, s63, s66
.LBB47_7440:
	s_or_b32 exec_lo, exec_lo, s65
	s_delay_alu instid0(SALU_CYCLE_1)
	s_and_not1_b32 vcc_lo, s59, exec_lo
	s_and_b32 s64, s64, exec_lo
	s_and_not1_b32 s62, s62, exec_lo
	s_and_b32 s63, s63, exec_lo
	s_or_b32 vcc_lo, vcc_lo, s64
	s_or_b32 s62, s62, s63
.LBB47_7441:
	s_or_b32 exec_lo, exec_lo, s61
	s_delay_alu instid0(SALU_CYCLE_1)
	s_and_not1_b32 s59, s59, exec_lo
	s_and_b32 vcc_lo, vcc_lo, exec_lo
	s_and_not1_b32 s0, s0, exec_lo
	s_and_b32 s61, s62, exec_lo
	s_or_b32 s59, s59, vcc_lo
	s_or_b32 s0, s0, s61
.LBB47_7442:
	s_or_b32 exec_lo, exec_lo, s60
	s_delay_alu instid0(SALU_CYCLE_1)
	s_and_not1_b32 vcc_lo, s55, exec_lo
	s_and_b32 s59, s59, exec_lo
	s_and_b32 s0, s0, exec_lo
	s_or_b32 s59, vcc_lo, s59
                                        ; implicit-def: $vgpr3
                                        ; implicit-def: $vgpr38
                                        ; implicit-def: $vgpr1_vgpr2
	s_and_not1_saveexec_b32 s57, s57
	s_cbranch_execz .LBB47_4021
.LBB47_7443:
	s_mov_b32 s60, exec_lo
	v_cmpx_lt_i16_e32 4, v3
	s_xor_b32 s60, exec_lo, s60
	s_cbranch_execz .LBB47_7465
; %bb.7444:
	s_mov_b32 s61, exec_lo
	v_cmpx_lt_i16_e32 7, v3
	s_xor_b32 s61, exec_lo, s61
	s_cbranch_execz .LBB47_7454
; %bb.7445:
	;; [unrolled: 5-line block ×3, first 2 shown]
	v_cmp_lt_i16_e32 vcc_lo, 9, v3
	s_and_saveexec_b32 s63, vcc_lo
	s_delay_alu instid0(SALU_CYCLE_1)
	s_xor_b32 vcc_lo, exec_lo, s63
	s_cbranch_execz .LBB47_7448
; %bb.7447:
	v_cvt_f64_f32_e32 v[13:14], v38
	s_waitcnt vmcnt(0) lgkmcnt(0)
	v_mov_b32_e32 v15, 0
                                        ; implicit-def: $vgpr38
	s_delay_alu instid0(VALU_DEP_1)
	v_mov_b32_e32 v16, v15
	flat_store_b128 v[1:2], v[13:16]
                                        ; implicit-def: $vgpr1_vgpr2
.LBB47_7448:
	s_and_not1_saveexec_b32 vcc_lo, vcc_lo
	s_cbranch_execz .LBB47_7450
; %bb.7449:
	v_mov_b32_e32 v39, 0
	flat_store_b64 v[1:2], v[38:39]
.LBB47_7450:
	s_or_b32 exec_lo, exec_lo, vcc_lo
                                        ; implicit-def: $vgpr38
                                        ; implicit-def: $vgpr1_vgpr2
.LBB47_7451:
	s_and_not1_saveexec_b32 vcc_lo, s62
	s_cbranch_execz .LBB47_7453
; %bb.7452:
	v_cvt_f16_f32_e32 v3, v38
	s_delay_alu instid0(VALU_DEP_1)
	v_and_b32_e32 v3, 0xffff, v3
	flat_store_b32 v[1:2], v3
.LBB47_7453:
	s_or_b32 exec_lo, exec_lo, vcc_lo
                                        ; implicit-def: $vgpr38
                                        ; implicit-def: $vgpr1_vgpr2
                                        ; implicit-def: $vgpr3
.LBB47_7454:
	s_and_not1_saveexec_b32 s61, s61
	s_cbranch_execz .LBB47_7464
; %bb.7455:
	s_mov_b32 s62, exec_lo
	v_cmpx_lt_i16_e32 5, v3
	s_xor_b32 s62, exec_lo, s62
	s_cbranch_execz .LBB47_7461
; %bb.7456:
	v_cmp_lt_i16_e32 vcc_lo, 6, v3
	s_and_saveexec_b32 s63, vcc_lo
	s_delay_alu instid0(SALU_CYCLE_1)
	s_xor_b32 vcc_lo, exec_lo, s63
	s_cbranch_execz .LBB47_7458
; %bb.7457:
	v_cvt_f64_f32_e32 v[3:4], v38
                                        ; implicit-def: $vgpr38
	flat_store_b64 v[1:2], v[3:4]
                                        ; implicit-def: $vgpr1_vgpr2
.LBB47_7458:
	s_and_not1_saveexec_b32 vcc_lo, vcc_lo
	s_cbranch_execz .LBB47_7460
; %bb.7459:
	flat_store_b32 v[1:2], v38
.LBB47_7460:
	s_or_b32 exec_lo, exec_lo, vcc_lo
                                        ; implicit-def: $vgpr38
                                        ; implicit-def: $vgpr1_vgpr2
.LBB47_7461:
	s_and_not1_saveexec_b32 vcc_lo, s62
	s_cbranch_execz .LBB47_7463
; %bb.7462:
	v_cvt_f16_f32_e32 v3, v38
	flat_store_b16 v[1:2], v3
.LBB47_7463:
	s_or_b32 exec_lo, exec_lo, vcc_lo
.LBB47_7464:
	s_delay_alu instid0(SALU_CYCLE_1)
	s_or_b32 exec_lo, exec_lo, s61
                                        ; implicit-def: $vgpr3
                                        ; implicit-def: $vgpr38
                                        ; implicit-def: $vgpr1_vgpr2
.LBB47_7465:
	s_and_not1_saveexec_b32 s60, s60
	s_cbranch_execz .LBB47_7483
; %bb.7466:
	s_mov_b32 s61, exec_lo
	v_cmpx_lt_i16_e32 1, v3
	s_xor_b32 s61, exec_lo, s61
	s_cbranch_execz .LBB47_7476
; %bb.7467:
	s_mov_b32 s62, exec_lo
	v_cmpx_lt_i16_e32 2, v3
	s_xor_b32 s62, exec_lo, s62
	;; [unrolled: 5-line block ×3, first 2 shown]
	s_cbranch_execz .LBB47_7470
; %bb.7469:
	v_trunc_f32_e32 v3, v38
                                        ; implicit-def: $vgpr38
	s_delay_alu instid0(VALU_DEP_1) | instskip(SKIP_1) | instid1(VALU_DEP_2)
	v_mul_f32_e64 v4, 0x2f800000, |v3|
	v_ashrrev_i32_e32 v10, 31, v3
	v_floor_f32_e32 v4, v4
	s_delay_alu instid0(VALU_DEP_1) | instskip(SKIP_1) | instid1(VALU_DEP_2)
	v_fma_f32 v5, 0xcf800000, v4, |v3|
	v_cvt_u32_f32_e32 v4, v4
	v_cvt_u32_f32_e32 v3, v5
	s_delay_alu instid0(VALU_DEP_2) | instskip(NEXT) | instid1(VALU_DEP_2)
	v_xor_b32_e32 v4, v4, v10
	v_xor_b32_e32 v3, v3, v10
	s_delay_alu instid0(VALU_DEP_1) | instskip(NEXT) | instid1(VALU_DEP_3)
	v_sub_co_u32 v3, vcc_lo, v3, v10
	v_sub_co_ci_u32_e32 v4, vcc_lo, v4, v10, vcc_lo
	flat_store_b64 v[1:2], v[3:4]
                                        ; implicit-def: $vgpr1_vgpr2
.LBB47_7470:
	s_and_not1_saveexec_b32 vcc_lo, s63
	s_cbranch_execz .LBB47_7472
; %bb.7471:
	v_cvt_i32_f32_e32 v3, v38
	flat_store_b32 v[1:2], v3
.LBB47_7472:
	s_or_b32 exec_lo, exec_lo, vcc_lo
                                        ; implicit-def: $vgpr38
                                        ; implicit-def: $vgpr1_vgpr2
.LBB47_7473:
	s_and_not1_saveexec_b32 vcc_lo, s62
	s_cbranch_execz .LBB47_7475
; %bb.7474:
	v_cvt_i32_f32_e32 v3, v38
	flat_store_b16 v[1:2], v3
.LBB47_7475:
	s_or_b32 exec_lo, exec_lo, vcc_lo
                                        ; implicit-def: $vgpr38
                                        ; implicit-def: $vgpr1_vgpr2
                                        ; implicit-def: $vgpr3
.LBB47_7476:
	s_and_not1_saveexec_b32 s61, s61
	s_cbranch_execz .LBB47_7482
; %bb.7477:
	v_cmp_lt_i16_e32 vcc_lo, 0, v3
	s_and_saveexec_b32 s62, vcc_lo
	s_delay_alu instid0(SALU_CYCLE_1)
	s_xor_b32 vcc_lo, exec_lo, s62
	s_cbranch_execz .LBB47_7479
; %bb.7478:
	v_cvt_i32_f32_e32 v3, v38
                                        ; implicit-def: $vgpr38
	flat_store_b8 v[1:2], v3
                                        ; implicit-def: $vgpr1_vgpr2
.LBB47_7479:
	s_and_not1_saveexec_b32 vcc_lo, vcc_lo
	s_cbranch_execz .LBB47_7481
; %bb.7480:
	v_trunc_f32_e32 v3, v38
	s_delay_alu instid0(VALU_DEP_1) | instskip(NEXT) | instid1(VALU_DEP_1)
	v_mul_f32_e64 v4, 0x2f800000, |v3|
	v_floor_f32_e32 v4, v4
	s_delay_alu instid0(VALU_DEP_1) | instskip(SKIP_1) | instid1(VALU_DEP_2)
	v_fma_f32 v4, 0xcf800000, v4, |v3|
	v_ashrrev_i32_e32 v3, 31, v3
	v_cvt_u32_f32_e32 v4, v4
	s_delay_alu instid0(VALU_DEP_1) | instskip(NEXT) | instid1(VALU_DEP_1)
	v_xor_b32_e32 v4, v4, v3
	v_sub_nc_u32_e32 v3, v4, v3
	flat_store_b8 v[1:2], v3
.LBB47_7481:
	s_or_b32 exec_lo, exec_lo, vcc_lo
.LBB47_7482:
	s_delay_alu instid0(SALU_CYCLE_1)
	s_or_b32 exec_lo, exec_lo, s61
.LBB47_7483:
	s_delay_alu instid0(SALU_CYCLE_1) | instskip(NEXT) | instid1(SALU_CYCLE_1)
	s_or_b32 exec_lo, exec_lo, s60
	s_or_b32 s0, s0, exec_lo
	s_or_b32 exec_lo, exec_lo, s57
	s_mov_b32 vcc_lo, 0
	s_and_saveexec_b32 s57, s0
	s_cbranch_execnz .LBB47_4022
	s_branch .LBB47_4023
.LBB47_7484:
	v_bfe_u32 v3, v16, 21, 1
	s_mov_b32 s53, exec_lo
	s_delay_alu instid0(VALU_DEP_1) | instskip(NEXT) | instid1(VALU_DEP_1)
	v_add3_u32 v3, v16, v3, 0x88fffff
	v_lshrrev_b32_e32 v3, 21, v3
	s_or_saveexec_b32 s54, vcc_lo
                                        ; implicit-def: $vcc_lo
	s_delay_alu instid0(SALU_CYCLE_1)
	s_xor_b32 exec_lo, exec_lo, s54
	s_cbranch_execz .LBB47_6649
.LBB47_7485:
	v_add_f32_e64 v3, 0x42800000, |v16|
	s_and_not1_b32 s53, s53, exec_lo
	s_delay_alu instid0(VALU_DEP_1) | instskip(NEXT) | instid1(VALU_DEP_1)
	v_and_b32_e32 v3, 0xff, v3
	v_cmp_ne_u32_e32 vcc_lo, 0, v3
	s_and_b32 s55, vcc_lo, exec_lo
	s_mov_b32 vcc_lo, 0
	s_or_b32 s53, s53, s55
	s_or_b32 exec_lo, exec_lo, s54
	v_mov_b32_e32 v4, vcc_lo
	s_and_saveexec_b32 vcc_lo, s53
	s_cbranch_execnz .LBB47_6650
	s_branch .LBB47_6651
.LBB47_7486:
	v_bfe_u32 v3, v15, 20, 1
	s_mov_b32 s54, exec_lo
	s_delay_alu instid0(VALU_DEP_1) | instskip(NEXT) | instid1(VALU_DEP_1)
	v_add3_u32 v3, v15, v3, 0x487ffff
	v_lshrrev_b32_e32 v3, 20, v3
	s_or_saveexec_b32 s55, vcc_lo
                                        ; implicit-def: $vcc_lo
	s_delay_alu instid0(SALU_CYCLE_1)
	s_xor_b32 exec_lo, exec_lo, s55
	s_cbranch_execz .LBB47_6762
.LBB47_7487:
	v_add_f32_e64 v3, 0x46000000, |v15|
	s_and_not1_b32 s54, s54, exec_lo
	s_delay_alu instid0(VALU_DEP_1) | instskip(NEXT) | instid1(VALU_DEP_1)
	v_and_b32_e32 v3, 0xff, v3
	v_cmp_ne_u32_e32 vcc_lo, 0, v3
	s_and_b32 s56, vcc_lo, exec_lo
	s_mov_b32 vcc_lo, 0
	s_or_b32 s54, s54, s56
	s_or_b32 exec_lo, exec_lo, s55
	v_mov_b32_e32 v4, vcc_lo
	s_and_saveexec_b32 vcc_lo, s54
	s_cbranch_execnz .LBB47_6763
	s_branch .LBB47_6764
.LBB47_7488:
	s_mov_b32 s61, s57
	s_mov_b32 s62, exec_lo
	v_cmpx_lt_i16_e32 25, v3
	s_xor_b32 s62, exec_lo, s62
	s_cbranch_execz .LBB47_7524
; %bb.7489:
	s_mov_b32 s63, s57
	s_mov_b32 s61, exec_lo
	v_cmpx_lt_i16_e32 28, v3
	s_xor_b32 s61, exec_lo, s61
	s_cbranch_execz .LBB47_7507
; %bb.7490:
	;; [unrolled: 6-line block ×3, first 2 shown]
	s_mov_b32 s64, 0
	s_mov_b32 s65, s57
	s_mov_b32 s0, exec_lo
	v_cmpx_lt_i16_e32 45, v3
	s_xor_b32 s0, exec_lo, s0
	s_cbranch_execz .LBB47_7495
; %bb.7492:
	s_mov_b32 s66, -1
	s_mov_b32 s65, exec_lo
	v_cmpx_eq_u16_e32 46, v3
	s_cbranch_execz .LBB47_7494
; %bb.7493:
	v_bfe_u32 v3, v9, 16, 1
	v_cmp_o_f32_e32 vcc_lo, v9, v9
	s_mov_b32 s64, exec_lo
	s_xor_b32 s66, exec_lo, -1
	s_delay_alu instid0(VALU_DEP_2) | instskip(NEXT) | instid1(VALU_DEP_1)
	v_add3_u32 v3, v9, v3, 0x7fff
	v_lshrrev_b32_e32 v3, 16, v3
	s_delay_alu instid0(VALU_DEP_1)
	v_cndmask_b32_e32 v3, 0x7fc0, v3, vcc_lo
	flat_store_b32 v[1:2], v3
.LBB47_7494:
	s_or_b32 exec_lo, exec_lo, s65
	s_delay_alu instid0(SALU_CYCLE_1)
	s_and_not1_b32 vcc_lo, s57, exec_lo
	s_and_b32 s65, s66, exec_lo
	s_and_b32 s64, s64, exec_lo
	s_or_b32 s65, vcc_lo, s65
                                        ; implicit-def: $vgpr3
                                        ; implicit-def: $vgpr1_vgpr2
                                        ; implicit-def: $vgpr9
.LBB47_7495:
	s_and_not1_saveexec_b32 s66, s0
	s_cbranch_execz .LBB47_7501
; %bb.7496:
	s_mov_b32 s68, -1
	s_mov_b32 s0, s64
	s_mov_b32 s67, exec_lo
	v_cmpx_eq_u16_e32 44, v3
	s_cbranch_execz .LBB47_7500
; %bb.7497:
	v_bfe_u32 v4, v9, 23, 8
	v_mov_b32_e32 v3, 0xff
	s_mov_b32 s68, exec_lo
	s_delay_alu instid0(VALU_DEP_2)
	v_cmpx_ne_u32_e32 0xff, v4
; %bb.7498:
	v_and_b32_e32 v3, 0x400000, v9
	v_and_or_b32 v4, 0x3fffff, v9, v4
	s_delay_alu instid0(VALU_DEP_2) | instskip(NEXT) | instid1(VALU_DEP_2)
	v_cmp_ne_u32_e32 vcc_lo, 0, v3
	v_cmp_ne_u32_e64 s0, 0, v4
	v_lshrrev_b32_e32 v3, 23, v9
	s_delay_alu instid0(VALU_DEP_2) | instskip(NEXT) | instid1(SALU_CYCLE_1)
	s_and_b32 s0, vcc_lo, s0
	v_cndmask_b32_e64 v4, 0, 1, s0
	s_delay_alu instid0(VALU_DEP_1)
	v_add_nc_u32_e32 v3, v3, v4
; %bb.7499:
	s_or_b32 exec_lo, exec_lo, s68
	s_delay_alu instid0(SALU_CYCLE_1)
	s_xor_b32 s68, exec_lo, -1
	s_or_b32 s0, s64, exec_lo
	flat_store_b8 v[1:2], v3
.LBB47_7500:
	s_or_b32 exec_lo, exec_lo, s67
	s_delay_alu instid0(SALU_CYCLE_1)
	s_and_not1_b32 vcc_lo, s65, exec_lo
	s_and_b32 s65, s68, exec_lo
	s_and_not1_b32 s64, s64, exec_lo
	s_and_b32 s0, s0, exec_lo
	s_or_b32 s65, vcc_lo, s65
	s_or_b32 s64, s64, s0
.LBB47_7501:
	s_or_b32 exec_lo, exec_lo, s66
	s_delay_alu instid0(SALU_CYCLE_1) | instskip(SKIP_1) | instid1(SALU_CYCLE_1)
	s_and_not1_b32 s0, s57, exec_lo
	s_and_b32 vcc_lo, s65, exec_lo
                                        ; implicit-def: $vgpr3
                                        ; implicit-def: $vgpr9
                                        ; implicit-def: $vgpr1_vgpr2
	s_or_b32 s65, s0, vcc_lo
	s_and_b32 s0, s64, exec_lo
.LBB47_7502:
	s_and_not1_saveexec_b32 s63, s63
	s_cbranch_execz .LBB47_7506
; %bb.7503:
	s_mov_b32 s67, -1
	s_mov_b32 s66, s0
	s_mov_b32 s64, exec_lo
	v_cmpx_eq_u16_e32 29, v3
	s_cbranch_execz .LBB47_7505
; %bb.7504:
	v_trunc_f32_e32 v3, v9
	s_xor_b32 s67, exec_lo, -1
	s_or_b32 s66, s0, exec_lo
	s_delay_alu instid0(VALU_DEP_1) | instskip(NEXT) | instid1(VALU_DEP_1)
	v_mul_f32_e32 v4, 0x2f800000, v3
	v_floor_f32_e32 v4, v4
	s_delay_alu instid0(VALU_DEP_1) | instskip(SKIP_1) | instid1(VALU_DEP_2)
	v_fmamk_f32 v3, v4, 0xcf800000, v3
	v_cvt_u32_f32_e32 v4, v4
	v_cvt_u32_f32_e32 v3, v3
	flat_store_b64 v[1:2], v[3:4]
.LBB47_7505:
	s_or_b32 exec_lo, exec_lo, s64
	s_delay_alu instid0(SALU_CYCLE_1)
	s_and_not1_b32 vcc_lo, s65, exec_lo
	s_and_b32 s64, s67, exec_lo
	s_and_not1_b32 s0, s0, exec_lo
	s_and_b32 s66, s66, exec_lo
	s_or_b32 s65, vcc_lo, s64
	s_or_b32 s0, s0, s66
.LBB47_7506:
	s_or_b32 exec_lo, exec_lo, s63
	s_delay_alu instid0(SALU_CYCLE_1)
	s_and_not1_b32 vcc_lo, s57, exec_lo
	s_and_b32 s63, s65, exec_lo
	s_and_b32 s0, s0, exec_lo
	s_or_b32 s63, vcc_lo, s63
                                        ; implicit-def: $vgpr1_vgpr2
                                        ; implicit-def: $vgpr3
                                        ; implicit-def: $vgpr9
.LBB47_7507:
	s_and_not1_saveexec_b32 s61, s61
	s_cbranch_execz .LBB47_7523
; %bb.7508:
	s_mov_b32 s64, exec_lo
	v_cmpx_lt_i16_e32 26, v3
	s_xor_b32 s64, exec_lo, s64
	s_cbranch_execz .LBB47_7514
; %bb.7509:
	v_cmp_lt_i16_e32 vcc_lo, 27, v3
	v_cvt_u32_f32_e32 v3, v9
	s_and_saveexec_b32 s65, vcc_lo
	s_delay_alu instid0(SALU_CYCLE_1)
	s_xor_b32 vcc_lo, exec_lo, s65
	s_cbranch_execz .LBB47_7511
; %bb.7510:
	flat_store_b32 v[1:2], v3
                                        ; implicit-def: $vgpr1_vgpr2
                                        ; implicit-def: $vgpr3
.LBB47_7511:
	s_and_not1_saveexec_b32 vcc_lo, vcc_lo
	s_cbranch_execz .LBB47_7513
; %bb.7512:
	flat_store_b16 v[1:2], v3
.LBB47_7513:
	s_or_b32 exec_lo, exec_lo, vcc_lo
                                        ; implicit-def: $vgpr1_vgpr2
                                        ; implicit-def: $vgpr9
.LBB47_7514:
	s_and_not1_saveexec_b32 s64, s64
	s_cbranch_execz .LBB47_7522
; %bb.7515:
	v_and_b32_e32 v3, 0x7fffffff, v9
	v_mov_b32_e32 v4, 0x80
	s_mov_b32 s65, exec_lo
	s_delay_alu instid0(VALU_DEP_2)
	v_cmpx_gt_u32_e32 0x43800000, v3
	s_cbranch_execz .LBB47_7521
; %bb.7516:
	v_cmp_lt_u32_e32 vcc_lo, 0x3bffffff, v3
	s_mov_b32 s66, 0
                                        ; implicit-def: $vgpr3
	s_and_saveexec_b32 s67, vcc_lo
	s_delay_alu instid0(SALU_CYCLE_1)
	s_xor_b32 vcc_lo, exec_lo, s67
	s_cbranch_execnz .LBB47_7998
; %bb.7517:
	s_or_saveexec_b32 s67, vcc_lo
                                        ; implicit-def: $vcc_lo
	s_delay_alu instid0(SALU_CYCLE_1)
	s_xor_b32 exec_lo, exec_lo, s67
	s_cbranch_execnz .LBB47_7999
.LBB47_7518:
	s_or_b32 exec_lo, exec_lo, s67
	v_mov_b32_e32 v4, vcc_lo
	s_and_saveexec_b32 vcc_lo, s66
.LBB47_7519:
	v_lshrrev_b32_e32 v4, 24, v9
	s_delay_alu instid0(VALU_DEP_1)
	v_and_or_b32 v4, 0x80, v4, v3
.LBB47_7520:
	s_or_b32 exec_lo, exec_lo, vcc_lo
.LBB47_7521:
	s_delay_alu instid0(SALU_CYCLE_1)
	s_or_b32 exec_lo, exec_lo, s65
	flat_store_b8 v[1:2], v4
.LBB47_7522:
	s_or_b32 exec_lo, exec_lo, s64
	s_delay_alu instid0(SALU_CYCLE_1)
	s_or_b32 s0, s0, exec_lo
.LBB47_7523:
	s_or_b32 exec_lo, exec_lo, s61
	s_delay_alu instid0(SALU_CYCLE_1)
	s_and_not1_b32 vcc_lo, s57, exec_lo
	s_and_b32 s61, s63, exec_lo
	s_and_b32 s0, s0, exec_lo
	s_or_b32 s61, vcc_lo, s61
                                        ; implicit-def: $vgpr3
                                        ; implicit-def: $vgpr9
                                        ; implicit-def: $vgpr1_vgpr2
.LBB47_7524:
	s_and_not1_saveexec_b32 s62, s62
	s_cbranch_execz .LBB47_7568
; %bb.7525:
	s_mov_b32 s64, s0
	s_mov_b32 s63, exec_lo
	v_cmpx_lt_i16_e32 22, v3
	s_xor_b32 s63, exec_lo, s63
	s_cbranch_execz .LBB47_7557
; %bb.7526:
	s_mov_b32 s64, exec_lo
	v_cmpx_lt_i16_e32 23, v3
	s_xor_b32 s64, exec_lo, s64
	s_cbranch_execz .LBB47_7546
; %bb.7527:
	;; [unrolled: 5-line block ×3, first 2 shown]
	v_and_b32_e32 v3, 0x7fffffff, v9
	v_mov_b32_e32 v4, 0x80
	s_mov_b32 s66, exec_lo
	s_delay_alu instid0(VALU_DEP_2)
	v_cmpx_gt_u32_e32 0x47800000, v3
	s_cbranch_execz .LBB47_7534
; %bb.7529:
	v_cmp_lt_u32_e32 vcc_lo, 0x37ffffff, v3
	s_mov_b32 s67, 0
                                        ; implicit-def: $vgpr3
	s_and_saveexec_b32 s68, vcc_lo
	s_delay_alu instid0(SALU_CYCLE_1)
	s_xor_b32 vcc_lo, exec_lo, s68
	s_cbranch_execnz .LBB47_8000
; %bb.7530:
	s_or_saveexec_b32 s68, vcc_lo
                                        ; implicit-def: $vcc_lo
	s_delay_alu instid0(SALU_CYCLE_1)
	s_xor_b32 exec_lo, exec_lo, s68
	s_cbranch_execnz .LBB47_8001
.LBB47_7531:
	s_or_b32 exec_lo, exec_lo, s68
	v_mov_b32_e32 v4, vcc_lo
	s_and_saveexec_b32 vcc_lo, s67
.LBB47_7532:
	v_lshrrev_b32_e32 v4, 24, v9
	s_delay_alu instid0(VALU_DEP_1)
	v_and_or_b32 v4, 0x80, v4, v3
.LBB47_7533:
	s_or_b32 exec_lo, exec_lo, vcc_lo
.LBB47_7534:
	s_delay_alu instid0(SALU_CYCLE_1)
	s_or_b32 exec_lo, exec_lo, s66
	flat_store_b8 v[1:2], v4
                                        ; implicit-def: $vgpr9
                                        ; implicit-def: $vgpr1_vgpr2
.LBB47_7535:
	s_and_not1_saveexec_b32 s65, s65
	s_cbranch_execz .LBB47_7545
; %bb.7536:
	v_and_b32_e32 v4, 0x7fffffff, v9
	s_mov_b32 s66, exec_lo
                                        ; implicit-def: $vgpr3
	s_delay_alu instid0(VALU_DEP_1)
	v_cmpx_gt_u32_e32 0x43f00000, v4
	s_xor_b32 s66, exec_lo, s66
	s_cbranch_execz .LBB47_7542
; %bb.7537:
	s_mov_b32 s67, exec_lo
                                        ; implicit-def: $vgpr3
	v_cmpx_lt_u32_e32 0x3c7fffff, v4
	s_xor_b32 s67, exec_lo, s67
; %bb.7538:
	v_bfe_u32 v3, v9, 20, 1
	s_delay_alu instid0(VALU_DEP_1) | instskip(NEXT) | instid1(VALU_DEP_1)
	v_add3_u32 v3, v9, v3, 0x407ffff
	v_and_b32_e32 v4, 0xff00000, v3
	v_lshrrev_b32_e32 v3, 20, v3
	s_delay_alu instid0(VALU_DEP_2) | instskip(NEXT) | instid1(VALU_DEP_2)
	v_cmp_ne_u32_e32 vcc_lo, 0x7f00000, v4
	v_cndmask_b32_e32 v3, 0x7e, v3, vcc_lo
; %bb.7539:
	s_and_not1_saveexec_b32 vcc_lo, s67
; %bb.7540:
	v_add_f32_e64 v3, 0x46800000, |v9|
; %bb.7541:
	s_or_b32 exec_lo, exec_lo, vcc_lo
                                        ; implicit-def: $vgpr4
.LBB47_7542:
	s_and_not1_saveexec_b32 s66, s66
; %bb.7543:
	v_mov_b32_e32 v3, 0x7f
	v_cmp_lt_u32_e32 vcc_lo, 0x7f800000, v4
	s_delay_alu instid0(VALU_DEP_2)
	v_cndmask_b32_e32 v3, 0x7e, v3, vcc_lo
; %bb.7544:
	s_or_b32 exec_lo, exec_lo, s66
	v_lshrrev_b32_e32 v4, 24, v9
	s_delay_alu instid0(VALU_DEP_1)
	v_and_or_b32 v3, 0x80, v4, v3
	flat_store_b8 v[1:2], v3
.LBB47_7545:
	s_or_b32 exec_lo, exec_lo, s65
                                        ; implicit-def: $vgpr9
                                        ; implicit-def: $vgpr1_vgpr2
.LBB47_7546:
	s_and_not1_saveexec_b32 s64, s64
	s_cbranch_execz .LBB47_7556
; %bb.7547:
	v_and_b32_e32 v4, 0x7fffffff, v9
	s_mov_b32 s65, exec_lo
                                        ; implicit-def: $vgpr3
	s_delay_alu instid0(VALU_DEP_1)
	v_cmpx_gt_u32_e32 0x47800000, v4
	s_xor_b32 s65, exec_lo, s65
	s_cbranch_execz .LBB47_7553
; %bb.7548:
	v_cmp_lt_u32_e32 vcc_lo, 0x387fffff, v4
                                        ; implicit-def: $vgpr3
	s_and_saveexec_b32 s66, vcc_lo
	s_delay_alu instid0(SALU_CYCLE_1)
	s_xor_b32 vcc_lo, exec_lo, s66
; %bb.7549:
	v_bfe_u32 v3, v9, 21, 1
	s_delay_alu instid0(VALU_DEP_1) | instskip(NEXT) | instid1(VALU_DEP_1)
	v_add3_u32 v3, v9, v3, 0x80fffff
	v_lshrrev_b32_e32 v3, 21, v3
; %bb.7550:
	s_and_not1_saveexec_b32 vcc_lo, vcc_lo
; %bb.7551:
	v_add_f32_e64 v3, 0x43000000, |v9|
; %bb.7552:
	s_or_b32 exec_lo, exec_lo, vcc_lo
                                        ; implicit-def: $vgpr4
.LBB47_7553:
	s_and_not1_saveexec_b32 s65, s65
; %bb.7554:
	v_mov_b32_e32 v3, 0x7f
	v_cmp_lt_u32_e32 vcc_lo, 0x7f800000, v4
	s_delay_alu instid0(VALU_DEP_2)
	v_cndmask_b32_e32 v3, 0x7c, v3, vcc_lo
; %bb.7555:
	s_or_b32 exec_lo, exec_lo, s65
	v_lshrrev_b32_e32 v4, 24, v9
	s_delay_alu instid0(VALU_DEP_1)
	v_and_or_b32 v3, 0x80, v4, v3
	flat_store_b8 v[1:2], v3
.LBB47_7556:
	s_or_b32 exec_lo, exec_lo, s64
	s_delay_alu instid0(SALU_CYCLE_1)
	s_or_b32 s64, s0, exec_lo
                                        ; implicit-def: $vgpr3
                                        ; implicit-def: $vgpr9
                                        ; implicit-def: $vgpr1_vgpr2
.LBB47_7557:
	s_or_saveexec_b32 s63, s63
	s_mov_b32 vcc_lo, s61
	s_xor_b32 exec_lo, exec_lo, s63
	s_cbranch_execz .LBB47_7567
; %bb.7558:
	s_mov_b32 s65, s64
	s_mov_b32 s66, s61
	s_mov_b32 s67, exec_lo
	v_cmpx_lt_i16_e32 14, v3
	s_xor_b32 s67, exec_lo, s67
	s_cbranch_execz .LBB47_7562
; %bb.7559:
	s_mov_b32 s68, -1
	s_mov_b32 s65, s64
	s_mov_b32 s66, exec_lo
	v_cmpx_eq_u16_e32 15, v3
	s_cbranch_execz .LBB47_7561
; %bb.7560:
	v_bfe_u32 v3, v9, 16, 1
	v_cmp_o_f32_e32 vcc_lo, v9, v9
	s_xor_b32 s68, exec_lo, -1
	s_or_b32 s65, s64, exec_lo
	s_delay_alu instid0(VALU_DEP_2) | instskip(NEXT) | instid1(VALU_DEP_1)
	v_add3_u32 v3, v9, v3, 0x7fff
	v_lshrrev_b32_e32 v3, 16, v3
	s_delay_alu instid0(VALU_DEP_1)
	v_cndmask_b32_e32 v3, 0x7fc0, v3, vcc_lo
	flat_store_b16 v[1:2], v3
.LBB47_7561:
	s_or_b32 exec_lo, exec_lo, s66
	s_delay_alu instid0(SALU_CYCLE_1)
	s_and_not1_b32 vcc_lo, s61, exec_lo
	s_and_b32 s66, s68, exec_lo
	s_and_not1_b32 s68, s64, exec_lo
	s_and_b32 s65, s65, exec_lo
	s_or_b32 s66, vcc_lo, s66
	s_or_b32 s65, s68, s65
                                        ; implicit-def: $vgpr3
                                        ; implicit-def: $vgpr9
                                        ; implicit-def: $vgpr1_vgpr2
.LBB47_7562:
	s_and_not1_saveexec_b32 s67, s67
	s_cbranch_execz .LBB47_7566
; %bb.7563:
	s_mov_b32 s69, -1
	s_mov_b32 s68, s65
	s_mov_b32 s70, exec_lo
	v_cmpx_eq_u16_e32 11, v3
	s_cbranch_execz .LBB47_7565
; %bb.7564:
	v_cmp_neq_f32_e32 vcc_lo, 0, v9
	s_xor_b32 s69, exec_lo, -1
	s_or_b32 s68, s65, exec_lo
	v_cndmask_b32_e64 v3, 0, 1, vcc_lo
	flat_store_b8 v[1:2], v3
.LBB47_7565:
	s_or_b32 exec_lo, exec_lo, s70
	s_delay_alu instid0(SALU_CYCLE_1)
	s_and_not1_b32 vcc_lo, s66, exec_lo
	s_and_b32 s66, s69, exec_lo
	s_and_not1_b32 s65, s65, exec_lo
	s_and_b32 s68, s68, exec_lo
	s_or_b32 s66, vcc_lo, s66
	s_or_b32 s65, s65, s68
.LBB47_7566:
	s_or_b32 exec_lo, exec_lo, s67
	s_delay_alu instid0(SALU_CYCLE_1)
	s_and_not1_b32 vcc_lo, s61, exec_lo
	s_and_b32 s66, s66, exec_lo
	s_and_not1_b32 s64, s64, exec_lo
	s_and_b32 s65, s65, exec_lo
	s_or_b32 vcc_lo, vcc_lo, s66
	s_or_b32 s64, s64, s65
.LBB47_7567:
	s_or_b32 exec_lo, exec_lo, s63
	s_delay_alu instid0(SALU_CYCLE_1)
	s_and_not1_b32 s61, s61, exec_lo
	s_and_b32 vcc_lo, vcc_lo, exec_lo
	s_and_not1_b32 s0, s0, exec_lo
	s_and_b32 s63, s64, exec_lo
	s_or_b32 s61, s61, vcc_lo
	s_or_b32 s0, s0, s63
.LBB47_7568:
	s_or_b32 exec_lo, exec_lo, s62
	s_delay_alu instid0(SALU_CYCLE_1)
	s_and_not1_b32 vcc_lo, s57, exec_lo
	s_and_b32 s61, s61, exec_lo
	s_and_b32 s0, s0, exec_lo
	s_or_b32 s61, vcc_lo, s61
                                        ; implicit-def: $vgpr3
                                        ; implicit-def: $vgpr9
                                        ; implicit-def: $vgpr1_vgpr2
	s_and_not1_saveexec_b32 s59, s59
	s_cbranch_execz .LBB47_4028
.LBB47_7569:
	s_mov_b32 s62, exec_lo
	v_cmpx_lt_i16_e32 4, v3
	s_xor_b32 s62, exec_lo, s62
	s_cbranch_execz .LBB47_7591
; %bb.7570:
	s_mov_b32 s63, exec_lo
	v_cmpx_lt_i16_e32 7, v3
	s_xor_b32 s63, exec_lo, s63
	s_cbranch_execz .LBB47_7580
; %bb.7571:
	;; [unrolled: 5-line block ×3, first 2 shown]
	v_cmp_lt_i16_e32 vcc_lo, 9, v3
	s_and_saveexec_b32 s65, vcc_lo
	s_delay_alu instid0(SALU_CYCLE_1)
	s_xor_b32 vcc_lo, exec_lo, s65
	s_cbranch_execz .LBB47_7574
; %bb.7573:
	v_cvt_f64_f32_e32 v[13:14], v9
	s_waitcnt vmcnt(0) lgkmcnt(0)
	v_mov_b32_e32 v15, 0
                                        ; implicit-def: $vgpr9
	s_delay_alu instid0(VALU_DEP_1)
	v_mov_b32_e32 v16, v15
	flat_store_b128 v[1:2], v[13:16]
                                        ; implicit-def: $vgpr1_vgpr2
.LBB47_7574:
	s_and_not1_saveexec_b32 vcc_lo, vcc_lo
	s_cbranch_execz .LBB47_7576
; %bb.7575:
	v_mov_b32_e32 v10, 0
	flat_store_b64 v[1:2], v[9:10]
.LBB47_7576:
	s_or_b32 exec_lo, exec_lo, vcc_lo
                                        ; implicit-def: $vgpr9
                                        ; implicit-def: $vgpr1_vgpr2
.LBB47_7577:
	s_and_not1_saveexec_b32 vcc_lo, s64
	s_cbranch_execz .LBB47_7579
; %bb.7578:
	v_cvt_f16_f32_e32 v3, v9
	s_delay_alu instid0(VALU_DEP_1)
	v_and_b32_e32 v3, 0xffff, v3
	flat_store_b32 v[1:2], v3
.LBB47_7579:
	s_or_b32 exec_lo, exec_lo, vcc_lo
                                        ; implicit-def: $vgpr9
                                        ; implicit-def: $vgpr1_vgpr2
                                        ; implicit-def: $vgpr3
.LBB47_7580:
	s_and_not1_saveexec_b32 s63, s63
	s_cbranch_execz .LBB47_7590
; %bb.7581:
	s_mov_b32 s64, exec_lo
	v_cmpx_lt_i16_e32 5, v3
	s_xor_b32 s64, exec_lo, s64
	s_cbranch_execz .LBB47_7587
; %bb.7582:
	v_cmp_lt_i16_e32 vcc_lo, 6, v3
	s_and_saveexec_b32 s65, vcc_lo
	s_delay_alu instid0(SALU_CYCLE_1)
	s_xor_b32 vcc_lo, exec_lo, s65
	s_cbranch_execz .LBB47_7584
; %bb.7583:
	v_cvt_f64_f32_e32 v[3:4], v9
                                        ; implicit-def: $vgpr9
	flat_store_b64 v[1:2], v[3:4]
                                        ; implicit-def: $vgpr1_vgpr2
.LBB47_7584:
	s_and_not1_saveexec_b32 vcc_lo, vcc_lo
	s_cbranch_execz .LBB47_7586
; %bb.7585:
	flat_store_b32 v[1:2], v9
.LBB47_7586:
	s_or_b32 exec_lo, exec_lo, vcc_lo
                                        ; implicit-def: $vgpr9
                                        ; implicit-def: $vgpr1_vgpr2
.LBB47_7587:
	s_and_not1_saveexec_b32 vcc_lo, s64
	s_cbranch_execz .LBB47_7589
; %bb.7588:
	v_cvt_f16_f32_e32 v3, v9
	flat_store_b16 v[1:2], v3
.LBB47_7589:
	s_or_b32 exec_lo, exec_lo, vcc_lo
.LBB47_7590:
	s_delay_alu instid0(SALU_CYCLE_1)
	s_or_b32 exec_lo, exec_lo, s63
                                        ; implicit-def: $vgpr3
                                        ; implicit-def: $vgpr9
                                        ; implicit-def: $vgpr1_vgpr2
.LBB47_7591:
	s_and_not1_saveexec_b32 s62, s62
	s_cbranch_execz .LBB47_7609
; %bb.7592:
	s_mov_b32 s63, exec_lo
	v_cmpx_lt_i16_e32 1, v3
	s_xor_b32 s63, exec_lo, s63
	s_cbranch_execz .LBB47_7602
; %bb.7593:
	s_mov_b32 s64, exec_lo
	v_cmpx_lt_i16_e32 2, v3
	s_xor_b32 s64, exec_lo, s64
	;; [unrolled: 5-line block ×3, first 2 shown]
	s_cbranch_execz .LBB47_7596
; %bb.7595:
	v_trunc_f32_e32 v3, v9
	s_delay_alu instid0(VALU_DEP_1) | instskip(SKIP_1) | instid1(VALU_DEP_2)
	v_mul_f32_e64 v4, 0x2f800000, |v3|
	v_ashrrev_i32_e32 v9, 31, v3
	v_floor_f32_e32 v4, v4
	s_delay_alu instid0(VALU_DEP_1) | instskip(SKIP_1) | instid1(VALU_DEP_2)
	v_fma_f32 v5, 0xcf800000, v4, |v3|
	v_cvt_u32_f32_e32 v4, v4
	v_cvt_u32_f32_e32 v3, v5
	s_delay_alu instid0(VALU_DEP_2) | instskip(NEXT) | instid1(VALU_DEP_2)
	v_xor_b32_e32 v4, v4, v9
	v_xor_b32_e32 v3, v3, v9
	s_delay_alu instid0(VALU_DEP_1) | instskip(NEXT) | instid1(VALU_DEP_3)
	v_sub_co_u32 v3, vcc_lo, v3, v9
	v_sub_co_ci_u32_e32 v4, vcc_lo, v4, v9, vcc_lo
                                        ; implicit-def: $vgpr9
	flat_store_b64 v[1:2], v[3:4]
                                        ; implicit-def: $vgpr1_vgpr2
.LBB47_7596:
	s_and_not1_saveexec_b32 vcc_lo, s65
	s_cbranch_execz .LBB47_7598
; %bb.7597:
	v_cvt_i32_f32_e32 v3, v9
	flat_store_b32 v[1:2], v3
.LBB47_7598:
	s_or_b32 exec_lo, exec_lo, vcc_lo
                                        ; implicit-def: $vgpr9
                                        ; implicit-def: $vgpr1_vgpr2
.LBB47_7599:
	s_and_not1_saveexec_b32 vcc_lo, s64
	s_cbranch_execz .LBB47_7601
; %bb.7600:
	v_cvt_i32_f32_e32 v3, v9
	flat_store_b16 v[1:2], v3
.LBB47_7601:
	s_or_b32 exec_lo, exec_lo, vcc_lo
                                        ; implicit-def: $vgpr9
                                        ; implicit-def: $vgpr1_vgpr2
                                        ; implicit-def: $vgpr3
.LBB47_7602:
	s_and_not1_saveexec_b32 s63, s63
	s_cbranch_execz .LBB47_7608
; %bb.7603:
	v_cmp_lt_i16_e32 vcc_lo, 0, v3
	s_and_saveexec_b32 s64, vcc_lo
	s_delay_alu instid0(SALU_CYCLE_1)
	s_xor_b32 vcc_lo, exec_lo, s64
	s_cbranch_execz .LBB47_7605
; %bb.7604:
	v_cvt_i32_f32_e32 v3, v9
                                        ; implicit-def: $vgpr9
	flat_store_b8 v[1:2], v3
                                        ; implicit-def: $vgpr1_vgpr2
.LBB47_7605:
	s_and_not1_saveexec_b32 vcc_lo, vcc_lo
	s_cbranch_execz .LBB47_7607
; %bb.7606:
	v_trunc_f32_e32 v3, v9
	s_delay_alu instid0(VALU_DEP_1) | instskip(NEXT) | instid1(VALU_DEP_1)
	v_mul_f32_e64 v4, 0x2f800000, |v3|
	v_floor_f32_e32 v4, v4
	s_delay_alu instid0(VALU_DEP_1) | instskip(SKIP_1) | instid1(VALU_DEP_2)
	v_fma_f32 v4, 0xcf800000, v4, |v3|
	v_ashrrev_i32_e32 v3, 31, v3
	v_cvt_u32_f32_e32 v4, v4
	s_delay_alu instid0(VALU_DEP_1) | instskip(NEXT) | instid1(VALU_DEP_1)
	v_xor_b32_e32 v4, v4, v3
	v_sub_nc_u32_e32 v3, v4, v3
	flat_store_b8 v[1:2], v3
.LBB47_7607:
	s_or_b32 exec_lo, exec_lo, vcc_lo
.LBB47_7608:
	s_delay_alu instid0(SALU_CYCLE_1)
	s_or_b32 exec_lo, exec_lo, s63
.LBB47_7609:
	s_delay_alu instid0(SALU_CYCLE_1) | instskip(NEXT) | instid1(SALU_CYCLE_1)
	s_or_b32 exec_lo, exec_lo, s62
	s_or_b32 s0, s0, exec_lo
	s_or_b32 exec_lo, exec_lo, s59
	s_mov_b32 vcc_lo, 0
	s_and_saveexec_b32 s59, s0
	s_cbranch_execnz .LBB47_4029
	s_branch .LBB47_4030
.LBB47_7610:
	v_bfe_u32 v3, v15, 21, 1
	s_mov_b32 s55, exec_lo
	s_delay_alu instid0(VALU_DEP_1) | instskip(NEXT) | instid1(VALU_DEP_1)
	v_add3_u32 v3, v15, v3, 0x88fffff
	v_lshrrev_b32_e32 v3, 21, v3
	s_or_saveexec_b32 s56, vcc_lo
                                        ; implicit-def: $vcc_lo
	s_delay_alu instid0(SALU_CYCLE_1)
	s_xor_b32 exec_lo, exec_lo, s56
	s_cbranch_execz .LBB47_6775
.LBB47_7611:
	v_add_f32_e64 v3, 0x42800000, |v15|
	s_and_not1_b32 s55, s55, exec_lo
	s_delay_alu instid0(VALU_DEP_1) | instskip(NEXT) | instid1(VALU_DEP_1)
	v_and_b32_e32 v3, 0xff, v3
	v_cmp_ne_u32_e32 vcc_lo, 0, v3
	s_and_b32 s57, vcc_lo, exec_lo
	s_mov_b32 vcc_lo, 0
	s_or_b32 s55, s55, s57
	s_or_b32 exec_lo, exec_lo, s56
	v_mov_b32_e32 v4, vcc_lo
	s_and_saveexec_b32 vcc_lo, s55
	s_cbranch_execnz .LBB47_6776
	s_branch .LBB47_6777
.LBB47_7612:
	v_bfe_u32 v3, v14, 20, 1
	s_mov_b32 s56, exec_lo
	s_delay_alu instid0(VALU_DEP_1) | instskip(NEXT) | instid1(VALU_DEP_1)
	v_add3_u32 v3, v14, v3, 0x487ffff
	v_lshrrev_b32_e32 v3, 20, v3
	s_or_saveexec_b32 s57, vcc_lo
                                        ; implicit-def: $vcc_lo
	s_delay_alu instid0(SALU_CYCLE_1)
	s_xor_b32 exec_lo, exec_lo, s57
	s_cbranch_execz .LBB47_6888
.LBB47_7613:
	v_add_f32_e64 v3, 0x46000000, |v14|
	s_and_not1_b32 s56, s56, exec_lo
	s_delay_alu instid0(VALU_DEP_1) | instskip(NEXT) | instid1(VALU_DEP_1)
	v_and_b32_e32 v3, 0xff, v3
	v_cmp_ne_u32_e32 vcc_lo, 0, v3
	s_and_b32 s58, vcc_lo, exec_lo
	s_mov_b32 vcc_lo, 0
	s_or_b32 s56, s56, s58
	s_or_b32 exec_lo, exec_lo, s57
	v_mov_b32_e32 v4, vcc_lo
	s_and_saveexec_b32 vcc_lo, s56
	s_cbranch_execnz .LBB47_6889
	s_branch .LBB47_6890
.LBB47_7614:
	s_mov_b32 s63, s59
	s_mov_b32 s64, exec_lo
	v_cmpx_lt_i16_e32 25, v3
	s_xor_b32 s64, exec_lo, s64
	s_cbranch_execz .LBB47_7650
; %bb.7615:
	s_mov_b32 s65, s59
	s_mov_b32 s63, exec_lo
	v_cmpx_lt_i16_e32 28, v3
	s_xor_b32 s63, exec_lo, s63
	s_cbranch_execz .LBB47_7633
; %bb.7616:
	;; [unrolled: 6-line block ×3, first 2 shown]
	s_mov_b32 s66, 0
	s_mov_b32 s67, s59
	s_mov_b32 s0, exec_lo
	v_cmpx_lt_i16_e32 45, v3
	s_xor_b32 s0, exec_lo, s0
	s_cbranch_execz .LBB47_7621
; %bb.7618:
	s_mov_b32 s68, -1
	s_mov_b32 s67, exec_lo
	v_cmpx_eq_u16_e32 46, v3
	s_cbranch_execz .LBB47_7620
; %bb.7619:
	v_bfe_u32 v3, v8, 16, 1
	v_cmp_o_f32_e32 vcc_lo, v8, v8
	s_mov_b32 s66, exec_lo
	s_xor_b32 s68, exec_lo, -1
	s_delay_alu instid0(VALU_DEP_2) | instskip(NEXT) | instid1(VALU_DEP_1)
	v_add3_u32 v3, v8, v3, 0x7fff
	v_lshrrev_b32_e32 v3, 16, v3
	s_delay_alu instid0(VALU_DEP_1)
	v_cndmask_b32_e32 v3, 0x7fc0, v3, vcc_lo
	flat_store_b32 v[1:2], v3
.LBB47_7620:
	s_or_b32 exec_lo, exec_lo, s67
	s_delay_alu instid0(SALU_CYCLE_1)
	s_and_not1_b32 vcc_lo, s59, exec_lo
	s_and_b32 s67, s68, exec_lo
	s_and_b32 s66, s66, exec_lo
	s_or_b32 s67, vcc_lo, s67
                                        ; implicit-def: $vgpr3
                                        ; implicit-def: $vgpr1_vgpr2
                                        ; implicit-def: $vgpr8
.LBB47_7621:
	s_and_not1_saveexec_b32 s68, s0
	s_cbranch_execz .LBB47_7627
; %bb.7622:
	s_mov_b32 s70, -1
	s_mov_b32 s0, s66
	s_mov_b32 s69, exec_lo
	v_cmpx_eq_u16_e32 44, v3
	s_cbranch_execz .LBB47_7626
; %bb.7623:
	v_bfe_u32 v4, v8, 23, 8
	v_mov_b32_e32 v3, 0xff
	s_mov_b32 s70, exec_lo
	s_delay_alu instid0(VALU_DEP_2)
	v_cmpx_ne_u32_e32 0xff, v4
; %bb.7624:
	v_and_b32_e32 v3, 0x400000, v8
	v_and_or_b32 v4, 0x3fffff, v8, v4
	s_delay_alu instid0(VALU_DEP_2) | instskip(NEXT) | instid1(VALU_DEP_2)
	v_cmp_ne_u32_e32 vcc_lo, 0, v3
	v_cmp_ne_u32_e64 s0, 0, v4
	v_lshrrev_b32_e32 v3, 23, v8
	s_delay_alu instid0(VALU_DEP_2) | instskip(NEXT) | instid1(SALU_CYCLE_1)
	s_and_b32 s0, vcc_lo, s0
	v_cndmask_b32_e64 v4, 0, 1, s0
	s_delay_alu instid0(VALU_DEP_1)
	v_add_nc_u32_e32 v3, v3, v4
; %bb.7625:
	s_or_b32 exec_lo, exec_lo, s70
	s_delay_alu instid0(SALU_CYCLE_1)
	s_xor_b32 s70, exec_lo, -1
	s_or_b32 s0, s66, exec_lo
	flat_store_b8 v[1:2], v3
.LBB47_7626:
	s_or_b32 exec_lo, exec_lo, s69
	s_delay_alu instid0(SALU_CYCLE_1)
	s_and_not1_b32 vcc_lo, s67, exec_lo
	s_and_b32 s67, s70, exec_lo
	s_and_not1_b32 s66, s66, exec_lo
	s_and_b32 s0, s0, exec_lo
	s_or_b32 s67, vcc_lo, s67
	s_or_b32 s66, s66, s0
.LBB47_7627:
	s_or_b32 exec_lo, exec_lo, s68
	s_delay_alu instid0(SALU_CYCLE_1) | instskip(SKIP_1) | instid1(SALU_CYCLE_1)
	s_and_not1_b32 s0, s59, exec_lo
	s_and_b32 vcc_lo, s67, exec_lo
                                        ; implicit-def: $vgpr3
                                        ; implicit-def: $vgpr8
                                        ; implicit-def: $vgpr1_vgpr2
	s_or_b32 s67, s0, vcc_lo
	s_and_b32 s0, s66, exec_lo
.LBB47_7628:
	s_and_not1_saveexec_b32 s65, s65
	s_cbranch_execz .LBB47_7632
; %bb.7629:
	s_mov_b32 s69, -1
	s_mov_b32 s68, s0
	s_mov_b32 s66, exec_lo
	v_cmpx_eq_u16_e32 29, v3
	s_cbranch_execz .LBB47_7631
; %bb.7630:
	v_trunc_f32_e32 v3, v8
	s_xor_b32 s69, exec_lo, -1
	s_or_b32 s68, s0, exec_lo
	s_delay_alu instid0(VALU_DEP_1) | instskip(NEXT) | instid1(VALU_DEP_1)
	v_mul_f32_e32 v4, 0x2f800000, v3
	v_floor_f32_e32 v4, v4
	s_delay_alu instid0(VALU_DEP_1) | instskip(SKIP_1) | instid1(VALU_DEP_2)
	v_fmamk_f32 v3, v4, 0xcf800000, v3
	v_cvt_u32_f32_e32 v4, v4
	v_cvt_u32_f32_e32 v3, v3
	flat_store_b64 v[1:2], v[3:4]
.LBB47_7631:
	s_or_b32 exec_lo, exec_lo, s66
	s_delay_alu instid0(SALU_CYCLE_1)
	s_and_not1_b32 vcc_lo, s67, exec_lo
	s_and_b32 s66, s69, exec_lo
	s_and_not1_b32 s0, s0, exec_lo
	s_and_b32 s68, s68, exec_lo
	s_or_b32 s67, vcc_lo, s66
	s_or_b32 s0, s0, s68
.LBB47_7632:
	s_or_b32 exec_lo, exec_lo, s65
	s_delay_alu instid0(SALU_CYCLE_1)
	s_and_not1_b32 vcc_lo, s59, exec_lo
	s_and_b32 s65, s67, exec_lo
	s_and_b32 s0, s0, exec_lo
	s_or_b32 s65, vcc_lo, s65
                                        ; implicit-def: $vgpr1_vgpr2
                                        ; implicit-def: $vgpr3
                                        ; implicit-def: $vgpr8
.LBB47_7633:
	s_and_not1_saveexec_b32 s63, s63
	s_cbranch_execz .LBB47_7649
; %bb.7634:
	s_mov_b32 s66, exec_lo
	v_cmpx_lt_i16_e32 26, v3
	s_xor_b32 s66, exec_lo, s66
	s_cbranch_execz .LBB47_7640
; %bb.7635:
	v_cmp_lt_i16_e32 vcc_lo, 27, v3
	s_and_saveexec_b32 s67, vcc_lo
	s_delay_alu instid0(SALU_CYCLE_1)
	s_xor_b32 vcc_lo, exec_lo, s67
	s_cbranch_execz .LBB47_7637
; %bb.7636:
	v_cvt_u32_f32_e32 v3, v8
                                        ; implicit-def: $vgpr8
	flat_store_b32 v[1:2], v3
                                        ; implicit-def: $vgpr1_vgpr2
.LBB47_7637:
	s_and_not1_saveexec_b32 vcc_lo, vcc_lo
	s_cbranch_execz .LBB47_7639
; %bb.7638:
	v_cvt_u32_f32_e32 v3, v8
	flat_store_b16 v[1:2], v3
.LBB47_7639:
	s_or_b32 exec_lo, exec_lo, vcc_lo
                                        ; implicit-def: $vgpr1_vgpr2
                                        ; implicit-def: $vgpr8
.LBB47_7640:
	s_and_not1_saveexec_b32 s66, s66
	s_cbranch_execz .LBB47_7648
; %bb.7641:
	v_and_b32_e32 v3, 0x7fffffff, v8
	v_mov_b32_e32 v4, 0x80
	s_mov_b32 s67, exec_lo
	s_delay_alu instid0(VALU_DEP_2)
	v_cmpx_gt_u32_e32 0x43800000, v3
	s_cbranch_execz .LBB47_7647
; %bb.7642:
	v_cmp_lt_u32_e32 vcc_lo, 0x3bffffff, v3
	s_mov_b32 s68, 0
                                        ; implicit-def: $vgpr3
	s_and_saveexec_b32 s69, vcc_lo
	s_delay_alu instid0(SALU_CYCLE_1)
	s_xor_b32 vcc_lo, exec_lo, s69
	s_cbranch_execnz .LBB47_8002
; %bb.7643:
	s_or_saveexec_b32 s69, vcc_lo
                                        ; implicit-def: $vcc_lo
	s_delay_alu instid0(SALU_CYCLE_1)
	s_xor_b32 exec_lo, exec_lo, s69
	s_cbranch_execnz .LBB47_8003
.LBB47_7644:
	s_or_b32 exec_lo, exec_lo, s69
	v_mov_b32_e32 v4, vcc_lo
	s_and_saveexec_b32 vcc_lo, s68
.LBB47_7645:
	v_lshrrev_b32_e32 v4, 24, v8
	s_delay_alu instid0(VALU_DEP_1)
	v_and_or_b32 v4, 0x80, v4, v3
.LBB47_7646:
	s_or_b32 exec_lo, exec_lo, vcc_lo
.LBB47_7647:
	s_delay_alu instid0(SALU_CYCLE_1)
	s_or_b32 exec_lo, exec_lo, s67
	flat_store_b8 v[1:2], v4
.LBB47_7648:
	s_or_b32 exec_lo, exec_lo, s66
	s_delay_alu instid0(SALU_CYCLE_1)
	s_or_b32 s0, s0, exec_lo
.LBB47_7649:
	s_or_b32 exec_lo, exec_lo, s63
	s_delay_alu instid0(SALU_CYCLE_1)
	s_and_not1_b32 vcc_lo, s59, exec_lo
	s_and_b32 s63, s65, exec_lo
	s_and_b32 s0, s0, exec_lo
	s_or_b32 s63, vcc_lo, s63
                                        ; implicit-def: $vgpr3
                                        ; implicit-def: $vgpr8
                                        ; implicit-def: $vgpr1_vgpr2
.LBB47_7650:
	s_and_not1_saveexec_b32 s64, s64
	s_cbranch_execz .LBB47_7694
; %bb.7651:
	s_mov_b32 s66, s0
	s_mov_b32 s65, exec_lo
	v_cmpx_lt_i16_e32 22, v3
	s_xor_b32 s65, exec_lo, s65
	s_cbranch_execz .LBB47_7683
; %bb.7652:
	s_mov_b32 s66, exec_lo
	v_cmpx_lt_i16_e32 23, v3
	s_xor_b32 s66, exec_lo, s66
	s_cbranch_execz .LBB47_7672
; %bb.7653:
	;; [unrolled: 5-line block ×3, first 2 shown]
	v_and_b32_e32 v3, 0x7fffffff, v8
	v_mov_b32_e32 v4, 0x80
	s_mov_b32 s68, exec_lo
	s_delay_alu instid0(VALU_DEP_2)
	v_cmpx_gt_u32_e32 0x47800000, v3
	s_cbranch_execz .LBB47_7660
; %bb.7655:
	v_cmp_lt_u32_e32 vcc_lo, 0x37ffffff, v3
	s_mov_b32 s69, 0
                                        ; implicit-def: $vgpr3
	s_and_saveexec_b32 s70, vcc_lo
	s_delay_alu instid0(SALU_CYCLE_1)
	s_xor_b32 vcc_lo, exec_lo, s70
	s_cbranch_execnz .LBB47_8004
; %bb.7656:
	s_or_saveexec_b32 s70, vcc_lo
                                        ; implicit-def: $vcc_lo
	s_delay_alu instid0(SALU_CYCLE_1)
	s_xor_b32 exec_lo, exec_lo, s70
	s_cbranch_execnz .LBB47_8005
.LBB47_7657:
	s_or_b32 exec_lo, exec_lo, s70
	v_mov_b32_e32 v4, vcc_lo
	s_and_saveexec_b32 vcc_lo, s69
.LBB47_7658:
	v_lshrrev_b32_e32 v4, 24, v8
	s_delay_alu instid0(VALU_DEP_1)
	v_and_or_b32 v4, 0x80, v4, v3
.LBB47_7659:
	s_or_b32 exec_lo, exec_lo, vcc_lo
.LBB47_7660:
	s_delay_alu instid0(SALU_CYCLE_1)
	s_or_b32 exec_lo, exec_lo, s68
	flat_store_b8 v[1:2], v4
                                        ; implicit-def: $vgpr8
                                        ; implicit-def: $vgpr1_vgpr2
.LBB47_7661:
	s_and_not1_saveexec_b32 s67, s67
	s_cbranch_execz .LBB47_7671
; %bb.7662:
	v_and_b32_e32 v4, 0x7fffffff, v8
	s_mov_b32 s68, exec_lo
                                        ; implicit-def: $vgpr3
	s_delay_alu instid0(VALU_DEP_1)
	v_cmpx_gt_u32_e32 0x43f00000, v4
	s_xor_b32 s68, exec_lo, s68
	s_cbranch_execz .LBB47_7668
; %bb.7663:
	s_mov_b32 s69, exec_lo
                                        ; implicit-def: $vgpr3
	v_cmpx_lt_u32_e32 0x3c7fffff, v4
	s_xor_b32 s69, exec_lo, s69
; %bb.7664:
	v_bfe_u32 v3, v8, 20, 1
	s_delay_alu instid0(VALU_DEP_1) | instskip(NEXT) | instid1(VALU_DEP_1)
	v_add3_u32 v3, v8, v3, 0x407ffff
	v_and_b32_e32 v4, 0xff00000, v3
	v_lshrrev_b32_e32 v3, 20, v3
	s_delay_alu instid0(VALU_DEP_2) | instskip(NEXT) | instid1(VALU_DEP_2)
	v_cmp_ne_u32_e32 vcc_lo, 0x7f00000, v4
	v_cndmask_b32_e32 v3, 0x7e, v3, vcc_lo
; %bb.7665:
	s_and_not1_saveexec_b32 vcc_lo, s69
; %bb.7666:
	v_add_f32_e64 v3, 0x46800000, |v8|
; %bb.7667:
	s_or_b32 exec_lo, exec_lo, vcc_lo
                                        ; implicit-def: $vgpr4
.LBB47_7668:
	s_and_not1_saveexec_b32 s68, s68
; %bb.7669:
	v_mov_b32_e32 v3, 0x7f
	v_cmp_lt_u32_e32 vcc_lo, 0x7f800000, v4
	s_delay_alu instid0(VALU_DEP_2)
	v_cndmask_b32_e32 v3, 0x7e, v3, vcc_lo
; %bb.7670:
	s_or_b32 exec_lo, exec_lo, s68
	v_lshrrev_b32_e32 v4, 24, v8
	s_delay_alu instid0(VALU_DEP_1)
	v_and_or_b32 v3, 0x80, v4, v3
	flat_store_b8 v[1:2], v3
.LBB47_7671:
	s_or_b32 exec_lo, exec_lo, s67
                                        ; implicit-def: $vgpr8
                                        ; implicit-def: $vgpr1_vgpr2
.LBB47_7672:
	s_and_not1_saveexec_b32 s66, s66
	s_cbranch_execz .LBB47_7682
; %bb.7673:
	v_and_b32_e32 v4, 0x7fffffff, v8
	s_mov_b32 s67, exec_lo
                                        ; implicit-def: $vgpr3
	s_delay_alu instid0(VALU_DEP_1)
	v_cmpx_gt_u32_e32 0x47800000, v4
	s_xor_b32 s67, exec_lo, s67
	s_cbranch_execz .LBB47_7679
; %bb.7674:
	v_cmp_lt_u32_e32 vcc_lo, 0x387fffff, v4
                                        ; implicit-def: $vgpr3
	s_and_saveexec_b32 s68, vcc_lo
	s_delay_alu instid0(SALU_CYCLE_1)
	s_xor_b32 vcc_lo, exec_lo, s68
; %bb.7675:
	v_bfe_u32 v3, v8, 21, 1
	s_delay_alu instid0(VALU_DEP_1) | instskip(NEXT) | instid1(VALU_DEP_1)
	v_add3_u32 v3, v8, v3, 0x80fffff
	v_lshrrev_b32_e32 v3, 21, v3
; %bb.7676:
	s_and_not1_saveexec_b32 vcc_lo, vcc_lo
; %bb.7677:
	v_add_f32_e64 v3, 0x43000000, |v8|
; %bb.7678:
	s_or_b32 exec_lo, exec_lo, vcc_lo
                                        ; implicit-def: $vgpr4
.LBB47_7679:
	s_and_not1_saveexec_b32 s67, s67
; %bb.7680:
	v_mov_b32_e32 v3, 0x7f
	v_cmp_lt_u32_e32 vcc_lo, 0x7f800000, v4
	s_delay_alu instid0(VALU_DEP_2)
	v_cndmask_b32_e32 v3, 0x7c, v3, vcc_lo
; %bb.7681:
	s_or_b32 exec_lo, exec_lo, s67
	v_lshrrev_b32_e32 v4, 24, v8
	s_delay_alu instid0(VALU_DEP_1)
	v_and_or_b32 v3, 0x80, v4, v3
	flat_store_b8 v[1:2], v3
.LBB47_7682:
	s_or_b32 exec_lo, exec_lo, s66
	s_delay_alu instid0(SALU_CYCLE_1)
	s_or_b32 s66, s0, exec_lo
                                        ; implicit-def: $vgpr3
                                        ; implicit-def: $vgpr8
                                        ; implicit-def: $vgpr1_vgpr2
.LBB47_7683:
	s_or_saveexec_b32 s65, s65
	s_mov_b32 vcc_lo, s63
	s_xor_b32 exec_lo, exec_lo, s65
	s_cbranch_execz .LBB47_7693
; %bb.7684:
	s_mov_b32 s67, s66
	s_mov_b32 s68, s63
	s_mov_b32 s69, exec_lo
	v_cmpx_lt_i16_e32 14, v3
	s_xor_b32 s69, exec_lo, s69
	s_cbranch_execz .LBB47_7688
; %bb.7685:
	s_mov_b32 s70, -1
	s_mov_b32 s67, s66
	s_mov_b32 s68, exec_lo
	v_cmpx_eq_u16_e32 15, v3
	s_cbranch_execz .LBB47_7687
; %bb.7686:
	v_bfe_u32 v3, v8, 16, 1
	v_cmp_o_f32_e32 vcc_lo, v8, v8
	s_xor_b32 s70, exec_lo, -1
	s_or_b32 s67, s66, exec_lo
	s_delay_alu instid0(VALU_DEP_2) | instskip(NEXT) | instid1(VALU_DEP_1)
	v_add3_u32 v3, v8, v3, 0x7fff
	v_lshrrev_b32_e32 v3, 16, v3
	s_delay_alu instid0(VALU_DEP_1)
	v_cndmask_b32_e32 v3, 0x7fc0, v3, vcc_lo
	flat_store_b16 v[1:2], v3
.LBB47_7687:
	s_or_b32 exec_lo, exec_lo, s68
	s_delay_alu instid0(SALU_CYCLE_1)
	s_and_not1_b32 vcc_lo, s63, exec_lo
	s_and_b32 s68, s70, exec_lo
	s_and_not1_b32 s70, s66, exec_lo
	s_and_b32 s67, s67, exec_lo
	s_or_b32 s68, vcc_lo, s68
	s_or_b32 s67, s70, s67
                                        ; implicit-def: $vgpr3
                                        ; implicit-def: $vgpr8
                                        ; implicit-def: $vgpr1_vgpr2
.LBB47_7688:
	s_and_not1_saveexec_b32 s69, s69
	s_cbranch_execz .LBB47_7692
; %bb.7689:
	s_mov_b32 s71, -1
	s_mov_b32 s70, s67
	s_mov_b32 s72, exec_lo
	v_cmpx_eq_u16_e32 11, v3
	s_cbranch_execz .LBB47_7691
; %bb.7690:
	v_cmp_neq_f32_e32 vcc_lo, 0, v8
	s_xor_b32 s71, exec_lo, -1
	s_or_b32 s70, s67, exec_lo
	v_cndmask_b32_e64 v3, 0, 1, vcc_lo
	flat_store_b8 v[1:2], v3
.LBB47_7691:
	s_or_b32 exec_lo, exec_lo, s72
	s_delay_alu instid0(SALU_CYCLE_1)
	s_and_not1_b32 vcc_lo, s68, exec_lo
	s_and_b32 s68, s71, exec_lo
	s_and_not1_b32 s67, s67, exec_lo
	s_and_b32 s70, s70, exec_lo
	s_or_b32 s68, vcc_lo, s68
	s_or_b32 s67, s67, s70
.LBB47_7692:
	s_or_b32 exec_lo, exec_lo, s69
	s_delay_alu instid0(SALU_CYCLE_1)
	s_and_not1_b32 vcc_lo, s63, exec_lo
	s_and_b32 s68, s68, exec_lo
	s_and_not1_b32 s66, s66, exec_lo
	s_and_b32 s67, s67, exec_lo
	s_or_b32 vcc_lo, vcc_lo, s68
	s_or_b32 s66, s66, s67
.LBB47_7693:
	s_or_b32 exec_lo, exec_lo, s65
	s_delay_alu instid0(SALU_CYCLE_1)
	s_and_not1_b32 s63, s63, exec_lo
	s_and_b32 vcc_lo, vcc_lo, exec_lo
	s_and_not1_b32 s0, s0, exec_lo
	s_and_b32 s65, s66, exec_lo
	s_or_b32 s63, s63, vcc_lo
	s_or_b32 s0, s0, s65
.LBB47_7694:
	s_or_b32 exec_lo, exec_lo, s64
	s_delay_alu instid0(SALU_CYCLE_1)
	s_and_not1_b32 vcc_lo, s59, exec_lo
	s_and_b32 s63, s63, exec_lo
	s_and_b32 s0, s0, exec_lo
	s_or_b32 s63, vcc_lo, s63
                                        ; implicit-def: $vgpr3
                                        ; implicit-def: $vgpr8
                                        ; implicit-def: $vgpr1_vgpr2
	s_and_not1_saveexec_b32 s61, s61
	s_cbranch_execz .LBB47_4035
.LBB47_7695:
	s_mov_b32 s64, exec_lo
	v_cmpx_lt_i16_e32 4, v3
	s_xor_b32 s64, exec_lo, s64
	s_cbranch_execz .LBB47_7717
; %bb.7696:
	s_mov_b32 s65, exec_lo
	v_cmpx_lt_i16_e32 7, v3
	s_xor_b32 s65, exec_lo, s65
	s_cbranch_execz .LBB47_7706
; %bb.7697:
	;; [unrolled: 5-line block ×3, first 2 shown]
	v_cmp_lt_i16_e32 vcc_lo, 9, v3
	s_and_saveexec_b32 s67, vcc_lo
	s_delay_alu instid0(SALU_CYCLE_1)
	s_xor_b32 vcc_lo, exec_lo, s67
	s_cbranch_execz .LBB47_7700
; %bb.7699:
	v_cvt_f64_f32_e32 v[13:14], v8
	s_waitcnt vmcnt(0) lgkmcnt(0)
	v_mov_b32_e32 v15, 0
                                        ; implicit-def: $vgpr8
	s_delay_alu instid0(VALU_DEP_1)
	v_mov_b32_e32 v16, v15
	flat_store_b128 v[1:2], v[13:16]
                                        ; implicit-def: $vgpr1_vgpr2
.LBB47_7700:
	s_and_not1_saveexec_b32 vcc_lo, vcc_lo
	s_cbranch_execz .LBB47_7702
; %bb.7701:
	v_mov_b32_e32 v9, 0
	flat_store_b64 v[1:2], v[8:9]
.LBB47_7702:
	s_or_b32 exec_lo, exec_lo, vcc_lo
                                        ; implicit-def: $vgpr8
                                        ; implicit-def: $vgpr1_vgpr2
.LBB47_7703:
	s_and_not1_saveexec_b32 vcc_lo, s66
	s_cbranch_execz .LBB47_7705
; %bb.7704:
	v_cvt_f16_f32_e32 v3, v8
	s_delay_alu instid0(VALU_DEP_1)
	v_and_b32_e32 v3, 0xffff, v3
	flat_store_b32 v[1:2], v3
.LBB47_7705:
	s_or_b32 exec_lo, exec_lo, vcc_lo
                                        ; implicit-def: $vgpr8
                                        ; implicit-def: $vgpr1_vgpr2
                                        ; implicit-def: $vgpr3
.LBB47_7706:
	s_and_not1_saveexec_b32 s65, s65
	s_cbranch_execz .LBB47_7716
; %bb.7707:
	s_mov_b32 s66, exec_lo
	v_cmpx_lt_i16_e32 5, v3
	s_xor_b32 s66, exec_lo, s66
	s_cbranch_execz .LBB47_7713
; %bb.7708:
	v_cmp_lt_i16_e32 vcc_lo, 6, v3
	s_and_saveexec_b32 s67, vcc_lo
	s_delay_alu instid0(SALU_CYCLE_1)
	s_xor_b32 vcc_lo, exec_lo, s67
	s_cbranch_execz .LBB47_7710
; %bb.7709:
	v_cvt_f64_f32_e32 v[3:4], v8
                                        ; implicit-def: $vgpr8
	flat_store_b64 v[1:2], v[3:4]
                                        ; implicit-def: $vgpr1_vgpr2
.LBB47_7710:
	s_and_not1_saveexec_b32 vcc_lo, vcc_lo
	s_cbranch_execz .LBB47_7712
; %bb.7711:
	flat_store_b32 v[1:2], v8
.LBB47_7712:
	s_or_b32 exec_lo, exec_lo, vcc_lo
                                        ; implicit-def: $vgpr8
                                        ; implicit-def: $vgpr1_vgpr2
.LBB47_7713:
	s_and_not1_saveexec_b32 vcc_lo, s66
	s_cbranch_execz .LBB47_7715
; %bb.7714:
	v_cvt_f16_f32_e32 v3, v8
	flat_store_b16 v[1:2], v3
.LBB47_7715:
	s_or_b32 exec_lo, exec_lo, vcc_lo
.LBB47_7716:
	s_delay_alu instid0(SALU_CYCLE_1)
	s_or_b32 exec_lo, exec_lo, s65
                                        ; implicit-def: $vgpr3
                                        ; implicit-def: $vgpr8
                                        ; implicit-def: $vgpr1_vgpr2
.LBB47_7717:
	s_and_not1_saveexec_b32 s64, s64
	s_cbranch_execz .LBB47_7735
; %bb.7718:
	s_mov_b32 s65, exec_lo
	v_cmpx_lt_i16_e32 1, v3
	s_xor_b32 s65, exec_lo, s65
	s_cbranch_execz .LBB47_7728
; %bb.7719:
	s_mov_b32 s66, exec_lo
	v_cmpx_lt_i16_e32 2, v3
	s_xor_b32 s66, exec_lo, s66
	;; [unrolled: 5-line block ×3, first 2 shown]
	s_cbranch_execz .LBB47_7722
; %bb.7721:
	v_trunc_f32_e32 v3, v8
	s_delay_alu instid0(VALU_DEP_1) | instskip(SKIP_1) | instid1(VALU_DEP_2)
	v_mul_f32_e64 v4, 0x2f800000, |v3|
	v_ashrrev_i32_e32 v8, 31, v3
	v_floor_f32_e32 v4, v4
	s_delay_alu instid0(VALU_DEP_1) | instskip(SKIP_1) | instid1(VALU_DEP_2)
	v_fma_f32 v5, 0xcf800000, v4, |v3|
	v_cvt_u32_f32_e32 v4, v4
	v_cvt_u32_f32_e32 v3, v5
	s_delay_alu instid0(VALU_DEP_2) | instskip(NEXT) | instid1(VALU_DEP_2)
	v_xor_b32_e32 v4, v4, v8
	v_xor_b32_e32 v3, v3, v8
	s_delay_alu instid0(VALU_DEP_1) | instskip(NEXT) | instid1(VALU_DEP_3)
	v_sub_co_u32 v3, vcc_lo, v3, v8
	v_sub_co_ci_u32_e32 v4, vcc_lo, v4, v8, vcc_lo
                                        ; implicit-def: $vgpr8
	flat_store_b64 v[1:2], v[3:4]
                                        ; implicit-def: $vgpr1_vgpr2
.LBB47_7722:
	s_and_not1_saveexec_b32 vcc_lo, s67
	s_cbranch_execz .LBB47_7724
; %bb.7723:
	v_cvt_i32_f32_e32 v3, v8
	flat_store_b32 v[1:2], v3
.LBB47_7724:
	s_or_b32 exec_lo, exec_lo, vcc_lo
                                        ; implicit-def: $vgpr8
                                        ; implicit-def: $vgpr1_vgpr2
.LBB47_7725:
	s_and_not1_saveexec_b32 vcc_lo, s66
	s_cbranch_execz .LBB47_7727
; %bb.7726:
	v_cvt_i32_f32_e32 v3, v8
	flat_store_b16 v[1:2], v3
.LBB47_7727:
	s_or_b32 exec_lo, exec_lo, vcc_lo
                                        ; implicit-def: $vgpr8
                                        ; implicit-def: $vgpr1_vgpr2
                                        ; implicit-def: $vgpr3
.LBB47_7728:
	s_and_not1_saveexec_b32 s65, s65
	s_cbranch_execz .LBB47_7734
; %bb.7729:
	v_cmp_lt_i16_e32 vcc_lo, 0, v3
	s_and_saveexec_b32 s66, vcc_lo
	s_delay_alu instid0(SALU_CYCLE_1)
	s_xor_b32 vcc_lo, exec_lo, s66
	s_cbranch_execz .LBB47_7731
; %bb.7730:
	v_cvt_i32_f32_e32 v3, v8
                                        ; implicit-def: $vgpr8
	flat_store_b8 v[1:2], v3
                                        ; implicit-def: $vgpr1_vgpr2
.LBB47_7731:
	s_and_not1_saveexec_b32 vcc_lo, vcc_lo
	s_cbranch_execz .LBB47_7733
; %bb.7732:
	v_trunc_f32_e32 v3, v8
	s_delay_alu instid0(VALU_DEP_1) | instskip(NEXT) | instid1(VALU_DEP_1)
	v_mul_f32_e64 v4, 0x2f800000, |v3|
	v_floor_f32_e32 v4, v4
	s_delay_alu instid0(VALU_DEP_1) | instskip(SKIP_1) | instid1(VALU_DEP_2)
	v_fma_f32 v4, 0xcf800000, v4, |v3|
	v_ashrrev_i32_e32 v3, 31, v3
	v_cvt_u32_f32_e32 v4, v4
	s_delay_alu instid0(VALU_DEP_1) | instskip(NEXT) | instid1(VALU_DEP_1)
	v_xor_b32_e32 v4, v4, v3
	v_sub_nc_u32_e32 v3, v4, v3
	flat_store_b8 v[1:2], v3
.LBB47_7733:
	s_or_b32 exec_lo, exec_lo, vcc_lo
.LBB47_7734:
	s_delay_alu instid0(SALU_CYCLE_1)
	s_or_b32 exec_lo, exec_lo, s65
.LBB47_7735:
	s_delay_alu instid0(SALU_CYCLE_1) | instskip(NEXT) | instid1(SALU_CYCLE_1)
	s_or_b32 exec_lo, exec_lo, s64
	s_or_b32 s0, s0, exec_lo
	s_or_b32 exec_lo, exec_lo, s61
	s_mov_b32 vcc_lo, 0
	s_and_saveexec_b32 s61, s0
	s_cbranch_execnz .LBB47_4036
	s_branch .LBB47_4037
.LBB47_7736:
	v_bfe_u32 v3, v14, 21, 1
	s_mov_b32 s57, exec_lo
	s_delay_alu instid0(VALU_DEP_1) | instskip(NEXT) | instid1(VALU_DEP_1)
	v_add3_u32 v3, v14, v3, 0x88fffff
	v_lshrrev_b32_e32 v3, 21, v3
	s_or_saveexec_b32 s58, vcc_lo
                                        ; implicit-def: $vcc_lo
	s_delay_alu instid0(SALU_CYCLE_1)
	s_xor_b32 exec_lo, exec_lo, s58
	s_cbranch_execz .LBB47_6901
.LBB47_7737:
	v_add_f32_e64 v3, 0x42800000, |v14|
	s_and_not1_b32 s57, s57, exec_lo
	s_delay_alu instid0(VALU_DEP_1) | instskip(NEXT) | instid1(VALU_DEP_1)
	v_and_b32_e32 v3, 0xff, v3
	v_cmp_ne_u32_e32 vcc_lo, 0, v3
	s_and_b32 s59, vcc_lo, exec_lo
	s_mov_b32 vcc_lo, 0
	s_or_b32 s57, s57, s59
	s_or_b32 exec_lo, exec_lo, s58
	v_mov_b32_e32 v4, vcc_lo
	s_and_saveexec_b32 vcc_lo, s57
	s_cbranch_execnz .LBB47_6902
	s_branch .LBB47_6903
.LBB47_7738:
	v_bfe_u32 v3, v13, 20, 1
	s_mov_b32 s58, exec_lo
	s_delay_alu instid0(VALU_DEP_1) | instskip(NEXT) | instid1(VALU_DEP_1)
	v_add3_u32 v3, v13, v3, 0x487ffff
	v_lshrrev_b32_e32 v3, 20, v3
	s_or_saveexec_b32 s59, vcc_lo
                                        ; implicit-def: $vcc_lo
	s_delay_alu instid0(SALU_CYCLE_1)
	s_xor_b32 exec_lo, exec_lo, s59
	s_cbranch_execz .LBB47_7014
.LBB47_7739:
	v_add_f32_e64 v3, 0x46000000, |v13|
	s_and_not1_b32 s58, s58, exec_lo
	s_delay_alu instid0(VALU_DEP_1) | instskip(NEXT) | instid1(VALU_DEP_1)
	v_and_b32_e32 v3, 0xff, v3
	v_cmp_ne_u32_e32 vcc_lo, 0, v3
	s_and_b32 s60, vcc_lo, exec_lo
	s_mov_b32 vcc_lo, 0
	s_or_b32 s58, s58, s60
	s_or_b32 exec_lo, exec_lo, s59
	v_mov_b32_e32 v4, vcc_lo
	s_and_saveexec_b32 vcc_lo, s58
	s_cbranch_execnz .LBB47_7015
	s_branch .LBB47_7016
.LBB47_7740:
	s_mov_b32 s65, s61
	s_mov_b32 s66, exec_lo
	v_cmpx_lt_i16_e32 25, v3
	s_xor_b32 s66, exec_lo, s66
	s_cbranch_execz .LBB47_7776
; %bb.7741:
	s_mov_b32 s67, s61
	s_mov_b32 s65, exec_lo
	v_cmpx_lt_i16_e32 28, v3
	s_xor_b32 s65, exec_lo, s65
	s_cbranch_execz .LBB47_7759
; %bb.7742:
	;; [unrolled: 6-line block ×3, first 2 shown]
	s_mov_b32 s68, 0
	s_mov_b32 s69, s61
	s_mov_b32 s0, exec_lo
	v_cmpx_lt_i16_e32 45, v3
	s_xor_b32 s0, exec_lo, s0
	s_cbranch_execz .LBB47_7747
; %bb.7744:
	s_mov_b32 s70, -1
	s_mov_b32 s69, exec_lo
	v_cmpx_eq_u16_e32 46, v3
	s_cbranch_execz .LBB47_7746
; %bb.7745:
	v_bfe_u32 v3, v7, 16, 1
	v_cmp_o_f32_e32 vcc_lo, v7, v7
	s_mov_b32 s68, exec_lo
	s_xor_b32 s70, exec_lo, -1
	s_delay_alu instid0(VALU_DEP_2) | instskip(NEXT) | instid1(VALU_DEP_1)
	v_add3_u32 v3, v7, v3, 0x7fff
	v_lshrrev_b32_e32 v3, 16, v3
	s_delay_alu instid0(VALU_DEP_1)
	v_cndmask_b32_e32 v3, 0x7fc0, v3, vcc_lo
	flat_store_b32 v[1:2], v3
.LBB47_7746:
	s_or_b32 exec_lo, exec_lo, s69
	s_delay_alu instid0(SALU_CYCLE_1)
	s_and_not1_b32 vcc_lo, s61, exec_lo
	s_and_b32 s69, s70, exec_lo
	s_and_b32 s68, s68, exec_lo
	s_or_b32 s69, vcc_lo, s69
                                        ; implicit-def: $vgpr3
                                        ; implicit-def: $vgpr1_vgpr2
                                        ; implicit-def: $vgpr7
.LBB47_7747:
	s_and_not1_saveexec_b32 s70, s0
	s_cbranch_execz .LBB47_7753
; %bb.7748:
	s_mov_b32 s72, -1
	s_mov_b32 s0, s68
	s_mov_b32 s71, exec_lo
	v_cmpx_eq_u16_e32 44, v3
	s_cbranch_execz .LBB47_7752
; %bb.7749:
	v_bfe_u32 v4, v7, 23, 8
	v_mov_b32_e32 v3, 0xff
	s_mov_b32 s72, exec_lo
	s_delay_alu instid0(VALU_DEP_2)
	v_cmpx_ne_u32_e32 0xff, v4
; %bb.7750:
	v_and_b32_e32 v3, 0x400000, v7
	v_and_or_b32 v4, 0x3fffff, v7, v4
	s_delay_alu instid0(VALU_DEP_2) | instskip(NEXT) | instid1(VALU_DEP_2)
	v_cmp_ne_u32_e32 vcc_lo, 0, v3
	v_cmp_ne_u32_e64 s0, 0, v4
	v_lshrrev_b32_e32 v3, 23, v7
	s_delay_alu instid0(VALU_DEP_2) | instskip(NEXT) | instid1(SALU_CYCLE_1)
	s_and_b32 s0, vcc_lo, s0
	v_cndmask_b32_e64 v4, 0, 1, s0
	s_delay_alu instid0(VALU_DEP_1)
	v_add_nc_u32_e32 v3, v3, v4
; %bb.7751:
	s_or_b32 exec_lo, exec_lo, s72
	s_delay_alu instid0(SALU_CYCLE_1)
	s_xor_b32 s72, exec_lo, -1
	s_or_b32 s0, s68, exec_lo
	flat_store_b8 v[1:2], v3
.LBB47_7752:
	s_or_b32 exec_lo, exec_lo, s71
	s_delay_alu instid0(SALU_CYCLE_1)
	s_and_not1_b32 vcc_lo, s69, exec_lo
	s_and_b32 s69, s72, exec_lo
	s_and_not1_b32 s68, s68, exec_lo
	s_and_b32 s0, s0, exec_lo
	s_or_b32 s69, vcc_lo, s69
	s_or_b32 s68, s68, s0
.LBB47_7753:
	s_or_b32 exec_lo, exec_lo, s70
	s_delay_alu instid0(SALU_CYCLE_1) | instskip(SKIP_1) | instid1(SALU_CYCLE_1)
	s_and_not1_b32 s0, s61, exec_lo
	s_and_b32 vcc_lo, s69, exec_lo
                                        ; implicit-def: $vgpr3
                                        ; implicit-def: $vgpr7
                                        ; implicit-def: $vgpr1_vgpr2
	s_or_b32 s69, s0, vcc_lo
	s_and_b32 s0, s68, exec_lo
.LBB47_7754:
	s_and_not1_saveexec_b32 s67, s67
	s_cbranch_execz .LBB47_7758
; %bb.7755:
	s_mov_b32 s71, -1
	s_mov_b32 s70, s0
	s_mov_b32 s68, exec_lo
	v_cmpx_eq_u16_e32 29, v3
	s_cbranch_execz .LBB47_7757
; %bb.7756:
	v_trunc_f32_e32 v3, v7
	s_xor_b32 s71, exec_lo, -1
	s_or_b32 s70, s0, exec_lo
	s_delay_alu instid0(VALU_DEP_1) | instskip(NEXT) | instid1(VALU_DEP_1)
	v_mul_f32_e32 v4, 0x2f800000, v3
	v_floor_f32_e32 v4, v4
	s_delay_alu instid0(VALU_DEP_1) | instskip(SKIP_1) | instid1(VALU_DEP_2)
	v_fmamk_f32 v3, v4, 0xcf800000, v3
	v_cvt_u32_f32_e32 v4, v4
	v_cvt_u32_f32_e32 v3, v3
	flat_store_b64 v[1:2], v[3:4]
.LBB47_7757:
	s_or_b32 exec_lo, exec_lo, s68
	s_delay_alu instid0(SALU_CYCLE_1)
	s_and_not1_b32 vcc_lo, s69, exec_lo
	s_and_b32 s68, s71, exec_lo
	s_and_not1_b32 s0, s0, exec_lo
	s_and_b32 s70, s70, exec_lo
	s_or_b32 s69, vcc_lo, s68
	s_or_b32 s0, s0, s70
.LBB47_7758:
	s_or_b32 exec_lo, exec_lo, s67
	s_delay_alu instid0(SALU_CYCLE_1)
	s_and_not1_b32 vcc_lo, s61, exec_lo
	s_and_b32 s67, s69, exec_lo
	s_and_b32 s0, s0, exec_lo
	s_or_b32 s67, vcc_lo, s67
                                        ; implicit-def: $vgpr1_vgpr2
                                        ; implicit-def: $vgpr3
                                        ; implicit-def: $vgpr7
.LBB47_7759:
	s_and_not1_saveexec_b32 s65, s65
	s_cbranch_execz .LBB47_7775
; %bb.7760:
	s_mov_b32 s68, exec_lo
	v_cmpx_lt_i16_e32 26, v3
	s_xor_b32 s68, exec_lo, s68
	s_cbranch_execz .LBB47_7766
; %bb.7761:
	v_cmp_lt_i16_e32 vcc_lo, 27, v3
	v_cvt_u32_f32_e32 v3, v7
	s_and_saveexec_b32 s69, vcc_lo
	s_delay_alu instid0(SALU_CYCLE_1)
	s_xor_b32 vcc_lo, exec_lo, s69
	s_cbranch_execz .LBB47_7763
; %bb.7762:
	flat_store_b32 v[1:2], v3
                                        ; implicit-def: $vgpr1_vgpr2
                                        ; implicit-def: $vgpr3
.LBB47_7763:
	s_and_not1_saveexec_b32 vcc_lo, vcc_lo
	s_cbranch_execz .LBB47_7765
; %bb.7764:
	flat_store_b16 v[1:2], v3
.LBB47_7765:
	s_or_b32 exec_lo, exec_lo, vcc_lo
                                        ; implicit-def: $vgpr1_vgpr2
                                        ; implicit-def: $vgpr7
.LBB47_7766:
	s_and_not1_saveexec_b32 s68, s68
	s_cbranch_execz .LBB47_7774
; %bb.7767:
	v_and_b32_e32 v3, 0x7fffffff, v7
	v_mov_b32_e32 v4, 0x80
	s_mov_b32 s69, exec_lo
	s_delay_alu instid0(VALU_DEP_2)
	v_cmpx_gt_u32_e32 0x43800000, v3
	s_cbranch_execz .LBB47_7773
; %bb.7768:
	v_cmp_lt_u32_e32 vcc_lo, 0x3bffffff, v3
	s_mov_b32 s70, 0
                                        ; implicit-def: $vgpr3
	s_and_saveexec_b32 s71, vcc_lo
	s_delay_alu instid0(SALU_CYCLE_1)
	s_xor_b32 vcc_lo, exec_lo, s71
	s_cbranch_execnz .LBB47_8006
; %bb.7769:
	s_or_saveexec_b32 s71, vcc_lo
                                        ; implicit-def: $vcc_lo
	s_delay_alu instid0(SALU_CYCLE_1)
	s_xor_b32 exec_lo, exec_lo, s71
	s_cbranch_execnz .LBB47_8007
.LBB47_7770:
	s_or_b32 exec_lo, exec_lo, s71
	v_mov_b32_e32 v4, vcc_lo
	s_and_saveexec_b32 vcc_lo, s70
.LBB47_7771:
	v_lshrrev_b32_e32 v4, 24, v7
	s_delay_alu instid0(VALU_DEP_1)
	v_and_or_b32 v4, 0x80, v4, v3
.LBB47_7772:
	s_or_b32 exec_lo, exec_lo, vcc_lo
.LBB47_7773:
	s_delay_alu instid0(SALU_CYCLE_1)
	s_or_b32 exec_lo, exec_lo, s69
	flat_store_b8 v[1:2], v4
.LBB47_7774:
	s_or_b32 exec_lo, exec_lo, s68
	s_delay_alu instid0(SALU_CYCLE_1)
	s_or_b32 s0, s0, exec_lo
.LBB47_7775:
	s_or_b32 exec_lo, exec_lo, s65
	s_delay_alu instid0(SALU_CYCLE_1)
	s_and_not1_b32 vcc_lo, s61, exec_lo
	s_and_b32 s65, s67, exec_lo
	s_and_b32 s0, s0, exec_lo
	s_or_b32 s65, vcc_lo, s65
                                        ; implicit-def: $vgpr3
                                        ; implicit-def: $vgpr7
                                        ; implicit-def: $vgpr1_vgpr2
.LBB47_7776:
	s_and_not1_saveexec_b32 s66, s66
	s_cbranch_execz .LBB47_7820
; %bb.7777:
	s_mov_b32 s68, s0
	s_mov_b32 s67, exec_lo
	v_cmpx_lt_i16_e32 22, v3
	s_xor_b32 s67, exec_lo, s67
	s_cbranch_execz .LBB47_7809
; %bb.7778:
	s_mov_b32 s68, exec_lo
	v_cmpx_lt_i16_e32 23, v3
	s_xor_b32 s68, exec_lo, s68
	s_cbranch_execz .LBB47_7798
; %bb.7779:
	;; [unrolled: 5-line block ×3, first 2 shown]
	v_and_b32_e32 v3, 0x7fffffff, v7
	v_mov_b32_e32 v4, 0x80
	s_mov_b32 s70, exec_lo
	s_delay_alu instid0(VALU_DEP_2)
	v_cmpx_gt_u32_e32 0x47800000, v3
	s_cbranch_execz .LBB47_7786
; %bb.7781:
	v_cmp_lt_u32_e32 vcc_lo, 0x37ffffff, v3
	s_mov_b32 s71, 0
                                        ; implicit-def: $vgpr3
	s_and_saveexec_b32 s72, vcc_lo
	s_delay_alu instid0(SALU_CYCLE_1)
	s_xor_b32 vcc_lo, exec_lo, s72
	s_cbranch_execnz .LBB47_8008
; %bb.7782:
	s_or_saveexec_b32 s72, vcc_lo
                                        ; implicit-def: $vcc_lo
	s_delay_alu instid0(SALU_CYCLE_1)
	s_xor_b32 exec_lo, exec_lo, s72
	s_cbranch_execnz .LBB47_8009
.LBB47_7783:
	s_or_b32 exec_lo, exec_lo, s72
	v_mov_b32_e32 v4, vcc_lo
	s_and_saveexec_b32 vcc_lo, s71
.LBB47_7784:
	v_lshrrev_b32_e32 v4, 24, v7
	s_delay_alu instid0(VALU_DEP_1)
	v_and_or_b32 v4, 0x80, v4, v3
.LBB47_7785:
	s_or_b32 exec_lo, exec_lo, vcc_lo
.LBB47_7786:
	s_delay_alu instid0(SALU_CYCLE_1)
	s_or_b32 exec_lo, exec_lo, s70
	flat_store_b8 v[1:2], v4
                                        ; implicit-def: $vgpr7
                                        ; implicit-def: $vgpr1_vgpr2
.LBB47_7787:
	s_and_not1_saveexec_b32 s69, s69
	s_cbranch_execz .LBB47_7797
; %bb.7788:
	v_and_b32_e32 v4, 0x7fffffff, v7
	s_mov_b32 s70, exec_lo
                                        ; implicit-def: $vgpr3
	s_delay_alu instid0(VALU_DEP_1)
	v_cmpx_gt_u32_e32 0x43f00000, v4
	s_xor_b32 s70, exec_lo, s70
	s_cbranch_execz .LBB47_7794
; %bb.7789:
	s_mov_b32 s71, exec_lo
                                        ; implicit-def: $vgpr3
	v_cmpx_lt_u32_e32 0x3c7fffff, v4
	s_xor_b32 s71, exec_lo, s71
; %bb.7790:
	v_bfe_u32 v3, v7, 20, 1
	s_delay_alu instid0(VALU_DEP_1) | instskip(NEXT) | instid1(VALU_DEP_1)
	v_add3_u32 v3, v7, v3, 0x407ffff
	v_and_b32_e32 v4, 0xff00000, v3
	v_lshrrev_b32_e32 v3, 20, v3
	s_delay_alu instid0(VALU_DEP_2) | instskip(NEXT) | instid1(VALU_DEP_2)
	v_cmp_ne_u32_e32 vcc_lo, 0x7f00000, v4
	v_cndmask_b32_e32 v3, 0x7e, v3, vcc_lo
; %bb.7791:
	s_and_not1_saveexec_b32 vcc_lo, s71
; %bb.7792:
	v_add_f32_e64 v3, 0x46800000, |v7|
; %bb.7793:
	s_or_b32 exec_lo, exec_lo, vcc_lo
                                        ; implicit-def: $vgpr4
.LBB47_7794:
	s_and_not1_saveexec_b32 s70, s70
; %bb.7795:
	v_mov_b32_e32 v3, 0x7f
	v_cmp_lt_u32_e32 vcc_lo, 0x7f800000, v4
	s_delay_alu instid0(VALU_DEP_2)
	v_cndmask_b32_e32 v3, 0x7e, v3, vcc_lo
; %bb.7796:
	s_or_b32 exec_lo, exec_lo, s70
	v_lshrrev_b32_e32 v4, 24, v7
	s_delay_alu instid0(VALU_DEP_1)
	v_and_or_b32 v3, 0x80, v4, v3
	flat_store_b8 v[1:2], v3
.LBB47_7797:
	s_or_b32 exec_lo, exec_lo, s69
                                        ; implicit-def: $vgpr7
                                        ; implicit-def: $vgpr1_vgpr2
.LBB47_7798:
	s_and_not1_saveexec_b32 s68, s68
	s_cbranch_execz .LBB47_7808
; %bb.7799:
	v_and_b32_e32 v4, 0x7fffffff, v7
	s_mov_b32 s69, exec_lo
                                        ; implicit-def: $vgpr3
	s_delay_alu instid0(VALU_DEP_1)
	v_cmpx_gt_u32_e32 0x47800000, v4
	s_xor_b32 s69, exec_lo, s69
	s_cbranch_execz .LBB47_7805
; %bb.7800:
	v_cmp_lt_u32_e32 vcc_lo, 0x387fffff, v4
                                        ; implicit-def: $vgpr3
	s_and_saveexec_b32 s70, vcc_lo
	s_delay_alu instid0(SALU_CYCLE_1)
	s_xor_b32 vcc_lo, exec_lo, s70
; %bb.7801:
	v_bfe_u32 v3, v7, 21, 1
	s_delay_alu instid0(VALU_DEP_1) | instskip(NEXT) | instid1(VALU_DEP_1)
	v_add3_u32 v3, v7, v3, 0x80fffff
	v_lshrrev_b32_e32 v3, 21, v3
; %bb.7802:
	s_and_not1_saveexec_b32 vcc_lo, vcc_lo
; %bb.7803:
	v_add_f32_e64 v3, 0x43000000, |v7|
; %bb.7804:
	s_or_b32 exec_lo, exec_lo, vcc_lo
                                        ; implicit-def: $vgpr4
.LBB47_7805:
	s_and_not1_saveexec_b32 s69, s69
; %bb.7806:
	v_mov_b32_e32 v3, 0x7f
	v_cmp_lt_u32_e32 vcc_lo, 0x7f800000, v4
	s_delay_alu instid0(VALU_DEP_2)
	v_cndmask_b32_e32 v3, 0x7c, v3, vcc_lo
; %bb.7807:
	s_or_b32 exec_lo, exec_lo, s69
	v_lshrrev_b32_e32 v4, 24, v7
	s_delay_alu instid0(VALU_DEP_1)
	v_and_or_b32 v3, 0x80, v4, v3
	flat_store_b8 v[1:2], v3
.LBB47_7808:
	s_or_b32 exec_lo, exec_lo, s68
	s_delay_alu instid0(SALU_CYCLE_1)
	s_or_b32 s68, s0, exec_lo
                                        ; implicit-def: $vgpr3
                                        ; implicit-def: $vgpr7
                                        ; implicit-def: $vgpr1_vgpr2
.LBB47_7809:
	s_or_saveexec_b32 s67, s67
	s_mov_b32 vcc_lo, s65
	s_xor_b32 exec_lo, exec_lo, s67
	s_cbranch_execz .LBB47_7819
; %bb.7810:
	s_mov_b32 s69, s68
	s_mov_b32 s70, s65
	s_mov_b32 s71, exec_lo
	v_cmpx_lt_i16_e32 14, v3
	s_xor_b32 s71, exec_lo, s71
	s_cbranch_execz .LBB47_7814
; %bb.7811:
	s_mov_b32 s72, -1
	s_mov_b32 s69, s68
	s_mov_b32 s70, exec_lo
	v_cmpx_eq_u16_e32 15, v3
	s_cbranch_execz .LBB47_7813
; %bb.7812:
	v_bfe_u32 v3, v7, 16, 1
	v_cmp_o_f32_e32 vcc_lo, v7, v7
	s_xor_b32 s72, exec_lo, -1
	s_or_b32 s69, s68, exec_lo
	s_delay_alu instid0(VALU_DEP_2) | instskip(NEXT) | instid1(VALU_DEP_1)
	v_add3_u32 v3, v7, v3, 0x7fff
	v_lshrrev_b32_e32 v3, 16, v3
	s_delay_alu instid0(VALU_DEP_1)
	v_cndmask_b32_e32 v3, 0x7fc0, v3, vcc_lo
	flat_store_b16 v[1:2], v3
.LBB47_7813:
	s_or_b32 exec_lo, exec_lo, s70
	s_delay_alu instid0(SALU_CYCLE_1)
	s_and_not1_b32 vcc_lo, s65, exec_lo
	s_and_b32 s70, s72, exec_lo
	s_and_not1_b32 s72, s68, exec_lo
	s_and_b32 s69, s69, exec_lo
	s_or_b32 s70, vcc_lo, s70
	s_or_b32 s69, s72, s69
                                        ; implicit-def: $vgpr3
                                        ; implicit-def: $vgpr7
                                        ; implicit-def: $vgpr1_vgpr2
.LBB47_7814:
	s_and_not1_saveexec_b32 s71, s71
	s_cbranch_execz .LBB47_7818
; %bb.7815:
	s_mov_b32 s73, -1
	s_mov_b32 s72, s69
	s_mov_b32 s74, exec_lo
	v_cmpx_eq_u16_e32 11, v3
	s_cbranch_execz .LBB47_7817
; %bb.7816:
	v_cmp_neq_f32_e32 vcc_lo, 0, v7
	s_xor_b32 s73, exec_lo, -1
	s_or_b32 s72, s69, exec_lo
	v_cndmask_b32_e64 v3, 0, 1, vcc_lo
	flat_store_b8 v[1:2], v3
.LBB47_7817:
	s_or_b32 exec_lo, exec_lo, s74
	s_delay_alu instid0(SALU_CYCLE_1)
	s_and_not1_b32 vcc_lo, s70, exec_lo
	s_and_b32 s70, s73, exec_lo
	s_and_not1_b32 s69, s69, exec_lo
	s_and_b32 s72, s72, exec_lo
	s_or_b32 s70, vcc_lo, s70
	s_or_b32 s69, s69, s72
.LBB47_7818:
	s_or_b32 exec_lo, exec_lo, s71
	s_delay_alu instid0(SALU_CYCLE_1)
	s_and_not1_b32 vcc_lo, s65, exec_lo
	s_and_b32 s70, s70, exec_lo
	s_and_not1_b32 s68, s68, exec_lo
	s_and_b32 s69, s69, exec_lo
	s_or_b32 vcc_lo, vcc_lo, s70
	s_or_b32 s68, s68, s69
.LBB47_7819:
	s_or_b32 exec_lo, exec_lo, s67
	s_delay_alu instid0(SALU_CYCLE_1)
	s_and_not1_b32 s65, s65, exec_lo
	s_and_b32 vcc_lo, vcc_lo, exec_lo
	s_and_not1_b32 s0, s0, exec_lo
	s_and_b32 s67, s68, exec_lo
	s_or_b32 s65, s65, vcc_lo
	s_or_b32 s0, s0, s67
.LBB47_7820:
	s_or_b32 exec_lo, exec_lo, s66
	s_delay_alu instid0(SALU_CYCLE_1)
	s_and_not1_b32 vcc_lo, s61, exec_lo
	s_and_b32 s65, s65, exec_lo
	s_and_b32 s0, s0, exec_lo
	s_or_b32 s65, vcc_lo, s65
                                        ; implicit-def: $vgpr3
                                        ; implicit-def: $vgpr7
                                        ; implicit-def: $vgpr1_vgpr2
	s_and_not1_saveexec_b32 s63, s63
	s_cbranch_execz .LBB47_4042
.LBB47_7821:
	s_mov_b32 s66, exec_lo
	v_cmpx_lt_i16_e32 4, v3
	s_xor_b32 s66, exec_lo, s66
	s_cbranch_execz .LBB47_7843
; %bb.7822:
	s_mov_b32 s67, exec_lo
	v_cmpx_lt_i16_e32 7, v3
	s_xor_b32 s67, exec_lo, s67
	s_cbranch_execz .LBB47_7832
; %bb.7823:
	;; [unrolled: 5-line block ×3, first 2 shown]
	v_cmp_lt_i16_e32 vcc_lo, 9, v3
	s_and_saveexec_b32 s69, vcc_lo
	s_delay_alu instid0(SALU_CYCLE_1)
	s_xor_b32 vcc_lo, exec_lo, s69
	s_cbranch_execz .LBB47_7826
; %bb.7825:
	v_cvt_f64_f32_e32 v[7:8], v7
	v_mov_b32_e32 v9, 0
	s_delay_alu instid0(VALU_DEP_1)
	v_mov_b32_e32 v10, v9
	flat_store_b128 v[1:2], v[7:10]
                                        ; implicit-def: $vgpr7
                                        ; implicit-def: $vgpr1_vgpr2
.LBB47_7826:
	s_and_not1_saveexec_b32 vcc_lo, vcc_lo
	s_cbranch_execz .LBB47_7828
; %bb.7827:
	v_mov_b32_e32 v8, 0
	flat_store_b64 v[1:2], v[7:8]
.LBB47_7828:
	s_or_b32 exec_lo, exec_lo, vcc_lo
                                        ; implicit-def: $vgpr7
                                        ; implicit-def: $vgpr1_vgpr2
.LBB47_7829:
	s_and_not1_saveexec_b32 vcc_lo, s68
	s_cbranch_execz .LBB47_7831
; %bb.7830:
	v_cvt_f16_f32_e32 v3, v7
	s_delay_alu instid0(VALU_DEP_1)
	v_and_b32_e32 v3, 0xffff, v3
	flat_store_b32 v[1:2], v3
.LBB47_7831:
	s_or_b32 exec_lo, exec_lo, vcc_lo
                                        ; implicit-def: $vgpr7
                                        ; implicit-def: $vgpr1_vgpr2
                                        ; implicit-def: $vgpr3
.LBB47_7832:
	s_and_not1_saveexec_b32 s67, s67
	s_cbranch_execz .LBB47_7842
; %bb.7833:
	s_mov_b32 s68, exec_lo
	v_cmpx_lt_i16_e32 5, v3
	s_xor_b32 s68, exec_lo, s68
	s_cbranch_execz .LBB47_7839
; %bb.7834:
	v_cmp_lt_i16_e32 vcc_lo, 6, v3
	s_and_saveexec_b32 s69, vcc_lo
	s_delay_alu instid0(SALU_CYCLE_1)
	s_xor_b32 vcc_lo, exec_lo, s69
	s_cbranch_execz .LBB47_7836
; %bb.7835:
	v_cvt_f64_f32_e32 v[3:4], v7
                                        ; implicit-def: $vgpr7
	flat_store_b64 v[1:2], v[3:4]
                                        ; implicit-def: $vgpr1_vgpr2
.LBB47_7836:
	s_and_not1_saveexec_b32 vcc_lo, vcc_lo
	s_cbranch_execz .LBB47_7838
; %bb.7837:
	flat_store_b32 v[1:2], v7
.LBB47_7838:
	s_or_b32 exec_lo, exec_lo, vcc_lo
                                        ; implicit-def: $vgpr7
                                        ; implicit-def: $vgpr1_vgpr2
.LBB47_7839:
	s_and_not1_saveexec_b32 vcc_lo, s68
	s_cbranch_execz .LBB47_7841
; %bb.7840:
	v_cvt_f16_f32_e32 v3, v7
	flat_store_b16 v[1:2], v3
.LBB47_7841:
	s_or_b32 exec_lo, exec_lo, vcc_lo
.LBB47_7842:
	s_delay_alu instid0(SALU_CYCLE_1)
	s_or_b32 exec_lo, exec_lo, s67
                                        ; implicit-def: $vgpr3
                                        ; implicit-def: $vgpr7
                                        ; implicit-def: $vgpr1_vgpr2
.LBB47_7843:
	s_and_not1_saveexec_b32 s66, s66
	s_cbranch_execz .LBB47_7861
; %bb.7844:
	s_mov_b32 s67, exec_lo
	v_cmpx_lt_i16_e32 1, v3
	s_xor_b32 s67, exec_lo, s67
	s_cbranch_execz .LBB47_7854
; %bb.7845:
	s_mov_b32 s68, exec_lo
	v_cmpx_lt_i16_e32 2, v3
	s_xor_b32 s68, exec_lo, s68
	;; [unrolled: 5-line block ×3, first 2 shown]
	s_cbranch_execz .LBB47_7848
; %bb.7847:
	v_trunc_f32_e32 v3, v7
	s_delay_alu instid0(VALU_DEP_1) | instskip(SKIP_1) | instid1(VALU_DEP_2)
	v_mul_f32_e64 v4, 0x2f800000, |v3|
	v_ashrrev_i32_e32 v7, 31, v3
	v_floor_f32_e32 v4, v4
	s_delay_alu instid0(VALU_DEP_1) | instskip(SKIP_1) | instid1(VALU_DEP_2)
	v_fma_f32 v5, 0xcf800000, v4, |v3|
	v_cvt_u32_f32_e32 v4, v4
	v_cvt_u32_f32_e32 v3, v5
	s_delay_alu instid0(VALU_DEP_2) | instskip(NEXT) | instid1(VALU_DEP_2)
	v_xor_b32_e32 v4, v4, v7
	v_xor_b32_e32 v3, v3, v7
	s_delay_alu instid0(VALU_DEP_1) | instskip(NEXT) | instid1(VALU_DEP_3)
	v_sub_co_u32 v3, vcc_lo, v3, v7
	v_sub_co_ci_u32_e32 v4, vcc_lo, v4, v7, vcc_lo
                                        ; implicit-def: $vgpr7
	flat_store_b64 v[1:2], v[3:4]
                                        ; implicit-def: $vgpr1_vgpr2
.LBB47_7848:
	s_and_not1_saveexec_b32 vcc_lo, s69
	s_cbranch_execz .LBB47_7850
; %bb.7849:
	v_cvt_i32_f32_e32 v3, v7
	flat_store_b32 v[1:2], v3
.LBB47_7850:
	s_or_b32 exec_lo, exec_lo, vcc_lo
                                        ; implicit-def: $vgpr7
                                        ; implicit-def: $vgpr1_vgpr2
.LBB47_7851:
	s_and_not1_saveexec_b32 vcc_lo, s68
	s_cbranch_execz .LBB47_7853
; %bb.7852:
	v_cvt_i32_f32_e32 v3, v7
	flat_store_b16 v[1:2], v3
.LBB47_7853:
	s_or_b32 exec_lo, exec_lo, vcc_lo
                                        ; implicit-def: $vgpr7
                                        ; implicit-def: $vgpr1_vgpr2
                                        ; implicit-def: $vgpr3
.LBB47_7854:
	s_and_not1_saveexec_b32 s67, s67
	s_cbranch_execz .LBB47_7860
; %bb.7855:
	v_cmp_lt_i16_e32 vcc_lo, 0, v3
	s_and_saveexec_b32 s68, vcc_lo
	s_delay_alu instid0(SALU_CYCLE_1)
	s_xor_b32 vcc_lo, exec_lo, s68
	s_cbranch_execz .LBB47_7857
; %bb.7856:
	v_cvt_i32_f32_e32 v3, v7
                                        ; implicit-def: $vgpr7
	flat_store_b8 v[1:2], v3
                                        ; implicit-def: $vgpr1_vgpr2
.LBB47_7857:
	s_and_not1_saveexec_b32 vcc_lo, vcc_lo
	s_cbranch_execz .LBB47_7859
; %bb.7858:
	v_trunc_f32_e32 v3, v7
	s_delay_alu instid0(VALU_DEP_1) | instskip(NEXT) | instid1(VALU_DEP_1)
	v_mul_f32_e64 v4, 0x2f800000, |v3|
	v_floor_f32_e32 v4, v4
	s_delay_alu instid0(VALU_DEP_1) | instskip(SKIP_1) | instid1(VALU_DEP_2)
	v_fma_f32 v4, 0xcf800000, v4, |v3|
	v_ashrrev_i32_e32 v3, 31, v3
	v_cvt_u32_f32_e32 v4, v4
	s_delay_alu instid0(VALU_DEP_1) | instskip(NEXT) | instid1(VALU_DEP_1)
	v_xor_b32_e32 v4, v4, v3
	v_sub_nc_u32_e32 v3, v4, v3
	flat_store_b8 v[1:2], v3
.LBB47_7859:
	s_or_b32 exec_lo, exec_lo, vcc_lo
.LBB47_7860:
	s_delay_alu instid0(SALU_CYCLE_1)
	s_or_b32 exec_lo, exec_lo, s67
.LBB47_7861:
	s_delay_alu instid0(SALU_CYCLE_1) | instskip(NEXT) | instid1(SALU_CYCLE_1)
	s_or_b32 exec_lo, exec_lo, s66
	s_or_b32 s0, s0, exec_lo
	s_or_b32 exec_lo, exec_lo, s63
	s_mov_b32 vcc_lo, 0
	s_and_saveexec_b32 s63, s0
	s_cbranch_execnz .LBB47_4043
	s_branch .LBB47_4044
.LBB47_7862:
	v_bfe_u32 v3, v13, 21, 1
	s_mov_b32 s59, exec_lo
	s_delay_alu instid0(VALU_DEP_1) | instskip(NEXT) | instid1(VALU_DEP_1)
	v_add3_u32 v3, v13, v3, 0x88fffff
	v_lshrrev_b32_e32 v3, 21, v3
	s_or_saveexec_b32 s60, vcc_lo
                                        ; implicit-def: $vcc_lo
	s_delay_alu instid0(SALU_CYCLE_1)
	s_xor_b32 exec_lo, exec_lo, s60
	s_cbranch_execz .LBB47_7027
.LBB47_7863:
	v_add_f32_e64 v3, 0x42800000, |v13|
	s_and_not1_b32 s59, s59, exec_lo
	s_delay_alu instid0(VALU_DEP_1) | instskip(NEXT) | instid1(VALU_DEP_1)
	v_and_b32_e32 v3, 0xff, v3
	v_cmp_ne_u32_e32 vcc_lo, 0, v3
	s_and_b32 s61, vcc_lo, exec_lo
	s_mov_b32 vcc_lo, 0
	s_or_b32 s59, s59, s61
	s_or_b32 exec_lo, exec_lo, s60
	v_mov_b32_e32 v4, vcc_lo
	s_and_saveexec_b32 vcc_lo, s59
	s_cbranch_execnz .LBB47_7028
	s_branch .LBB47_7029
.LBB47_7864:
	v_bfe_u32 v3, v49, 20, 1
	s_mov_b32 s60, exec_lo
	s_delay_alu instid0(VALU_DEP_1) | instskip(NEXT) | instid1(VALU_DEP_1)
	v_add3_u32 v3, v49, v3, 0x487ffff
	v_lshrrev_b32_e32 v3, 20, v3
	s_or_saveexec_b32 s61, vcc_lo
                                        ; implicit-def: $vcc_lo
	s_delay_alu instid0(SALU_CYCLE_1)
	s_xor_b32 exec_lo, exec_lo, s61
	s_cbranch_execz .LBB47_7140
.LBB47_7865:
	v_add_f32_e64 v3, 0x46000000, |v49|
	s_and_not1_b32 s60, s60, exec_lo
	s_delay_alu instid0(VALU_DEP_1) | instskip(NEXT) | instid1(VALU_DEP_1)
	v_and_b32_e32 v3, 0xff, v3
	v_cmp_ne_u32_e32 vcc_lo, 0, v3
	s_and_b32 s62, vcc_lo, exec_lo
	s_mov_b32 vcc_lo, 0
	s_or_b32 s60, s60, s62
	s_or_b32 exec_lo, exec_lo, s61
	v_mov_b32_e32 v4, vcc_lo
	s_and_saveexec_b32 vcc_lo, s60
	s_cbranch_execnz .LBB47_7141
	s_branch .LBB47_7142
.LBB47_7866:
	s_mov_b32 s67, s63
	s_mov_b32 s68, exec_lo
	v_cmpx_lt_i16_e32 25, v3
	s_xor_b32 s68, exec_lo, s68
	s_cbranch_execz .LBB47_7902
; %bb.7867:
	s_mov_b32 s69, s63
	s_mov_b32 s67, exec_lo
	v_cmpx_lt_i16_e32 28, v3
	s_xor_b32 s67, exec_lo, s67
	s_cbranch_execz .LBB47_7885
; %bb.7868:
	;; [unrolled: 6-line block ×3, first 2 shown]
	s_mov_b32 s70, 0
	s_mov_b32 s71, s63
	s_mov_b32 s0, exec_lo
	v_cmpx_lt_i16_e32 45, v3
	s_xor_b32 s0, exec_lo, s0
	s_cbranch_execz .LBB47_7873
; %bb.7870:
	s_mov_b32 s72, -1
	s_mov_b32 s71, exec_lo
	v_cmpx_eq_u16_e32 46, v3
	s_cbranch_execz .LBB47_7872
; %bb.7871:
	v_bfe_u32 v3, v53, 16, 1
	v_cmp_o_f32_e32 vcc_lo, v53, v53
	s_mov_b32 s70, exec_lo
	s_xor_b32 s72, exec_lo, -1
	s_delay_alu instid0(VALU_DEP_2) | instskip(NEXT) | instid1(VALU_DEP_1)
	v_add3_u32 v3, v53, v3, 0x7fff
	v_lshrrev_b32_e32 v3, 16, v3
	s_delay_alu instid0(VALU_DEP_1)
	v_cndmask_b32_e32 v3, 0x7fc0, v3, vcc_lo
	flat_store_b32 v[1:2], v3
.LBB47_7872:
	s_or_b32 exec_lo, exec_lo, s71
	s_delay_alu instid0(SALU_CYCLE_1)
	s_and_not1_b32 vcc_lo, s63, exec_lo
	s_and_b32 s71, s72, exec_lo
	s_and_b32 s70, s70, exec_lo
	s_or_b32 s71, vcc_lo, s71
                                        ; implicit-def: $vgpr3
                                        ; implicit-def: $vgpr1_vgpr2
                                        ; implicit-def: $vgpr53
.LBB47_7873:
	s_and_not1_saveexec_b32 s72, s0
	s_cbranch_execz .LBB47_7879
; %bb.7874:
	s_mov_b32 s74, -1
	s_mov_b32 s0, s70
	s_mov_b32 s73, exec_lo
	v_cmpx_eq_u16_e32 44, v3
	s_cbranch_execz .LBB47_7878
; %bb.7875:
	v_bfe_u32 v4, v53, 23, 8
	v_mov_b32_e32 v3, 0xff
	s_mov_b32 s74, exec_lo
	s_delay_alu instid0(VALU_DEP_2)
	v_cmpx_ne_u32_e32 0xff, v4
; %bb.7876:
	v_and_b32_e32 v3, 0x400000, v53
	v_and_or_b32 v4, 0x3fffff, v53, v4
	s_delay_alu instid0(VALU_DEP_2) | instskip(NEXT) | instid1(VALU_DEP_2)
	v_cmp_ne_u32_e32 vcc_lo, 0, v3
	v_cmp_ne_u32_e64 s0, 0, v4
	v_lshrrev_b32_e32 v3, 23, v53
	s_delay_alu instid0(VALU_DEP_2) | instskip(NEXT) | instid1(SALU_CYCLE_1)
	s_and_b32 s0, vcc_lo, s0
	v_cndmask_b32_e64 v4, 0, 1, s0
	s_delay_alu instid0(VALU_DEP_1)
	v_add_nc_u32_e32 v3, v3, v4
; %bb.7877:
	s_or_b32 exec_lo, exec_lo, s74
	s_delay_alu instid0(SALU_CYCLE_1)
	s_xor_b32 s74, exec_lo, -1
	s_or_b32 s0, s70, exec_lo
	flat_store_b8 v[1:2], v3
.LBB47_7878:
	s_or_b32 exec_lo, exec_lo, s73
	s_delay_alu instid0(SALU_CYCLE_1)
	s_and_not1_b32 vcc_lo, s71, exec_lo
	s_and_b32 s71, s74, exec_lo
	s_and_not1_b32 s70, s70, exec_lo
	s_and_b32 s0, s0, exec_lo
	s_or_b32 s71, vcc_lo, s71
	s_or_b32 s70, s70, s0
.LBB47_7879:
	s_or_b32 exec_lo, exec_lo, s72
	s_delay_alu instid0(SALU_CYCLE_1) | instskip(SKIP_1) | instid1(SALU_CYCLE_1)
	s_and_not1_b32 s0, s63, exec_lo
	s_and_b32 vcc_lo, s71, exec_lo
                                        ; implicit-def: $vgpr3
                                        ; implicit-def: $vgpr53
                                        ; implicit-def: $vgpr1_vgpr2
	s_or_b32 s71, s0, vcc_lo
	s_and_b32 s0, s70, exec_lo
.LBB47_7880:
	s_and_not1_saveexec_b32 s69, s69
	s_cbranch_execz .LBB47_7884
; %bb.7881:
	s_mov_b32 s73, -1
	s_mov_b32 s72, s0
	s_mov_b32 s70, exec_lo
	v_cmpx_eq_u16_e32 29, v3
	s_cbranch_execz .LBB47_7883
; %bb.7882:
	v_trunc_f32_e32 v3, v53
	s_xor_b32 s73, exec_lo, -1
	s_or_b32 s72, s0, exec_lo
	s_delay_alu instid0(VALU_DEP_1) | instskip(NEXT) | instid1(VALU_DEP_1)
	v_mul_f32_e32 v4, 0x2f800000, v3
	v_floor_f32_e32 v4, v4
	s_delay_alu instid0(VALU_DEP_1) | instskip(SKIP_1) | instid1(VALU_DEP_2)
	v_fmamk_f32 v3, v4, 0xcf800000, v3
	v_cvt_u32_f32_e32 v4, v4
	v_cvt_u32_f32_e32 v3, v3
	flat_store_b64 v[1:2], v[3:4]
.LBB47_7883:
	s_or_b32 exec_lo, exec_lo, s70
	s_delay_alu instid0(SALU_CYCLE_1)
	s_and_not1_b32 vcc_lo, s71, exec_lo
	s_and_b32 s70, s73, exec_lo
	s_and_not1_b32 s0, s0, exec_lo
	s_and_b32 s72, s72, exec_lo
	s_or_b32 s71, vcc_lo, s70
	s_or_b32 s0, s0, s72
.LBB47_7884:
	s_or_b32 exec_lo, exec_lo, s69
	s_delay_alu instid0(SALU_CYCLE_1)
	s_and_not1_b32 vcc_lo, s63, exec_lo
	s_and_b32 s69, s71, exec_lo
	s_and_b32 s0, s0, exec_lo
	s_or_b32 s69, vcc_lo, s69
                                        ; implicit-def: $vgpr1_vgpr2
                                        ; implicit-def: $vgpr3
                                        ; implicit-def: $vgpr53
.LBB47_7885:
	s_and_not1_saveexec_b32 s67, s67
	s_cbranch_execz .LBB47_7901
; %bb.7886:
	s_mov_b32 s70, exec_lo
	v_cmpx_lt_i16_e32 26, v3
	s_xor_b32 s70, exec_lo, s70
	s_cbranch_execz .LBB47_7892
; %bb.7887:
	v_cmp_lt_i16_e32 vcc_lo, 27, v3
	v_cvt_u32_f32_e32 v3, v53
	s_and_saveexec_b32 s71, vcc_lo
	s_delay_alu instid0(SALU_CYCLE_1)
	s_xor_b32 vcc_lo, exec_lo, s71
	s_cbranch_execz .LBB47_7889
; %bb.7888:
	flat_store_b32 v[1:2], v3
                                        ; implicit-def: $vgpr1_vgpr2
                                        ; implicit-def: $vgpr3
.LBB47_7889:
	s_and_not1_saveexec_b32 vcc_lo, vcc_lo
	s_cbranch_execz .LBB47_7891
; %bb.7890:
	flat_store_b16 v[1:2], v3
.LBB47_7891:
	s_or_b32 exec_lo, exec_lo, vcc_lo
                                        ; implicit-def: $vgpr1_vgpr2
                                        ; implicit-def: $vgpr53
.LBB47_7892:
	s_and_not1_saveexec_b32 s70, s70
	s_cbranch_execz .LBB47_7900
; %bb.7893:
	v_and_b32_e32 v3, 0x7fffffff, v53
	v_mov_b32_e32 v4, 0x80
	s_mov_b32 s71, exec_lo
	s_delay_alu instid0(VALU_DEP_2)
	v_cmpx_gt_u32_e32 0x43800000, v3
	s_cbranch_execz .LBB47_7899
; %bb.7894:
	v_cmp_lt_u32_e32 vcc_lo, 0x3bffffff, v3
	s_mov_b32 s72, 0
                                        ; implicit-def: $vgpr3
	s_and_saveexec_b32 s73, vcc_lo
	s_delay_alu instid0(SALU_CYCLE_1)
	s_xor_b32 vcc_lo, exec_lo, s73
	s_cbranch_execnz .LBB47_8010
; %bb.7895:
	s_or_saveexec_b32 s73, vcc_lo
                                        ; implicit-def: $vcc_lo
	s_delay_alu instid0(SALU_CYCLE_1)
	s_xor_b32 exec_lo, exec_lo, s73
	s_cbranch_execnz .LBB47_8011
.LBB47_7896:
	s_or_b32 exec_lo, exec_lo, s73
	v_mov_b32_e32 v4, vcc_lo
	s_and_saveexec_b32 vcc_lo, s72
.LBB47_7897:
	v_lshrrev_b32_e32 v4, 24, v53
	s_delay_alu instid0(VALU_DEP_1)
	v_and_or_b32 v4, 0x80, v4, v3
.LBB47_7898:
	s_or_b32 exec_lo, exec_lo, vcc_lo
.LBB47_7899:
	s_delay_alu instid0(SALU_CYCLE_1)
	s_or_b32 exec_lo, exec_lo, s71
	flat_store_b8 v[1:2], v4
.LBB47_7900:
	s_or_b32 exec_lo, exec_lo, s70
	s_delay_alu instid0(SALU_CYCLE_1)
	s_or_b32 s0, s0, exec_lo
.LBB47_7901:
	s_or_b32 exec_lo, exec_lo, s67
	s_delay_alu instid0(SALU_CYCLE_1)
	s_and_not1_b32 vcc_lo, s63, exec_lo
	s_and_b32 s67, s69, exec_lo
	s_and_b32 s0, s0, exec_lo
	s_or_b32 s67, vcc_lo, s67
                                        ; implicit-def: $vgpr3
                                        ; implicit-def: $vgpr53
                                        ; implicit-def: $vgpr1_vgpr2
.LBB47_7902:
	s_and_not1_saveexec_b32 s68, s68
	s_cbranch_execz .LBB47_7946
; %bb.7903:
	s_mov_b32 s70, s0
	s_mov_b32 s69, exec_lo
	v_cmpx_lt_i16_e32 22, v3
	s_xor_b32 s69, exec_lo, s69
	s_cbranch_execz .LBB47_7935
; %bb.7904:
	s_mov_b32 s70, exec_lo
	v_cmpx_lt_i16_e32 23, v3
	s_xor_b32 s70, exec_lo, s70
	s_cbranch_execz .LBB47_7924
; %bb.7905:
	;; [unrolled: 5-line block ×3, first 2 shown]
	v_and_b32_e32 v3, 0x7fffffff, v53
	v_mov_b32_e32 v4, 0x80
	s_mov_b32 s72, exec_lo
	s_delay_alu instid0(VALU_DEP_2)
	v_cmpx_gt_u32_e32 0x47800000, v3
	s_cbranch_execz .LBB47_7912
; %bb.7907:
	v_cmp_lt_u32_e32 vcc_lo, 0x37ffffff, v3
	s_mov_b32 s73, 0
                                        ; implicit-def: $vgpr3
	s_and_saveexec_b32 s74, vcc_lo
	s_delay_alu instid0(SALU_CYCLE_1)
	s_xor_b32 vcc_lo, exec_lo, s74
	s_cbranch_execnz .LBB47_8014
; %bb.7908:
	s_or_saveexec_b32 s74, vcc_lo
                                        ; implicit-def: $vcc_lo
	s_delay_alu instid0(SALU_CYCLE_1)
	s_xor_b32 exec_lo, exec_lo, s74
	s_cbranch_execnz .LBB47_8015
.LBB47_7909:
	s_or_b32 exec_lo, exec_lo, s74
	v_mov_b32_e32 v4, vcc_lo
	s_and_saveexec_b32 vcc_lo, s73
.LBB47_7910:
	v_lshrrev_b32_e32 v4, 24, v53
	s_delay_alu instid0(VALU_DEP_1)
	v_and_or_b32 v4, 0x80, v4, v3
.LBB47_7911:
	s_or_b32 exec_lo, exec_lo, vcc_lo
.LBB47_7912:
	s_delay_alu instid0(SALU_CYCLE_1)
	s_or_b32 exec_lo, exec_lo, s72
	flat_store_b8 v[1:2], v4
                                        ; implicit-def: $vgpr53
                                        ; implicit-def: $vgpr1_vgpr2
.LBB47_7913:
	s_and_not1_saveexec_b32 s71, s71
	s_cbranch_execz .LBB47_7923
; %bb.7914:
	v_and_b32_e32 v4, 0x7fffffff, v53
	s_mov_b32 s72, exec_lo
                                        ; implicit-def: $vgpr3
	s_delay_alu instid0(VALU_DEP_1)
	v_cmpx_gt_u32_e32 0x43f00000, v4
	s_xor_b32 s72, exec_lo, s72
	s_cbranch_execz .LBB47_7920
; %bb.7915:
	s_mov_b32 s73, exec_lo
                                        ; implicit-def: $vgpr3
	v_cmpx_lt_u32_e32 0x3c7fffff, v4
	s_xor_b32 s73, exec_lo, s73
; %bb.7916:
	v_bfe_u32 v3, v53, 20, 1
	s_delay_alu instid0(VALU_DEP_1) | instskip(NEXT) | instid1(VALU_DEP_1)
	v_add3_u32 v3, v53, v3, 0x407ffff
	v_and_b32_e32 v4, 0xff00000, v3
	v_lshrrev_b32_e32 v3, 20, v3
	s_delay_alu instid0(VALU_DEP_2) | instskip(NEXT) | instid1(VALU_DEP_2)
	v_cmp_ne_u32_e32 vcc_lo, 0x7f00000, v4
	v_cndmask_b32_e32 v3, 0x7e, v3, vcc_lo
; %bb.7917:
	s_and_not1_saveexec_b32 vcc_lo, s73
; %bb.7918:
	v_add_f32_e64 v3, 0x46800000, |v53|
; %bb.7919:
	s_or_b32 exec_lo, exec_lo, vcc_lo
                                        ; implicit-def: $vgpr4
.LBB47_7920:
	s_and_not1_saveexec_b32 s72, s72
; %bb.7921:
	v_mov_b32_e32 v3, 0x7f
	v_cmp_lt_u32_e32 vcc_lo, 0x7f800000, v4
	s_delay_alu instid0(VALU_DEP_2)
	v_cndmask_b32_e32 v3, 0x7e, v3, vcc_lo
; %bb.7922:
	s_or_b32 exec_lo, exec_lo, s72
	v_lshrrev_b32_e32 v4, 24, v53
	s_delay_alu instid0(VALU_DEP_1)
	v_and_or_b32 v3, 0x80, v4, v3
	flat_store_b8 v[1:2], v3
.LBB47_7923:
	s_or_b32 exec_lo, exec_lo, s71
                                        ; implicit-def: $vgpr53
                                        ; implicit-def: $vgpr1_vgpr2
.LBB47_7924:
	s_and_not1_saveexec_b32 s70, s70
	s_cbranch_execz .LBB47_7934
; %bb.7925:
	v_and_b32_e32 v4, 0x7fffffff, v53
	s_mov_b32 s71, exec_lo
                                        ; implicit-def: $vgpr3
	s_delay_alu instid0(VALU_DEP_1)
	v_cmpx_gt_u32_e32 0x47800000, v4
	s_xor_b32 s71, exec_lo, s71
	s_cbranch_execz .LBB47_7931
; %bb.7926:
	v_cmp_lt_u32_e32 vcc_lo, 0x387fffff, v4
                                        ; implicit-def: $vgpr3
	s_and_saveexec_b32 s72, vcc_lo
	s_delay_alu instid0(SALU_CYCLE_1)
	s_xor_b32 vcc_lo, exec_lo, s72
; %bb.7927:
	v_bfe_u32 v3, v53, 21, 1
	s_delay_alu instid0(VALU_DEP_1) | instskip(NEXT) | instid1(VALU_DEP_1)
	v_add3_u32 v3, v53, v3, 0x80fffff
	v_lshrrev_b32_e32 v3, 21, v3
; %bb.7928:
	s_and_not1_saveexec_b32 vcc_lo, vcc_lo
; %bb.7929:
	v_add_f32_e64 v3, 0x43000000, |v53|
; %bb.7930:
	s_or_b32 exec_lo, exec_lo, vcc_lo
                                        ; implicit-def: $vgpr4
.LBB47_7931:
	s_and_not1_saveexec_b32 s71, s71
; %bb.7932:
	v_mov_b32_e32 v3, 0x7f
	v_cmp_lt_u32_e32 vcc_lo, 0x7f800000, v4
	s_delay_alu instid0(VALU_DEP_2)
	v_cndmask_b32_e32 v3, 0x7c, v3, vcc_lo
; %bb.7933:
	s_or_b32 exec_lo, exec_lo, s71
	v_lshrrev_b32_e32 v4, 24, v53
	s_delay_alu instid0(VALU_DEP_1)
	v_and_or_b32 v3, 0x80, v4, v3
	flat_store_b8 v[1:2], v3
.LBB47_7934:
	s_or_b32 exec_lo, exec_lo, s70
	s_delay_alu instid0(SALU_CYCLE_1)
	s_or_b32 s70, s0, exec_lo
                                        ; implicit-def: $vgpr3
                                        ; implicit-def: $vgpr53
                                        ; implicit-def: $vgpr1_vgpr2
.LBB47_7935:
	s_or_saveexec_b32 s69, s69
	s_mov_b32 vcc_lo, s67
	s_xor_b32 exec_lo, exec_lo, s69
	s_cbranch_execz .LBB47_7945
; %bb.7936:
	s_mov_b32 s71, s70
	s_mov_b32 s72, s67
	s_mov_b32 s73, exec_lo
	v_cmpx_lt_i16_e32 14, v3
	s_xor_b32 s73, exec_lo, s73
	s_cbranch_execz .LBB47_7940
; %bb.7937:
	s_mov_b32 s74, -1
	s_mov_b32 s71, s70
	s_mov_b32 s72, exec_lo
	v_cmpx_eq_u16_e32 15, v3
	s_cbranch_execz .LBB47_7939
; %bb.7938:
	v_bfe_u32 v3, v53, 16, 1
	v_cmp_o_f32_e32 vcc_lo, v53, v53
	s_xor_b32 s74, exec_lo, -1
	s_or_b32 s71, s70, exec_lo
	s_delay_alu instid0(VALU_DEP_2) | instskip(NEXT) | instid1(VALU_DEP_1)
	v_add3_u32 v3, v53, v3, 0x7fff
	v_lshrrev_b32_e32 v3, 16, v3
	s_delay_alu instid0(VALU_DEP_1)
	v_cndmask_b32_e32 v3, 0x7fc0, v3, vcc_lo
	flat_store_b16 v[1:2], v3
.LBB47_7939:
	s_or_b32 exec_lo, exec_lo, s72
	s_delay_alu instid0(SALU_CYCLE_1)
	s_and_not1_b32 vcc_lo, s67, exec_lo
	s_and_b32 s72, s74, exec_lo
	s_and_not1_b32 s74, s70, exec_lo
	s_and_b32 s71, s71, exec_lo
	s_or_b32 s72, vcc_lo, s72
	s_or_b32 s71, s74, s71
                                        ; implicit-def: $vgpr3
                                        ; implicit-def: $vgpr53
                                        ; implicit-def: $vgpr1_vgpr2
.LBB47_7940:
	s_and_not1_saveexec_b32 s73, s73
	s_cbranch_execz .LBB47_7944
; %bb.7941:
	s_mov_b32 s75, -1
	s_mov_b32 s74, s71
	s_mov_b32 s76, exec_lo
	v_cmpx_eq_u16_e32 11, v3
	s_cbranch_execz .LBB47_7943
; %bb.7942:
	v_cmp_neq_f32_e32 vcc_lo, 0, v53
	s_xor_b32 s75, exec_lo, -1
	s_or_b32 s74, s71, exec_lo
	v_cndmask_b32_e64 v3, 0, 1, vcc_lo
	flat_store_b8 v[1:2], v3
.LBB47_7943:
	s_or_b32 exec_lo, exec_lo, s76
	s_delay_alu instid0(SALU_CYCLE_1)
	s_and_not1_b32 vcc_lo, s72, exec_lo
	s_and_b32 s72, s75, exec_lo
	s_and_not1_b32 s71, s71, exec_lo
	s_and_b32 s74, s74, exec_lo
	s_or_b32 s72, vcc_lo, s72
	s_or_b32 s71, s71, s74
.LBB47_7944:
	s_or_b32 exec_lo, exec_lo, s73
	s_delay_alu instid0(SALU_CYCLE_1)
	s_and_not1_b32 vcc_lo, s67, exec_lo
	s_and_b32 s72, s72, exec_lo
	s_and_not1_b32 s70, s70, exec_lo
	s_and_b32 s71, s71, exec_lo
	s_or_b32 vcc_lo, vcc_lo, s72
	s_or_b32 s70, s70, s71
.LBB47_7945:
	s_or_b32 exec_lo, exec_lo, s69
	s_delay_alu instid0(SALU_CYCLE_1)
	s_and_not1_b32 s67, s67, exec_lo
	s_and_b32 vcc_lo, vcc_lo, exec_lo
	s_and_not1_b32 s0, s0, exec_lo
	s_and_b32 s69, s70, exec_lo
	s_or_b32 s67, s67, vcc_lo
	s_or_b32 s0, s0, s69
.LBB47_7946:
	s_or_b32 exec_lo, exec_lo, s68
	s_delay_alu instid0(SALU_CYCLE_1)
	s_and_not1_b32 vcc_lo, s63, exec_lo
	s_and_b32 s67, s67, exec_lo
	s_and_b32 s0, s0, exec_lo
	s_or_b32 s67, vcc_lo, s67
                                        ; implicit-def: $vgpr3
                                        ; implicit-def: $vgpr53
                                        ; implicit-def: $vgpr1_vgpr2
	s_and_not1_saveexec_b32 s66, s66
	s_cbranch_execz .LBB47_4049
.LBB47_7947:
	s_mov_b32 s68, exec_lo
	v_cmpx_lt_i16_e32 4, v3
	s_xor_b32 s68, exec_lo, s68
	s_cbranch_execz .LBB47_7969
; %bb.7948:
	s_mov_b32 s69, exec_lo
	v_cmpx_lt_i16_e32 7, v3
	s_xor_b32 s69, exec_lo, s69
	s_cbranch_execz .LBB47_7958
; %bb.7949:
	;; [unrolled: 5-line block ×3, first 2 shown]
	v_cmp_lt_i16_e32 vcc_lo, 9, v3
	s_and_saveexec_b32 s71, vcc_lo
	s_delay_alu instid0(SALU_CYCLE_1)
	s_xor_b32 vcc_lo, exec_lo, s71
	s_cbranch_execz .LBB47_7952
; %bb.7951:
	v_cvt_f64_f32_e32 v[7:8], v53
	v_mov_b32_e32 v9, 0
                                        ; implicit-def: $vgpr53
	s_delay_alu instid0(VALU_DEP_1)
	v_mov_b32_e32 v10, v9
	flat_store_b128 v[1:2], v[7:10]
                                        ; implicit-def: $vgpr1_vgpr2
.LBB47_7952:
	s_and_not1_saveexec_b32 vcc_lo, vcc_lo
	s_cbranch_execz .LBB47_7954
; %bb.7953:
	v_mov_b32_e32 v54, 0
	flat_store_b64 v[1:2], v[53:54]
.LBB47_7954:
	s_or_b32 exec_lo, exec_lo, vcc_lo
                                        ; implicit-def: $vgpr53
                                        ; implicit-def: $vgpr1_vgpr2
.LBB47_7955:
	s_and_not1_saveexec_b32 vcc_lo, s70
	s_cbranch_execz .LBB47_7957
; %bb.7956:
	v_cvt_f16_f32_e32 v3, v53
	s_delay_alu instid0(VALU_DEP_1)
	v_and_b32_e32 v3, 0xffff, v3
	flat_store_b32 v[1:2], v3
.LBB47_7957:
	s_or_b32 exec_lo, exec_lo, vcc_lo
                                        ; implicit-def: $vgpr53
                                        ; implicit-def: $vgpr1_vgpr2
                                        ; implicit-def: $vgpr3
.LBB47_7958:
	s_and_not1_saveexec_b32 s69, s69
	s_cbranch_execz .LBB47_7968
; %bb.7959:
	s_mov_b32 s70, exec_lo
	v_cmpx_lt_i16_e32 5, v3
	s_xor_b32 s70, exec_lo, s70
	s_cbranch_execz .LBB47_7965
; %bb.7960:
	v_cmp_lt_i16_e32 vcc_lo, 6, v3
	s_and_saveexec_b32 s71, vcc_lo
	s_delay_alu instid0(SALU_CYCLE_1)
	s_xor_b32 vcc_lo, exec_lo, s71
	s_cbranch_execz .LBB47_7962
; %bb.7961:
	v_cvt_f64_f32_e32 v[3:4], v53
                                        ; implicit-def: $vgpr53
	flat_store_b64 v[1:2], v[3:4]
                                        ; implicit-def: $vgpr1_vgpr2
.LBB47_7962:
	s_and_not1_saveexec_b32 vcc_lo, vcc_lo
	s_cbranch_execz .LBB47_7964
; %bb.7963:
	flat_store_b32 v[1:2], v53
.LBB47_7964:
	s_or_b32 exec_lo, exec_lo, vcc_lo
                                        ; implicit-def: $vgpr53
                                        ; implicit-def: $vgpr1_vgpr2
.LBB47_7965:
	s_and_not1_saveexec_b32 vcc_lo, s70
	s_cbranch_execz .LBB47_7967
; %bb.7966:
	v_cvt_f16_f32_e32 v3, v53
	flat_store_b16 v[1:2], v3
.LBB47_7967:
	s_or_b32 exec_lo, exec_lo, vcc_lo
.LBB47_7968:
	s_delay_alu instid0(SALU_CYCLE_1)
	s_or_b32 exec_lo, exec_lo, s69
                                        ; implicit-def: $vgpr3
                                        ; implicit-def: $vgpr53
                                        ; implicit-def: $vgpr1_vgpr2
.LBB47_7969:
	s_and_not1_saveexec_b32 s68, s68
	s_cbranch_execz .LBB47_7987
; %bb.7970:
	s_mov_b32 s69, exec_lo
	v_cmpx_lt_i16_e32 1, v3
	s_xor_b32 s69, exec_lo, s69
	s_cbranch_execz .LBB47_7980
; %bb.7971:
	s_mov_b32 s70, exec_lo
	v_cmpx_lt_i16_e32 2, v3
	s_xor_b32 s70, exec_lo, s70
	;; [unrolled: 5-line block ×3, first 2 shown]
	s_cbranch_execz .LBB47_7974
; %bb.7973:
	v_trunc_f32_e32 v3, v53
                                        ; implicit-def: $vgpr53
	s_delay_alu instid0(VALU_DEP_1) | instskip(SKIP_1) | instid1(VALU_DEP_2)
	v_mul_f32_e64 v4, 0x2f800000, |v3|
	v_ashrrev_i32_e32 v7, 31, v3
	v_floor_f32_e32 v4, v4
	s_delay_alu instid0(VALU_DEP_1) | instskip(SKIP_1) | instid1(VALU_DEP_2)
	v_fma_f32 v5, 0xcf800000, v4, |v3|
	v_cvt_u32_f32_e32 v4, v4
	v_cvt_u32_f32_e32 v3, v5
	s_delay_alu instid0(VALU_DEP_2) | instskip(NEXT) | instid1(VALU_DEP_2)
	v_xor_b32_e32 v4, v4, v7
	v_xor_b32_e32 v3, v3, v7
	s_delay_alu instid0(VALU_DEP_1) | instskip(NEXT) | instid1(VALU_DEP_3)
	v_sub_co_u32 v3, vcc_lo, v3, v7
	v_sub_co_ci_u32_e32 v4, vcc_lo, v4, v7, vcc_lo
	flat_store_b64 v[1:2], v[3:4]
                                        ; implicit-def: $vgpr1_vgpr2
.LBB47_7974:
	s_and_not1_saveexec_b32 vcc_lo, s71
	s_cbranch_execz .LBB47_7976
; %bb.7975:
	v_cvt_i32_f32_e32 v3, v53
	flat_store_b32 v[1:2], v3
.LBB47_7976:
	s_or_b32 exec_lo, exec_lo, vcc_lo
                                        ; implicit-def: $vgpr53
                                        ; implicit-def: $vgpr1_vgpr2
.LBB47_7977:
	s_and_not1_saveexec_b32 vcc_lo, s70
	s_cbranch_execz .LBB47_7979
; %bb.7978:
	v_cvt_i32_f32_e32 v3, v53
	flat_store_b16 v[1:2], v3
.LBB47_7979:
	s_or_b32 exec_lo, exec_lo, vcc_lo
                                        ; implicit-def: $vgpr53
                                        ; implicit-def: $vgpr1_vgpr2
                                        ; implicit-def: $vgpr3
.LBB47_7980:
	s_and_not1_saveexec_b32 s69, s69
	s_cbranch_execz .LBB47_7986
; %bb.7981:
	v_cmp_lt_i16_e32 vcc_lo, 0, v3
	s_and_saveexec_b32 s70, vcc_lo
	s_delay_alu instid0(SALU_CYCLE_1)
	s_xor_b32 vcc_lo, exec_lo, s70
	s_cbranch_execz .LBB47_7983
; %bb.7982:
	v_cvt_i32_f32_e32 v3, v53
                                        ; implicit-def: $vgpr53
	flat_store_b8 v[1:2], v3
                                        ; implicit-def: $vgpr1_vgpr2
.LBB47_7983:
	s_and_not1_saveexec_b32 vcc_lo, vcc_lo
	s_cbranch_execz .LBB47_7985
; %bb.7984:
	v_trunc_f32_e32 v3, v53
	s_delay_alu instid0(VALU_DEP_1) | instskip(NEXT) | instid1(VALU_DEP_1)
	v_mul_f32_e64 v4, 0x2f800000, |v3|
	v_floor_f32_e32 v4, v4
	s_delay_alu instid0(VALU_DEP_1) | instskip(SKIP_1) | instid1(VALU_DEP_2)
	v_fma_f32 v4, 0xcf800000, v4, |v3|
	v_ashrrev_i32_e32 v3, 31, v3
	v_cvt_u32_f32_e32 v4, v4
	s_delay_alu instid0(VALU_DEP_1) | instskip(NEXT) | instid1(VALU_DEP_1)
	v_xor_b32_e32 v4, v4, v3
	v_sub_nc_u32_e32 v3, v4, v3
	flat_store_b8 v[1:2], v3
.LBB47_7985:
	s_or_b32 exec_lo, exec_lo, vcc_lo
.LBB47_7986:
	s_delay_alu instid0(SALU_CYCLE_1)
	s_or_b32 exec_lo, exec_lo, s69
.LBB47_7987:
	s_delay_alu instid0(SALU_CYCLE_1) | instskip(NEXT) | instid1(SALU_CYCLE_1)
	s_or_b32 exec_lo, exec_lo, s68
	s_or_b32 s0, s0, exec_lo
	s_or_b32 exec_lo, exec_lo, s66
	s_mov_b32 vcc_lo, 0
	s_and_saveexec_b32 s66, s0
	s_cbranch_execnz .LBB47_4050
	s_branch .LBB47_4051
.LBB47_7988:
	v_bfe_u32 v3, v49, 21, 1
	s_mov_b32 s61, exec_lo
	s_delay_alu instid0(VALU_DEP_1) | instskip(NEXT) | instid1(VALU_DEP_1)
	v_add3_u32 v3, v49, v3, 0x88fffff
	v_lshrrev_b32_e32 v3, 21, v3
	s_or_saveexec_b32 s62, vcc_lo
                                        ; implicit-def: $vcc_lo
	s_delay_alu instid0(SALU_CYCLE_1)
	s_xor_b32 exec_lo, exec_lo, s62
	s_cbranch_execz .LBB47_7153
.LBB47_7989:
	v_add_f32_e64 v3, 0x42800000, |v49|
	s_and_not1_b32 s61, s61, exec_lo
	s_delay_alu instid0(VALU_DEP_1) | instskip(NEXT) | instid1(VALU_DEP_1)
	v_and_b32_e32 v3, 0xff, v3
	v_cmp_ne_u32_e32 vcc_lo, 0, v3
	s_and_b32 s63, vcc_lo, exec_lo
	s_mov_b32 vcc_lo, 0
	s_or_b32 s61, s61, s63
	s_or_b32 exec_lo, exec_lo, s62
	v_mov_b32_e32 v4, vcc_lo
	s_and_saveexec_b32 vcc_lo, s61
	s_cbranch_execnz .LBB47_7154
	s_branch .LBB47_7155
.LBB47_7990:
	v_bfe_u32 v3, v48, 20, 1
	s_mov_b32 s62, exec_lo
	s_delay_alu instid0(VALU_DEP_1) | instskip(NEXT) | instid1(VALU_DEP_1)
	v_add3_u32 v3, v48, v3, 0x487ffff
	v_lshrrev_b32_e32 v3, 20, v3
	s_or_saveexec_b32 s63, vcc_lo
                                        ; implicit-def: $vcc_lo
	s_delay_alu instid0(SALU_CYCLE_1)
	s_xor_b32 exec_lo, exec_lo, s63
	s_cbranch_execz .LBB47_7266
.LBB47_7991:
	v_add_f32_e64 v3, 0x46000000, |v48|
	s_and_not1_b32 s62, s62, exec_lo
	s_delay_alu instid0(VALU_DEP_1) | instskip(NEXT) | instid1(VALU_DEP_1)
	v_and_b32_e32 v3, 0xff, v3
	v_cmp_ne_u32_e32 vcc_lo, 0, v3
	s_and_b32 s64, vcc_lo, exec_lo
	s_mov_b32 vcc_lo, 0
	s_or_b32 s62, s62, s64
	s_or_b32 exec_lo, exec_lo, s63
	v_mov_b32_e32 v4, vcc_lo
	s_and_saveexec_b32 vcc_lo, s62
	s_cbranch_execnz .LBB47_7267
	s_branch .LBB47_7268
.LBB47_7992:
	v_bfe_u32 v3, v48, 21, 1
	s_mov_b32 s63, exec_lo
	s_delay_alu instid0(VALU_DEP_1) | instskip(NEXT) | instid1(VALU_DEP_1)
	v_add3_u32 v3, v48, v3, 0x88fffff
	v_lshrrev_b32_e32 v3, 21, v3
	s_or_saveexec_b32 s64, vcc_lo
                                        ; implicit-def: $vcc_lo
	s_delay_alu instid0(SALU_CYCLE_1)
	s_xor_b32 exec_lo, exec_lo, s64
	s_cbranch_execz .LBB47_7279
.LBB47_7993:
	v_add_f32_e64 v3, 0x42800000, |v48|
	s_and_not1_b32 s63, s63, exec_lo
	s_delay_alu instid0(VALU_DEP_1) | instskip(NEXT) | instid1(VALU_DEP_1)
	v_and_b32_e32 v3, 0xff, v3
	v_cmp_ne_u32_e32 vcc_lo, 0, v3
	s_and_b32 s65, vcc_lo, exec_lo
	s_mov_b32 vcc_lo, 0
	s_or_b32 s63, s63, s65
	s_or_b32 exec_lo, exec_lo, s64
	v_mov_b32_e32 v4, vcc_lo
	s_and_saveexec_b32 vcc_lo, s63
	s_cbranch_execnz .LBB47_7280
	s_branch .LBB47_7281
.LBB47_7994:
	v_bfe_u32 v3, v38, 20, 1
	s_mov_b32 s64, exec_lo
	s_delay_alu instid0(VALU_DEP_1) | instskip(NEXT) | instid1(VALU_DEP_1)
	v_add3_u32 v3, v38, v3, 0x487ffff
	v_lshrrev_b32_e32 v3, 20, v3
	s_or_saveexec_b32 s65, vcc_lo
                                        ; implicit-def: $vcc_lo
	s_delay_alu instid0(SALU_CYCLE_1)
	s_xor_b32 exec_lo, exec_lo, s65
	s_cbranch_execz .LBB47_7392
.LBB47_7995:
	v_add_f32_e64 v3, 0x46000000, |v38|
	s_and_not1_b32 s64, s64, exec_lo
	s_delay_alu instid0(VALU_DEP_1) | instskip(NEXT) | instid1(VALU_DEP_1)
	v_and_b32_e32 v3, 0xff, v3
	v_cmp_ne_u32_e32 vcc_lo, 0, v3
	s_and_b32 s66, vcc_lo, exec_lo
	s_mov_b32 vcc_lo, 0
	s_or_b32 s64, s64, s66
	s_or_b32 exec_lo, exec_lo, s65
	v_mov_b32_e32 v4, vcc_lo
	s_and_saveexec_b32 vcc_lo, s64
	s_cbranch_execnz .LBB47_7393
	s_branch .LBB47_7394
.LBB47_7996:
	v_bfe_u32 v3, v38, 21, 1
	s_mov_b32 s65, exec_lo
	s_delay_alu instid0(VALU_DEP_1) | instskip(NEXT) | instid1(VALU_DEP_1)
	v_add3_u32 v3, v38, v3, 0x88fffff
	v_lshrrev_b32_e32 v3, 21, v3
	s_or_saveexec_b32 s66, vcc_lo
                                        ; implicit-def: $vcc_lo
	s_delay_alu instid0(SALU_CYCLE_1)
	s_xor_b32 exec_lo, exec_lo, s66
	s_cbranch_execz .LBB47_7405
.LBB47_7997:
	v_add_f32_e64 v3, 0x42800000, |v38|
	s_and_not1_b32 s65, s65, exec_lo
	s_delay_alu instid0(VALU_DEP_1) | instskip(NEXT) | instid1(VALU_DEP_1)
	v_and_b32_e32 v3, 0xff, v3
	v_cmp_ne_u32_e32 vcc_lo, 0, v3
	s_and_b32 s67, vcc_lo, exec_lo
	s_mov_b32 vcc_lo, 0
	s_or_b32 s65, s65, s67
	s_or_b32 exec_lo, exec_lo, s66
	v_mov_b32_e32 v4, vcc_lo
	s_and_saveexec_b32 vcc_lo, s65
	s_cbranch_execnz .LBB47_7406
	s_branch .LBB47_7407
.LBB47_7998:
	v_bfe_u32 v3, v9, 20, 1
	s_mov_b32 s66, exec_lo
	s_delay_alu instid0(VALU_DEP_1) | instskip(NEXT) | instid1(VALU_DEP_1)
	v_add3_u32 v3, v9, v3, 0x487ffff
	v_lshrrev_b32_e32 v3, 20, v3
	s_or_saveexec_b32 s67, vcc_lo
                                        ; implicit-def: $vcc_lo
	s_delay_alu instid0(SALU_CYCLE_1)
	s_xor_b32 exec_lo, exec_lo, s67
	s_cbranch_execz .LBB47_7518
.LBB47_7999:
	v_add_f32_e64 v3, 0x46000000, |v9|
	s_and_not1_b32 s66, s66, exec_lo
	s_delay_alu instid0(VALU_DEP_1) | instskip(NEXT) | instid1(VALU_DEP_1)
	v_and_b32_e32 v3, 0xff, v3
	v_cmp_ne_u32_e32 vcc_lo, 0, v3
	s_and_b32 s68, vcc_lo, exec_lo
	s_mov_b32 vcc_lo, 0
	s_or_b32 s66, s66, s68
	s_or_b32 exec_lo, exec_lo, s67
	v_mov_b32_e32 v4, vcc_lo
	s_and_saveexec_b32 vcc_lo, s66
	s_cbranch_execnz .LBB47_7519
	s_branch .LBB47_7520
.LBB47_8000:
	v_bfe_u32 v3, v9, 21, 1
	s_mov_b32 s67, exec_lo
	s_delay_alu instid0(VALU_DEP_1) | instskip(NEXT) | instid1(VALU_DEP_1)
	v_add3_u32 v3, v9, v3, 0x88fffff
	v_lshrrev_b32_e32 v3, 21, v3
	s_or_saveexec_b32 s68, vcc_lo
                                        ; implicit-def: $vcc_lo
	s_delay_alu instid0(SALU_CYCLE_1)
	s_xor_b32 exec_lo, exec_lo, s68
	s_cbranch_execz .LBB47_7531
.LBB47_8001:
	v_add_f32_e64 v3, 0x42800000, |v9|
	s_and_not1_b32 s67, s67, exec_lo
	s_delay_alu instid0(VALU_DEP_1) | instskip(NEXT) | instid1(VALU_DEP_1)
	v_and_b32_e32 v3, 0xff, v3
	v_cmp_ne_u32_e32 vcc_lo, 0, v3
	s_and_b32 s69, vcc_lo, exec_lo
	s_mov_b32 vcc_lo, 0
	s_or_b32 s67, s67, s69
	s_or_b32 exec_lo, exec_lo, s68
	v_mov_b32_e32 v4, vcc_lo
	s_and_saveexec_b32 vcc_lo, s67
	s_cbranch_execnz .LBB47_7532
	s_branch .LBB47_7533
.LBB47_8002:
	v_bfe_u32 v3, v8, 20, 1
	s_mov_b32 s68, exec_lo
	s_delay_alu instid0(VALU_DEP_1) | instskip(NEXT) | instid1(VALU_DEP_1)
	v_add3_u32 v3, v8, v3, 0x487ffff
	v_lshrrev_b32_e32 v3, 20, v3
	s_or_saveexec_b32 s69, vcc_lo
                                        ; implicit-def: $vcc_lo
	s_delay_alu instid0(SALU_CYCLE_1)
	s_xor_b32 exec_lo, exec_lo, s69
	s_cbranch_execz .LBB47_7644
.LBB47_8003:
	v_add_f32_e64 v3, 0x46000000, |v8|
	s_and_not1_b32 s68, s68, exec_lo
	s_delay_alu instid0(VALU_DEP_1) | instskip(NEXT) | instid1(VALU_DEP_1)
	v_and_b32_e32 v3, 0xff, v3
	v_cmp_ne_u32_e32 vcc_lo, 0, v3
	s_and_b32 s70, vcc_lo, exec_lo
	s_mov_b32 vcc_lo, 0
	s_or_b32 s68, s68, s70
	s_or_b32 exec_lo, exec_lo, s69
	v_mov_b32_e32 v4, vcc_lo
	s_and_saveexec_b32 vcc_lo, s68
	s_cbranch_execnz .LBB47_7645
	s_branch .LBB47_7646
.LBB47_8004:
	v_bfe_u32 v3, v8, 21, 1
	s_mov_b32 s69, exec_lo
	s_delay_alu instid0(VALU_DEP_1) | instskip(NEXT) | instid1(VALU_DEP_1)
	v_add3_u32 v3, v8, v3, 0x88fffff
	v_lshrrev_b32_e32 v3, 21, v3
	s_or_saveexec_b32 s70, vcc_lo
                                        ; implicit-def: $vcc_lo
	s_delay_alu instid0(SALU_CYCLE_1)
	s_xor_b32 exec_lo, exec_lo, s70
	s_cbranch_execz .LBB47_7657
.LBB47_8005:
	v_add_f32_e64 v3, 0x42800000, |v8|
	s_and_not1_b32 s69, s69, exec_lo
	s_delay_alu instid0(VALU_DEP_1) | instskip(NEXT) | instid1(VALU_DEP_1)
	v_and_b32_e32 v3, 0xff, v3
	v_cmp_ne_u32_e32 vcc_lo, 0, v3
	s_and_b32 s71, vcc_lo, exec_lo
	s_mov_b32 vcc_lo, 0
	s_or_b32 s69, s69, s71
	s_or_b32 exec_lo, exec_lo, s70
	v_mov_b32_e32 v4, vcc_lo
	s_and_saveexec_b32 vcc_lo, s69
	s_cbranch_execnz .LBB47_7658
	s_branch .LBB47_7659
.LBB47_8006:
	v_bfe_u32 v3, v7, 20, 1
	s_mov_b32 s70, exec_lo
	s_delay_alu instid0(VALU_DEP_1) | instskip(NEXT) | instid1(VALU_DEP_1)
	v_add3_u32 v3, v7, v3, 0x487ffff
	v_lshrrev_b32_e32 v3, 20, v3
	s_or_saveexec_b32 s71, vcc_lo
                                        ; implicit-def: $vcc_lo
	s_delay_alu instid0(SALU_CYCLE_1)
	s_xor_b32 exec_lo, exec_lo, s71
	s_cbranch_execz .LBB47_7770
.LBB47_8007:
	v_add_f32_e64 v3, 0x46000000, |v7|
	s_and_not1_b32 s70, s70, exec_lo
	s_delay_alu instid0(VALU_DEP_1) | instskip(NEXT) | instid1(VALU_DEP_1)
	v_and_b32_e32 v3, 0xff, v3
	v_cmp_ne_u32_e32 vcc_lo, 0, v3
	s_and_b32 s72, vcc_lo, exec_lo
	s_mov_b32 vcc_lo, 0
	s_or_b32 s70, s70, s72
	s_or_b32 exec_lo, exec_lo, s71
	v_mov_b32_e32 v4, vcc_lo
	s_and_saveexec_b32 vcc_lo, s70
	s_cbranch_execnz .LBB47_7771
	s_branch .LBB47_7772
.LBB47_8008:
	v_bfe_u32 v3, v7, 21, 1
	s_mov_b32 s71, exec_lo
	s_delay_alu instid0(VALU_DEP_1) | instskip(NEXT) | instid1(VALU_DEP_1)
	v_add3_u32 v3, v7, v3, 0x88fffff
	v_lshrrev_b32_e32 v3, 21, v3
	s_or_saveexec_b32 s72, vcc_lo
                                        ; implicit-def: $vcc_lo
	s_delay_alu instid0(SALU_CYCLE_1)
	s_xor_b32 exec_lo, exec_lo, s72
	s_cbranch_execz .LBB47_7783
.LBB47_8009:
	v_add_f32_e64 v3, 0x42800000, |v7|
	s_and_not1_b32 s71, s71, exec_lo
	s_delay_alu instid0(VALU_DEP_1) | instskip(NEXT) | instid1(VALU_DEP_1)
	v_and_b32_e32 v3, 0xff, v3
	v_cmp_ne_u32_e32 vcc_lo, 0, v3
	s_and_b32 s73, vcc_lo, exec_lo
	s_mov_b32 vcc_lo, 0
	s_or_b32 s71, s71, s73
	s_or_b32 exec_lo, exec_lo, s72
	v_mov_b32_e32 v4, vcc_lo
	s_and_saveexec_b32 vcc_lo, s71
	s_cbranch_execnz .LBB47_7784
	s_branch .LBB47_7785
.LBB47_8010:
	v_bfe_u32 v3, v53, 20, 1
	s_mov_b32 s72, exec_lo
	s_delay_alu instid0(VALU_DEP_1) | instskip(NEXT) | instid1(VALU_DEP_1)
	v_add3_u32 v3, v53, v3, 0x487ffff
	v_lshrrev_b32_e32 v3, 20, v3
	s_or_saveexec_b32 s73, vcc_lo
                                        ; implicit-def: $vcc_lo
	s_delay_alu instid0(SALU_CYCLE_1)
	s_xor_b32 exec_lo, exec_lo, s73
	s_cbranch_execz .LBB47_7896
.LBB47_8011:
	v_add_f32_e64 v3, 0x46000000, |v53|
	s_and_not1_b32 s72, s72, exec_lo
	s_delay_alu instid0(VALU_DEP_1) | instskip(NEXT) | instid1(VALU_DEP_1)
	v_and_b32_e32 v3, 0xff, v3
	v_cmp_ne_u32_e32 vcc_lo, 0, v3
	s_and_b32 s74, vcc_lo, exec_lo
	s_mov_b32 vcc_lo, 0
	s_or_b32 s72, s72, s74
	s_or_b32 exec_lo, exec_lo, s73
	v_mov_b32_e32 v4, vcc_lo
	s_and_saveexec_b32 vcc_lo, s72
	s_cbranch_execnz .LBB47_7897
	s_branch .LBB47_7898
.LBB47_8012:
	v_bfe_u32 v1, v0, 20, 1
	s_mov_b32 s74, exec_lo
	s_delay_alu instid0(VALU_DEP_1) | instskip(NEXT) | instid1(VALU_DEP_1)
	v_add3_u32 v1, v0, v1, 0x487ffff
	v_lshrrev_b32_e32 v1, 20, v1
	s_or_saveexec_b32 s75, vcc_lo
                                        ; implicit-def: $vcc_lo
	s_delay_alu instid0(SALU_CYCLE_1)
	s_xor_b32 exec_lo, exec_lo, s75
	s_cbranch_execz .LBB47_4085
.LBB47_8013:
	v_add_f32_e64 v1, 0x46000000, |v0|
	s_and_not1_b32 s74, s74, exec_lo
	s_delay_alu instid0(VALU_DEP_1) | instskip(NEXT) | instid1(VALU_DEP_1)
	v_and_b32_e32 v1, 0xff, v1
	v_cmp_ne_u32_e32 vcc_lo, 0, v1
	s_and_b32 s76, vcc_lo, exec_lo
	s_mov_b32 vcc_lo, 0
	s_or_b32 s74, s74, s76
	s_or_b32 exec_lo, exec_lo, s75
	v_mov_b32_e32 v5, vcc_lo
	s_and_saveexec_b32 vcc_lo, s74
	s_cbranch_execnz .LBB47_4086
	s_branch .LBB47_4087
.LBB47_8014:
	v_bfe_u32 v3, v53, 21, 1
	s_mov_b32 s73, exec_lo
	s_delay_alu instid0(VALU_DEP_1) | instskip(NEXT) | instid1(VALU_DEP_1)
	v_add3_u32 v3, v53, v3, 0x88fffff
	v_lshrrev_b32_e32 v3, 21, v3
	s_or_saveexec_b32 s74, vcc_lo
                                        ; implicit-def: $vcc_lo
	s_delay_alu instid0(SALU_CYCLE_1)
	s_xor_b32 exec_lo, exec_lo, s74
	s_cbranch_execz .LBB47_7909
.LBB47_8015:
	v_add_f32_e64 v3, 0x42800000, |v53|
	s_and_not1_b32 s73, s73, exec_lo
	s_delay_alu instid0(VALU_DEP_1) | instskip(NEXT) | instid1(VALU_DEP_1)
	v_and_b32_e32 v3, 0xff, v3
	v_cmp_ne_u32_e32 vcc_lo, 0, v3
	s_and_b32 s75, vcc_lo, exec_lo
	s_mov_b32 vcc_lo, 0
	s_or_b32 s73, s73, s75
	s_or_b32 exec_lo, exec_lo, s74
	v_mov_b32_e32 v4, vcc_lo
	s_and_saveexec_b32 vcc_lo, s73
	s_cbranch_execnz .LBB47_7910
	s_branch .LBB47_7911
.LBB47_8016:
	v_bfe_u32 v1, v0, 21, 1
	s_mov_b32 s74, exec_lo
	s_delay_alu instid0(VALU_DEP_1) | instskip(NEXT) | instid1(VALU_DEP_1)
	v_add3_u32 v1, v0, v1, 0x88fffff
	v_lshrrev_b32_e32 v1, 21, v1
	s_or_saveexec_b32 s75, vcc_lo
                                        ; implicit-def: $vcc_lo
	s_delay_alu instid0(SALU_CYCLE_1)
	s_xor_b32 exec_lo, exec_lo, s75
	s_cbranch_execz .LBB47_4098
.LBB47_8017:
	v_add_f32_e64 v1, 0x42800000, |v0|
	s_and_not1_b32 s74, s74, exec_lo
	s_delay_alu instid0(VALU_DEP_1) | instskip(NEXT) | instid1(VALU_DEP_1)
	v_and_b32_e32 v1, 0xff, v1
	v_cmp_ne_u32_e32 vcc_lo, 0, v1
	s_and_b32 s76, vcc_lo, exec_lo
	s_mov_b32 vcc_lo, 0
	s_or_b32 s74, s74, s76
	s_or_b32 exec_lo, exec_lo, s75
	v_mov_b32_e32 v5, vcc_lo
	s_and_saveexec_b32 vcc_lo, s74
	s_cbranch_execnz .LBB47_4099
	s_branch .LBB47_4100
.Lfunc_end47:
	.size	_ZN2at6native25elementwise_kernel_helperILb1ENS0_13BinaryFunctorIfffZZZNS0_12_GLOBAL__N_132hermite_polynomial_h_kernel_cudaERNS_18TensorIteratorBaseEENKUlvE_clEvENKUlvE0_clEvEUlffE_EENS0_6memory8policies11unroll_baseILi512ESt5arrayIPcLm3EE23TrivialOffsetCalculatorILi2EjESG_ILi1EjENSA_12LoadWithCastILi2EEENSA_13StoreWithCastILi1EEELi32ELi1EEEEEvT0_T1_, .Lfunc_end47-_ZN2at6native25elementwise_kernel_helperILb1ENS0_13BinaryFunctorIfffZZZNS0_12_GLOBAL__N_132hermite_polynomial_h_kernel_cudaERNS_18TensorIteratorBaseEENKUlvE_clEvENKUlvE0_clEvEUlffE_EENS0_6memory8policies11unroll_baseILi512ESt5arrayIPcLm3EE23TrivialOffsetCalculatorILi2EjESG_ILi1EjENSA_12LoadWithCastILi2EEENSA_13StoreWithCastILi1EEELi32ELi1EEEEEvT0_T1_
                                        ; -- End function
	.section	.AMDGPU.csdata,"",@progbits
; Function info:
; codeLenInByte = 168548
; NumSgprs: 79
; NumVgprs: 68
; ScratchSize: 272
; MemoryBound: 1
	.section	.text._ZN2at6native39vectorized_templated_elementwise_kernelILi8ENS0_13BinaryFunctorIfffZZZNS0_12_GLOBAL__N_132hermite_polynomial_h_kernel_cudaERNS_18TensorIteratorBaseEENKUlvE_clEvENKUlvE0_clEvEUlffE_EESt5arrayIPcLm3EE23TrivialOffsetCalculatorILi2EjESD_ILi1EjENS0_6memory12LoadWithCastILi2EEENSG_13StoreWithCastILi1EEEfJfN3c108BFloat16EEEEviT0_T1_T2_T3_T4_T5_,"axG",@progbits,_ZN2at6native39vectorized_templated_elementwise_kernelILi8ENS0_13BinaryFunctorIfffZZZNS0_12_GLOBAL__N_132hermite_polynomial_h_kernel_cudaERNS_18TensorIteratorBaseEENKUlvE_clEvENKUlvE0_clEvEUlffE_EESt5arrayIPcLm3EE23TrivialOffsetCalculatorILi2EjESD_ILi1EjENS0_6memory12LoadWithCastILi2EEENSG_13StoreWithCastILi1EEEfJfN3c108BFloat16EEEEviT0_T1_T2_T3_T4_T5_,comdat
	.globl	_ZN2at6native39vectorized_templated_elementwise_kernelILi8ENS0_13BinaryFunctorIfffZZZNS0_12_GLOBAL__N_132hermite_polynomial_h_kernel_cudaERNS_18TensorIteratorBaseEENKUlvE_clEvENKUlvE0_clEvEUlffE_EESt5arrayIPcLm3EE23TrivialOffsetCalculatorILi2EjESD_ILi1EjENS0_6memory12LoadWithCastILi2EEENSG_13StoreWithCastILi1EEEfJfN3c108BFloat16EEEEviT0_T1_T2_T3_T4_T5_ ; -- Begin function _ZN2at6native39vectorized_templated_elementwise_kernelILi8ENS0_13BinaryFunctorIfffZZZNS0_12_GLOBAL__N_132hermite_polynomial_h_kernel_cudaERNS_18TensorIteratorBaseEENKUlvE_clEvENKUlvE0_clEvEUlffE_EESt5arrayIPcLm3EE23TrivialOffsetCalculatorILi2EjESD_ILi1EjENS0_6memory12LoadWithCastILi2EEENSG_13StoreWithCastILi1EEEfJfN3c108BFloat16EEEEviT0_T1_T2_T3_T4_T5_
	.p2align	8
	.type	_ZN2at6native39vectorized_templated_elementwise_kernelILi8ENS0_13BinaryFunctorIfffZZZNS0_12_GLOBAL__N_132hermite_polynomial_h_kernel_cudaERNS_18TensorIteratorBaseEENKUlvE_clEvENKUlvE0_clEvEUlffE_EESt5arrayIPcLm3EE23TrivialOffsetCalculatorILi2EjESD_ILi1EjENS0_6memory12LoadWithCastILi2EEENSG_13StoreWithCastILi1EEEfJfN3c108BFloat16EEEEviT0_T1_T2_T3_T4_T5_,@function
_ZN2at6native39vectorized_templated_elementwise_kernelILi8ENS0_13BinaryFunctorIfffZZZNS0_12_GLOBAL__N_132hermite_polynomial_h_kernel_cudaERNS_18TensorIteratorBaseEENKUlvE_clEvENKUlvE0_clEvEUlffE_EESt5arrayIPcLm3EE23TrivialOffsetCalculatorILi2EjESD_ILi1EjENS0_6memory12LoadWithCastILi2EEENSG_13StoreWithCastILi1EEEfJfN3c108BFloat16EEEEviT0_T1_T2_T3_T4_T5_: ; @_ZN2at6native39vectorized_templated_elementwise_kernelILi8ENS0_13BinaryFunctorIfffZZZNS0_12_GLOBAL__N_132hermite_polynomial_h_kernel_cudaERNS_18TensorIteratorBaseEENKUlvE_clEvENKUlvE0_clEvEUlffE_EESt5arrayIPcLm3EE23TrivialOffsetCalculatorILi2EjESD_ILi1EjENS0_6memory12LoadWithCastILi2EEENSG_13StoreWithCastILi1EEEfJfN3c108BFloat16EEEEviT0_T1_T2_T3_T4_T5_
; %bb.0:
	s_clause 0x3
	s_load_b32 s8, s[0:1], 0x38
	s_load_b32 s9, s[0:1], 0x0
	s_load_b64 s[2:3], s[0:1], 0x18
	s_load_b128 s[4:7], s[0:1], 0x8
	s_not_b32 s10, s15
	s_mov_b32 s32, 0
	s_waitcnt lgkmcnt(0)
	s_add_i32 s8, s8, s10
	s_delay_alu instid0(SALU_CYCLE_1) | instskip(SKIP_2) | instid1(SALU_CYCLE_1)
	s_lshl_b32 s10, s8, 14
	s_mov_b32 s8, -1
	s_sub_i32 s12, s9, s10
	s_cmpk_gt_i32 s12, 0x3fff
	s_cbranch_scc1 .LBB48_3
; %bb.1:
	s_and_b32 vcc_lo, exec_lo, s8
	s_cbranch_vccnz .LBB48_388
.LBB48_2:
	s_nop 0
	s_sendmsg sendmsg(MSG_DEALLOC_VGPRS)
	s_endpgm
.LBB48_3:
	s_ashr_i32 s11, s10, 31
	v_lshlrev_b32_e32 v1, 4, v0
	s_lshl_b64 s[8:9], s[10:11], 2
	v_lshlrev_b32_e32 v54, 5, v0
	s_add_u32 s16, s6, s8
	s_addc_u32 s17, s7, s9
	s_lshl_b64 s[10:11], s[10:11], 1
	v_or_b32_e32 v2, 0x400, v0
	s_add_u32 s10, s2, s10
	s_addc_u32 s11, s3, s11
	v_add_co_u32 v3, s13, s16, v54
	global_load_b128 v[13:16], v1, s[10:11]
	v_add_co_ci_u32_e64 v4, null, s17, 0, s13
	v_add_co_u32 v5, s13, s10, v1
	v_add_co_u32 v1, vcc_lo, 0x4000, v3
	v_lshlrev_b32_e32 v53, 5, v2
	v_lshlrev_b32_e32 v29, 4, v2
	v_add_co_ci_u32_e32 v2, vcc_lo, 0, v4, vcc_lo
	v_add_co_ci_u32_e64 v6, null, s11, 0, s13
	v_add_co_u32 v3, vcc_lo, 0xc000, v3
	v_add_co_ci_u32_e32 v4, vcc_lo, 0, v4, vcc_lo
	v_add_co_u32 v9, vcc_lo, 0x2000, v5
	s_delay_alu instid0(VALU_DEP_4)
	v_add_co_ci_u32_e32 v10, vcc_lo, 0, v6, vcc_lo
	v_add_co_u32 v11, vcc_lo, 0x6000, v5
	v_add_co_ci_u32_e32 v12, vcc_lo, 0, v6, vcc_lo
	s_clause 0x7
	global_load_b128 v[21:24], v54, s[16:17] offset:16
	global_load_b128 v[49:52], v54, s[16:17]
	global_load_b128 v[25:28], v53, s[16:17] offset:16
	global_load_b128 v[37:40], v53, s[16:17]
	global_load_b128 v[45:48], v[1:2], off
	global_load_b128 v[41:44], v[1:2], off offset:16
	global_load_b128 v[17:20], v[3:4], off
	global_load_b128 v[5:8], v[3:4], off offset:16
	s_clause 0x2
	global_load_b128 v[33:36], v[9:10], off
	global_load_b128 v[29:32], v29, s[10:11]
	global_load_b128 v[9:12], v[11:12], off
	s_mov_b32 s13, exec_lo
	s_waitcnt vmcnt(11)
	v_lshlrev_b32_e32 v1, 16, v13
	s_delay_alu instid0(VALU_DEP_1) | instskip(NEXT) | instid1(VALU_DEP_1)
	v_trunc_f32_e32 v2, v1
	v_mul_f32_e64 v3, 0x2f800000, |v2|
	s_delay_alu instid0(VALU_DEP_1) | instskip(NEXT) | instid1(VALU_DEP_1)
	v_floor_f32_e32 v3, v3
	v_fma_f32 v4, 0xcf800000, v3, |v2|
	v_ashrrev_i32_e32 v2, 31, v2
	v_cvt_u32_f32_e32 v3, v3
	s_delay_alu instid0(VALU_DEP_3) | instskip(NEXT) | instid1(VALU_DEP_2)
	v_cvt_u32_f32_e32 v4, v4
	v_xor_b32_e32 v3, v3, v2
	s_delay_alu instid0(VALU_DEP_2) | instskip(NEXT) | instid1(VALU_DEP_1)
	v_xor_b32_e32 v4, v4, v2
	v_sub_co_u32 v4, vcc_lo, v4, v2
	s_delay_alu instid0(VALU_DEP_3) | instskip(SKIP_2) | instid1(VALU_DEP_3)
	v_sub_co_ci_u32_e32 v2, vcc_lo, v3, v2, vcc_lo
	v_cmp_class_f32_e64 vcc_lo, v1, 0x1f8
	v_mov_b32_e32 v1, 0
	v_dual_cndmask_b32 v3, -1, v2 :: v_dual_cndmask_b32 v2, -1, v4
	s_delay_alu instid0(VALU_DEP_1)
	v_cmpx_lt_i64_e32 -1, v[2:3]
	s_cbranch_execz .LBB48_15
; %bb.4:
	v_mov_b32_e32 v1, 1.0
	s_mov_b32 s14, exec_lo
	v_cmpx_lt_i64_e32 0, v[2:3]
	s_cbranch_execz .LBB48_14
; %bb.5:
                                        ; implicit-def: $vgpr1
	s_mov_b32 s10, exec_lo
	v_cmpx_ne_u64_e32 1, v[2:3]
	s_xor_b32 s16, exec_lo, s10
	s_cbranch_execz .LBB48_11
; %bb.6:
	v_mov_b32_e32 v1, 0x7fc00000
	s_mov_b32 s17, exec_lo
	v_cmpx_gt_u64_e32 0x81, v[2:3]
	s_cbranch_execz .LBB48_10
; %bb.7:
	s_waitcnt vmcnt(9)
	v_dual_add_f32 v4, v49, v49 :: v_dual_mov_b32 v55, 1.0
	v_lshlrev_b64 v[2:3], 1, v[2:3]
	s_mov_b64 s[10:11], 2
	s_mov_b32 s18, 0
	s_delay_alu instid0(VALU_DEP_2)
	v_mov_b32_e32 v1, v4
	.p2align	6
.LBB48_8:                               ; =>This Inner Loop Header: Depth=1
	s_clz_i32_u32 s19, s11
	s_delay_alu instid0(SALU_CYCLE_1) | instskip(NEXT) | instid1(SALU_CYCLE_1)
	s_min_u32 s19, s19, 32
	s_lshl_b64 s[20:21], s[10:11], s19
	s_sub_i32 s19, 32, s19
	s_min_u32 s20, s20, 1
	s_delay_alu instid0(SALU_CYCLE_1) | instskip(SKIP_3) | instid1(SALU_CYCLE_1)
	s_or_b32 s20, s21, s20
	s_add_u32 s10, s10, 2
	v_cvt_f32_u32_e32 v56, s20
	s_addc_u32 s11, s11, 0
	v_cmp_ge_u64_e32 vcc_lo, s[10:11], v[2:3]
	s_delay_alu instid0(VALU_DEP_2) | instskip(SKIP_1) | instid1(VALU_DEP_1)
	v_ldexp_f32 v56, v56, s19
	s_or_b32 s18, vcc_lo, s18
	v_dual_mul_f32 v56, v55, v56 :: v_dual_mov_b32 v55, v1
	s_delay_alu instid0(VALU_DEP_1)
	v_fma_f32 v1, v4, v1, -v56
	s_and_not1_b32 exec_lo, exec_lo, s18
	s_cbranch_execnz .LBB48_8
; %bb.9:
	s_or_b32 exec_lo, exec_lo, s18
.LBB48_10:
	s_delay_alu instid0(SALU_CYCLE_1)
	s_or_b32 exec_lo, exec_lo, s17
.LBB48_11:
	s_and_not1_saveexec_b32 s10, s16
	s_cbranch_execz .LBB48_13
; %bb.12:
	s_waitcnt vmcnt(9)
	v_add_f32_e32 v1, v49, v49
.LBB48_13:
	s_or_b32 exec_lo, exec_lo, s10
.LBB48_14:
	s_delay_alu instid0(SALU_CYCLE_1)
	s_or_b32 exec_lo, exec_lo, s14
.LBB48_15:
	s_delay_alu instid0(SALU_CYCLE_1) | instskip(SKIP_2) | instid1(VALU_DEP_1)
	s_or_b32 exec_lo, exec_lo, s13
	v_and_b32_e32 v2, 0xffff0000, v13
	s_mov_b32 s13, exec_lo
	v_trunc_f32_e32 v3, v2
	s_delay_alu instid0(VALU_DEP_1) | instskip(NEXT) | instid1(VALU_DEP_1)
	v_mul_f32_e64 v4, 0x2f800000, |v3|
	v_floor_f32_e32 v4, v4
	s_delay_alu instid0(VALU_DEP_1) | instskip(SKIP_2) | instid1(VALU_DEP_3)
	v_fma_f32 v13, 0xcf800000, v4, |v3|
	v_ashrrev_i32_e32 v3, 31, v3
	v_cvt_u32_f32_e32 v4, v4
	v_cvt_u32_f32_e32 v13, v13
	s_delay_alu instid0(VALU_DEP_2) | instskip(NEXT) | instid1(VALU_DEP_2)
	v_xor_b32_e32 v4, v4, v3
	v_xor_b32_e32 v13, v13, v3
	s_delay_alu instid0(VALU_DEP_1) | instskip(NEXT) | instid1(VALU_DEP_3)
	v_sub_co_u32 v13, vcc_lo, v13, v3
	v_sub_co_ci_u32_e32 v3, vcc_lo, v4, v3, vcc_lo
	v_cmp_class_f32_e64 vcc_lo, v2, 0x1f8
	v_mov_b32_e32 v2, 0
	s_delay_alu instid0(VALU_DEP_3) | instskip(NEXT) | instid1(VALU_DEP_1)
	v_dual_cndmask_b32 v4, -1, v3 :: v_dual_cndmask_b32 v3, -1, v13
	v_cmpx_lt_i64_e32 -1, v[3:4]
	s_cbranch_execz .LBB48_27
; %bb.16:
	v_mov_b32_e32 v2, 1.0
	s_mov_b32 s14, exec_lo
	v_cmpx_lt_i64_e32 0, v[3:4]
	s_cbranch_execz .LBB48_26
; %bb.17:
	s_mov_b32 s10, exec_lo
	v_cmpx_ne_u64_e32 1, v[3:4]
	s_xor_b32 s16, exec_lo, s10
	s_cbranch_execz .LBB48_23
; %bb.18:
	v_mov_b32_e32 v2, 0x7fc00000
	s_mov_b32 s17, exec_lo
	v_cmpx_gt_u64_e32 0x81, v[3:4]
	s_cbranch_execz .LBB48_22
; %bb.19:
	s_waitcnt vmcnt(9)
	v_add_f32_e32 v13, v50, v50
	v_lshlrev_b64 v[3:4], 1, v[3:4]
	v_mov_b32_e32 v49, 1.0
	s_mov_b64 s[10:11], 2
	s_mov_b32 s18, 0
	v_mov_b32_e32 v2, v13
	.p2align	6
.LBB48_20:                              ; =>This Inner Loop Header: Depth=1
	s_clz_i32_u32 s19, s11
	s_delay_alu instid0(SALU_CYCLE_1) | instskip(NEXT) | instid1(SALU_CYCLE_1)
	s_min_u32 s19, s19, 32
	s_lshl_b64 s[20:21], s[10:11], s19
	s_sub_i32 s19, 32, s19
	s_min_u32 s20, s20, 1
	s_delay_alu instid0(SALU_CYCLE_1) | instskip(SKIP_3) | instid1(SALU_CYCLE_1)
	s_or_b32 s20, s21, s20
	s_add_u32 s10, s10, 2
	v_cvt_f32_u32_e32 v55, s20
	s_addc_u32 s11, s11, 0
	v_cmp_ge_u64_e32 vcc_lo, s[10:11], v[3:4]
	s_delay_alu instid0(VALU_DEP_2) | instskip(SKIP_1) | instid1(VALU_DEP_1)
	v_ldexp_f32 v55, v55, s19
	s_or_b32 s18, vcc_lo, s18
	v_mul_f32_e32 v55, v49, v55
	v_mov_b32_e32 v49, v2
	s_delay_alu instid0(VALU_DEP_2)
	v_fma_f32 v2, v13, v2, -v55
	s_and_not1_b32 exec_lo, exec_lo, s18
	s_cbranch_execnz .LBB48_20
; %bb.21:
	s_or_b32 exec_lo, exec_lo, s18
.LBB48_22:
	s_delay_alu instid0(SALU_CYCLE_1)
	s_or_b32 exec_lo, exec_lo, s17
.LBB48_23:
	s_and_not1_saveexec_b32 s10, s16
	s_cbranch_execz .LBB48_25
; %bb.24:
	s_waitcnt vmcnt(9)
	v_add_f32_e32 v2, v50, v50
.LBB48_25:
	s_or_b32 exec_lo, exec_lo, s10
.LBB48_26:
	s_delay_alu instid0(SALU_CYCLE_1)
	s_or_b32 exec_lo, exec_lo, s14
.LBB48_27:
	s_delay_alu instid0(SALU_CYCLE_1) | instskip(SKIP_2) | instid1(VALU_DEP_1)
	s_or_b32 exec_lo, exec_lo, s13
	v_lshlrev_b32_e32 v3, 16, v14
	s_mov_b32 s13, exec_lo
	v_trunc_f32_e32 v4, v3
	s_delay_alu instid0(VALU_DEP_1) | instskip(NEXT) | instid1(VALU_DEP_1)
	v_mul_f32_e64 v13, 0x2f800000, |v4|
	v_floor_f32_e32 v13, v13
	s_waitcnt vmcnt(9)
	s_delay_alu instid0(VALU_DEP_1) | instskip(SKIP_2) | instid1(VALU_DEP_3)
	v_fma_f32 v49, 0xcf800000, v13, |v4|
	v_ashrrev_i32_e32 v4, 31, v4
	v_cvt_u32_f32_e32 v13, v13
	v_cvt_u32_f32_e32 v49, v49
	s_delay_alu instid0(VALU_DEP_2) | instskip(NEXT) | instid1(VALU_DEP_2)
	v_xor_b32_e32 v13, v13, v4
	v_xor_b32_e32 v49, v49, v4
	s_delay_alu instid0(VALU_DEP_1) | instskip(NEXT) | instid1(VALU_DEP_3)
	v_sub_co_u32 v49, vcc_lo, v49, v4
	v_sub_co_ci_u32_e32 v4, vcc_lo, v13, v4, vcc_lo
	v_cmp_class_f32_e64 vcc_lo, v3, 0x1f8
	s_delay_alu instid0(VALU_DEP_2) | instskip(NEXT) | instid1(VALU_DEP_4)
	v_dual_mov_b32 v3, 0 :: v_dual_cndmask_b32 v50, -1, v4
	v_cndmask_b32_e32 v49, -1, v49, vcc_lo
	s_delay_alu instid0(VALU_DEP_1)
	v_cmpx_lt_i64_e32 -1, v[49:50]
	s_cbranch_execz .LBB48_39
; %bb.28:
	v_mov_b32_e32 v3, 1.0
	s_mov_b32 s14, exec_lo
	v_cmpx_lt_i64_e32 0, v[49:50]
	s_cbranch_execz .LBB48_38
; %bb.29:
	s_mov_b32 s10, exec_lo
	v_cmpx_ne_u64_e32 1, v[49:50]
	s_xor_b32 s16, exec_lo, s10
	s_cbranch_execz .LBB48_35
; %bb.30:
	v_mov_b32_e32 v3, 0x7fc00000
	s_mov_b32 s17, exec_lo
	v_cmpx_gt_u64_e32 0x81, v[49:50]
	s_cbranch_execz .LBB48_34
; %bb.31:
	v_dual_add_f32 v4, v51, v51 :: v_dual_mov_b32 v13, 1.0
	v_lshlrev_b64 v[49:50], 1, v[49:50]
	s_mov_b64 s[10:11], 2
	s_mov_b32 s18, 0
	s_delay_alu instid0(VALU_DEP_2)
	v_mov_b32_e32 v3, v4
	.p2align	6
.LBB48_32:                              ; =>This Inner Loop Header: Depth=1
	s_clz_i32_u32 s19, s11
	s_delay_alu instid0(SALU_CYCLE_1) | instskip(NEXT) | instid1(SALU_CYCLE_1)
	s_min_u32 s19, s19, 32
	s_lshl_b64 s[20:21], s[10:11], s19
	s_sub_i32 s19, 32, s19
	s_min_u32 s20, s20, 1
	s_delay_alu instid0(SALU_CYCLE_1) | instskip(SKIP_3) | instid1(SALU_CYCLE_1)
	s_or_b32 s20, s21, s20
	s_add_u32 s10, s10, 2
	v_cvt_f32_u32_e32 v55, s20
	s_addc_u32 s11, s11, 0
	v_cmp_ge_u64_e32 vcc_lo, s[10:11], v[49:50]
	s_delay_alu instid0(VALU_DEP_2) | instskip(SKIP_1) | instid1(VALU_DEP_1)
	v_ldexp_f32 v55, v55, s19
	s_or_b32 s18, vcc_lo, s18
	v_mul_f32_e32 v55, v13, v55
	v_mov_b32_e32 v13, v3
	s_delay_alu instid0(VALU_DEP_2)
	v_fma_f32 v3, v4, v3, -v55
	s_and_not1_b32 exec_lo, exec_lo, s18
	s_cbranch_execnz .LBB48_32
; %bb.33:
	s_or_b32 exec_lo, exec_lo, s18
.LBB48_34:
	s_delay_alu instid0(SALU_CYCLE_1)
	s_or_b32 exec_lo, exec_lo, s17
.LBB48_35:
	s_and_not1_saveexec_b32 s10, s16
; %bb.36:
	v_add_f32_e32 v3, v51, v51
; %bb.37:
	s_or_b32 exec_lo, exec_lo, s10
.LBB48_38:
	s_delay_alu instid0(SALU_CYCLE_1)
	s_or_b32 exec_lo, exec_lo, s14
.LBB48_39:
	s_delay_alu instid0(SALU_CYCLE_1) | instskip(SKIP_2) | instid1(VALU_DEP_1)
	s_or_b32 exec_lo, exec_lo, s13
	v_and_b32_e32 v4, 0xffff0000, v14
	s_mov_b32 s13, exec_lo
	v_trunc_f32_e32 v13, v4
	s_delay_alu instid0(VALU_DEP_1) | instskip(NEXT) | instid1(VALU_DEP_1)
	v_mul_f32_e64 v14, 0x2f800000, |v13|
	v_floor_f32_e32 v14, v14
	s_delay_alu instid0(VALU_DEP_1) | instskip(SKIP_2) | instid1(VALU_DEP_3)
	v_fma_f32 v49, 0xcf800000, v14, |v13|
	v_ashrrev_i32_e32 v13, 31, v13
	v_cvt_u32_f32_e32 v14, v14
	v_cvt_u32_f32_e32 v49, v49
	s_delay_alu instid0(VALU_DEP_2) | instskip(NEXT) | instid1(VALU_DEP_2)
	v_xor_b32_e32 v14, v14, v13
	v_xor_b32_e32 v49, v49, v13
	s_delay_alu instid0(VALU_DEP_1) | instskip(NEXT) | instid1(VALU_DEP_3)
	v_sub_co_u32 v49, vcc_lo, v49, v13
	v_sub_co_ci_u32_e32 v13, vcc_lo, v14, v13, vcc_lo
	v_cmp_class_f32_e64 vcc_lo, v4, 0x1f8
	v_mov_b32_e32 v4, 0
	s_delay_alu instid0(VALU_DEP_3) | instskip(SKIP_1) | instid1(VALU_DEP_1)
	v_cndmask_b32_e32 v14, -1, v13, vcc_lo
	v_cndmask_b32_e32 v13, -1, v49, vcc_lo
	v_cmpx_lt_i64_e32 -1, v[13:14]
	s_cbranch_execz .LBB48_51
; %bb.40:
	v_mov_b32_e32 v4, 1.0
	s_mov_b32 s14, exec_lo
	v_cmpx_lt_i64_e32 0, v[13:14]
	s_cbranch_execz .LBB48_50
; %bb.41:
	s_mov_b32 s10, exec_lo
	v_cmpx_ne_u64_e32 1, v[13:14]
	s_xor_b32 s16, exec_lo, s10
	s_cbranch_execz .LBB48_47
; %bb.42:
	v_mov_b32_e32 v4, 0x7fc00000
	s_mov_b32 s17, exec_lo
	v_cmpx_gt_u64_e32 0x81, v[13:14]
	s_cbranch_execz .LBB48_46
; %bb.43:
	v_dual_add_f32 v49, v52, v52 :: v_dual_mov_b32 v50, 1.0
	v_lshlrev_b64 v[13:14], 1, v[13:14]
	s_mov_b64 s[10:11], 2
	s_mov_b32 s18, 0
	s_delay_alu instid0(VALU_DEP_2)
	v_mov_b32_e32 v4, v49
	.p2align	6
.LBB48_44:                              ; =>This Inner Loop Header: Depth=1
	s_clz_i32_u32 s19, s11
	s_delay_alu instid0(SALU_CYCLE_1) | instskip(NEXT) | instid1(SALU_CYCLE_1)
	s_min_u32 s19, s19, 32
	s_lshl_b64 s[20:21], s[10:11], s19
	s_sub_i32 s19, 32, s19
	s_min_u32 s20, s20, 1
	s_delay_alu instid0(SALU_CYCLE_1) | instskip(SKIP_3) | instid1(SALU_CYCLE_1)
	s_or_b32 s20, s21, s20
	s_add_u32 s10, s10, 2
	v_cvt_f32_u32_e32 v51, s20
	s_addc_u32 s11, s11, 0
	v_cmp_ge_u64_e32 vcc_lo, s[10:11], v[13:14]
	s_delay_alu instid0(VALU_DEP_2) | instskip(SKIP_1) | instid1(VALU_DEP_1)
	v_ldexp_f32 v51, v51, s19
	s_or_b32 s18, vcc_lo, s18
	v_dual_mul_f32 v51, v50, v51 :: v_dual_mov_b32 v50, v4
	s_delay_alu instid0(VALU_DEP_1)
	v_fma_f32 v4, v49, v4, -v51
	s_and_not1_b32 exec_lo, exec_lo, s18
	s_cbranch_execnz .LBB48_44
; %bb.45:
	s_or_b32 exec_lo, exec_lo, s18
.LBB48_46:
	s_delay_alu instid0(SALU_CYCLE_1)
	s_or_b32 exec_lo, exec_lo, s17
                                        ; implicit-def: $vgpr49_vgpr50_vgpr51_vgpr52
.LBB48_47:
	s_and_not1_saveexec_b32 s10, s16
; %bb.48:
	v_add_f32_e32 v4, v52, v52
; %bb.49:
	s_or_b32 exec_lo, exec_lo, s10
.LBB48_50:
	s_delay_alu instid0(SALU_CYCLE_1)
	s_or_b32 exec_lo, exec_lo, s14
.LBB48_51:
	s_delay_alu instid0(SALU_CYCLE_1) | instskip(SKIP_2) | instid1(VALU_DEP_1)
	s_or_b32 exec_lo, exec_lo, s13
	v_lshlrev_b32_e32 v13, 16, v15
	s_mov_b32 s13, exec_lo
	v_trunc_f32_e32 v14, v13
	s_delay_alu instid0(VALU_DEP_1) | instskip(NEXT) | instid1(VALU_DEP_1)
	v_mul_f32_e64 v49, 0x2f800000, |v14|
	v_floor_f32_e32 v49, v49
	s_delay_alu instid0(VALU_DEP_1) | instskip(SKIP_2) | instid1(VALU_DEP_3)
	v_fma_f32 v50, 0xcf800000, v49, |v14|
	v_ashrrev_i32_e32 v14, 31, v14
	v_cvt_u32_f32_e32 v49, v49
	v_cvt_u32_f32_e32 v50, v50
	s_delay_alu instid0(VALU_DEP_2) | instskip(NEXT) | instid1(VALU_DEP_2)
	v_xor_b32_e32 v49, v49, v14
	v_xor_b32_e32 v50, v50, v14
	s_delay_alu instid0(VALU_DEP_1) | instskip(NEXT) | instid1(VALU_DEP_3)
	v_sub_co_u32 v51, vcc_lo, v50, v14
	v_sub_co_ci_u32_e32 v14, vcc_lo, v49, v14, vcc_lo
	v_cmp_class_f32_e64 vcc_lo, v13, 0x1f8
	s_delay_alu instid0(VALU_DEP_2) | instskip(NEXT) | instid1(VALU_DEP_4)
	v_dual_mov_b32 v13, 0 :: v_dual_cndmask_b32 v50, -1, v14
	v_cndmask_b32_e32 v49, -1, v51, vcc_lo
	s_delay_alu instid0(VALU_DEP_1)
	v_cmpx_lt_i64_e32 -1, v[49:50]
	s_cbranch_execz .LBB48_63
; %bb.52:
	v_mov_b32_e32 v13, 1.0
	s_mov_b32 s14, exec_lo
	v_cmpx_lt_i64_e32 0, v[49:50]
	s_cbranch_execz .LBB48_62
; %bb.53:
                                        ; implicit-def: $vgpr13
	s_mov_b32 s10, exec_lo
	v_cmpx_ne_u64_e32 1, v[49:50]
	s_xor_b32 s16, exec_lo, s10
	s_cbranch_execz .LBB48_59
; %bb.54:
	v_mov_b32_e32 v13, 0x7fc00000
	s_mov_b32 s17, exec_lo
	v_cmpx_gt_u64_e32 0x81, v[49:50]
	s_cbranch_execz .LBB48_58
; %bb.55:
	v_dual_add_f32 v14, v21, v21 :: v_dual_mov_b32 v51, 1.0
	v_lshlrev_b64 v[49:50], 1, v[49:50]
	s_mov_b64 s[10:11], 2
	s_mov_b32 s18, 0
	s_delay_alu instid0(VALU_DEP_2)
	v_mov_b32_e32 v13, v14
	.p2align	6
.LBB48_56:                              ; =>This Inner Loop Header: Depth=1
	s_clz_i32_u32 s19, s11
	s_delay_alu instid0(SALU_CYCLE_1) | instskip(NEXT) | instid1(SALU_CYCLE_1)
	s_min_u32 s19, s19, 32
	s_lshl_b64 s[20:21], s[10:11], s19
	s_sub_i32 s19, 32, s19
	s_min_u32 s20, s20, 1
	s_delay_alu instid0(SALU_CYCLE_1) | instskip(SKIP_3) | instid1(SALU_CYCLE_1)
	s_or_b32 s20, s21, s20
	s_add_u32 s10, s10, 2
	v_cvt_f32_u32_e32 v52, s20
	s_addc_u32 s11, s11, 0
	v_cmp_ge_u64_e32 vcc_lo, s[10:11], v[49:50]
	s_delay_alu instid0(VALU_DEP_2) | instskip(SKIP_1) | instid1(VALU_DEP_1)
	v_ldexp_f32 v52, v52, s19
	s_or_b32 s18, vcc_lo, s18
	v_dual_mul_f32 v52, v51, v52 :: v_dual_mov_b32 v51, v13
	s_delay_alu instid0(VALU_DEP_1)
	v_fma_f32 v13, v14, v13, -v52
	s_and_not1_b32 exec_lo, exec_lo, s18
	s_cbranch_execnz .LBB48_56
; %bb.57:
	s_or_b32 exec_lo, exec_lo, s18
.LBB48_58:
	s_delay_alu instid0(SALU_CYCLE_1)
	s_or_b32 exec_lo, exec_lo, s17
.LBB48_59:
	s_and_not1_saveexec_b32 s10, s16
; %bb.60:
	v_add_f32_e32 v13, v21, v21
; %bb.61:
	s_or_b32 exec_lo, exec_lo, s10
.LBB48_62:
	s_delay_alu instid0(SALU_CYCLE_1)
	s_or_b32 exec_lo, exec_lo, s14
.LBB48_63:
	s_delay_alu instid0(SALU_CYCLE_1) | instskip(SKIP_2) | instid1(VALU_DEP_1)
	s_or_b32 exec_lo, exec_lo, s13
	v_and_b32_e32 v14, 0xffff0000, v15
	s_mov_b32 s13, exec_lo
	v_trunc_f32_e32 v15, v14
	s_delay_alu instid0(VALU_DEP_1) | instskip(NEXT) | instid1(VALU_DEP_1)
	v_mul_f32_e64 v21, 0x2f800000, |v15|
	v_floor_f32_e32 v21, v21
	s_delay_alu instid0(VALU_DEP_1) | instskip(SKIP_2) | instid1(VALU_DEP_3)
	v_fma_f32 v49, 0xcf800000, v21, |v15|
	v_ashrrev_i32_e32 v15, 31, v15
	v_cvt_u32_f32_e32 v21, v21
	v_cvt_u32_f32_e32 v49, v49
	s_delay_alu instid0(VALU_DEP_2) | instskip(NEXT) | instid1(VALU_DEP_2)
	v_xor_b32_e32 v21, v21, v15
	v_xor_b32_e32 v49, v49, v15
	s_delay_alu instid0(VALU_DEP_1) | instskip(NEXT) | instid1(VALU_DEP_3)
	v_sub_co_u32 v49, vcc_lo, v49, v15
	v_sub_co_ci_u32_e32 v15, vcc_lo, v21, v15, vcc_lo
	v_cmp_class_f32_e64 vcc_lo, v14, 0x1f8
	s_delay_alu instid0(VALU_DEP_3) | instskip(NEXT) | instid1(VALU_DEP_3)
	v_dual_mov_b32 v14, 0 :: v_dual_cndmask_b32 v49, -1, v49
	v_cndmask_b32_e32 v50, -1, v15, vcc_lo
	s_delay_alu instid0(VALU_DEP_1)
	v_cmpx_lt_i64_e32 -1, v[49:50]
	s_cbranch_execz .LBB48_75
; %bb.64:
	v_mov_b32_e32 v14, 1.0
	s_mov_b32 s14, exec_lo
	v_cmpx_lt_i64_e32 0, v[49:50]
	s_cbranch_execz .LBB48_74
; %bb.65:
	s_mov_b32 s10, exec_lo
	v_cmpx_ne_u64_e32 1, v[49:50]
	s_xor_b32 s16, exec_lo, s10
	s_cbranch_execz .LBB48_71
; %bb.66:
	v_mov_b32_e32 v14, 0x7fc00000
	s_mov_b32 s17, exec_lo
	v_cmpx_gt_u64_e32 0x81, v[49:50]
	s_cbranch_execz .LBB48_70
; %bb.67:
	v_add_f32_e32 v15, v22, v22
	v_lshlrev_b64 v[49:50], 1, v[49:50]
	v_mov_b32_e32 v21, 1.0
	s_mov_b64 s[10:11], 2
	s_mov_b32 s18, 0
	v_mov_b32_e32 v14, v15
	.p2align	6
.LBB48_68:                              ; =>This Inner Loop Header: Depth=1
	s_clz_i32_u32 s19, s11
	s_delay_alu instid0(SALU_CYCLE_1) | instskip(NEXT) | instid1(SALU_CYCLE_1)
	s_min_u32 s19, s19, 32
	s_lshl_b64 s[20:21], s[10:11], s19
	s_sub_i32 s19, 32, s19
	s_min_u32 s20, s20, 1
	s_delay_alu instid0(SALU_CYCLE_1) | instskip(SKIP_3) | instid1(SALU_CYCLE_1)
	s_or_b32 s20, s21, s20
	s_add_u32 s10, s10, 2
	v_cvt_f32_u32_e32 v51, s20
	s_addc_u32 s11, s11, 0
	v_cmp_ge_u64_e32 vcc_lo, s[10:11], v[49:50]
	s_delay_alu instid0(VALU_DEP_2) | instskip(SKIP_1) | instid1(VALU_DEP_1)
	v_ldexp_f32 v51, v51, s19
	s_or_b32 s18, vcc_lo, s18
	v_mul_f32_e32 v51, v21, v51
	v_mov_b32_e32 v21, v14
	s_delay_alu instid0(VALU_DEP_2)
	v_fma_f32 v14, v15, v14, -v51
	s_and_not1_b32 exec_lo, exec_lo, s18
	s_cbranch_execnz .LBB48_68
; %bb.69:
	s_or_b32 exec_lo, exec_lo, s18
.LBB48_70:
	s_delay_alu instid0(SALU_CYCLE_1)
	s_or_b32 exec_lo, exec_lo, s17
.LBB48_71:
	s_and_not1_saveexec_b32 s10, s16
; %bb.72:
	v_add_f32_e32 v14, v22, v22
; %bb.73:
	s_or_b32 exec_lo, exec_lo, s10
.LBB48_74:
	s_delay_alu instid0(SALU_CYCLE_1)
	s_or_b32 exec_lo, exec_lo, s14
.LBB48_75:
	s_delay_alu instid0(SALU_CYCLE_1) | instskip(SKIP_2) | instid1(VALU_DEP_1)
	s_or_b32 exec_lo, exec_lo, s13
	v_lshlrev_b32_e32 v15, 16, v16
	s_mov_b32 s13, exec_lo
	v_trunc_f32_e32 v21, v15
	s_delay_alu instid0(VALU_DEP_1) | instskip(NEXT) | instid1(VALU_DEP_1)
	v_mul_f32_e64 v22, 0x2f800000, |v21|
	v_floor_f32_e32 v22, v22
	s_delay_alu instid0(VALU_DEP_1) | instskip(SKIP_2) | instid1(VALU_DEP_3)
	v_fma_f32 v49, 0xcf800000, v22, |v21|
	v_ashrrev_i32_e32 v21, 31, v21
	v_cvt_u32_f32_e32 v22, v22
	v_cvt_u32_f32_e32 v49, v49
	s_delay_alu instid0(VALU_DEP_2) | instskip(NEXT) | instid1(VALU_DEP_2)
	v_xor_b32_e32 v22, v22, v21
	v_xor_b32_e32 v49, v49, v21
	s_delay_alu instid0(VALU_DEP_1) | instskip(NEXT) | instid1(VALU_DEP_3)
	v_sub_co_u32 v49, vcc_lo, v49, v21
	v_sub_co_ci_u32_e32 v21, vcc_lo, v22, v21, vcc_lo
	v_cmp_class_f32_e64 vcc_lo, v15, 0x1f8
	s_delay_alu instid0(VALU_DEP_2) | instskip(NEXT) | instid1(VALU_DEP_4)
	v_dual_mov_b32 v15, 0 :: v_dual_cndmask_b32 v22, -1, v21
	v_cndmask_b32_e32 v21, -1, v49, vcc_lo
	s_delay_alu instid0(VALU_DEP_1)
	v_cmpx_lt_i64_e32 -1, v[21:22]
	s_cbranch_execz .LBB48_87
; %bb.76:
	v_mov_b32_e32 v15, 1.0
	s_mov_b32 s14, exec_lo
	v_cmpx_lt_i64_e32 0, v[21:22]
	s_cbranch_execz .LBB48_86
; %bb.77:
	s_mov_b32 s10, exec_lo
	v_cmpx_ne_u64_e32 1, v[21:22]
	s_xor_b32 s16, exec_lo, s10
	s_cbranch_execz .LBB48_83
; %bb.78:
	v_mov_b32_e32 v15, 0x7fc00000
	s_mov_b32 s17, exec_lo
	v_cmpx_gt_u64_e32 0x81, v[21:22]
	s_cbranch_execz .LBB48_82
; %bb.79:
	v_dual_add_f32 v49, v23, v23 :: v_dual_mov_b32 v50, 1.0
	v_lshlrev_b64 v[21:22], 1, v[21:22]
	s_mov_b64 s[10:11], 2
	s_mov_b32 s18, 0
	s_delay_alu instid0(VALU_DEP_2)
	v_mov_b32_e32 v15, v49
	.p2align	6
.LBB48_80:                              ; =>This Inner Loop Header: Depth=1
	s_clz_i32_u32 s19, s11
	s_delay_alu instid0(SALU_CYCLE_1) | instskip(NEXT) | instid1(SALU_CYCLE_1)
	s_min_u32 s19, s19, 32
	s_lshl_b64 s[20:21], s[10:11], s19
	s_sub_i32 s19, 32, s19
	s_min_u32 s20, s20, 1
	s_delay_alu instid0(SALU_CYCLE_1) | instskip(SKIP_3) | instid1(SALU_CYCLE_1)
	s_or_b32 s20, s21, s20
	s_add_u32 s10, s10, 2
	v_cvt_f32_u32_e32 v51, s20
	s_addc_u32 s11, s11, 0
	v_cmp_ge_u64_e32 vcc_lo, s[10:11], v[21:22]
	s_delay_alu instid0(VALU_DEP_2) | instskip(SKIP_1) | instid1(VALU_DEP_1)
	v_ldexp_f32 v51, v51, s19
	s_or_b32 s18, vcc_lo, s18
	v_dual_mul_f32 v51, v50, v51 :: v_dual_mov_b32 v50, v15
	s_delay_alu instid0(VALU_DEP_1)
	v_fma_f32 v15, v49, v15, -v51
	s_and_not1_b32 exec_lo, exec_lo, s18
	s_cbranch_execnz .LBB48_80
; %bb.81:
	s_or_b32 exec_lo, exec_lo, s18
.LBB48_82:
	s_delay_alu instid0(SALU_CYCLE_1)
	s_or_b32 exec_lo, exec_lo, s17
.LBB48_83:
	s_and_not1_saveexec_b32 s10, s16
; %bb.84:
	v_add_f32_e32 v15, v23, v23
; %bb.85:
	s_or_b32 exec_lo, exec_lo, s10
.LBB48_86:
	s_delay_alu instid0(SALU_CYCLE_1)
	s_or_b32 exec_lo, exec_lo, s14
.LBB48_87:
	s_delay_alu instid0(SALU_CYCLE_1) | instskip(SKIP_2) | instid1(VALU_DEP_1)
	s_or_b32 exec_lo, exec_lo, s13
	v_and_b32_e32 v16, 0xffff0000, v16
	s_mov_b32 s13, exec_lo
	v_trunc_f32_e32 v21, v16
	s_delay_alu instid0(VALU_DEP_1) | instskip(NEXT) | instid1(VALU_DEP_1)
	v_mul_f32_e64 v22, 0x2f800000, |v21|
	v_floor_f32_e32 v22, v22
	s_delay_alu instid0(VALU_DEP_1) | instskip(SKIP_2) | instid1(VALU_DEP_3)
	v_fma_f32 v23, 0xcf800000, v22, |v21|
	v_ashrrev_i32_e32 v21, 31, v21
	v_cvt_u32_f32_e32 v22, v22
	v_cvt_u32_f32_e32 v23, v23
	s_delay_alu instid0(VALU_DEP_2) | instskip(NEXT) | instid1(VALU_DEP_2)
	v_xor_b32_e32 v22, v22, v21
	v_xor_b32_e32 v23, v23, v21
	s_delay_alu instid0(VALU_DEP_1) | instskip(NEXT) | instid1(VALU_DEP_3)
	v_sub_co_u32 v23, vcc_lo, v23, v21
	v_sub_co_ci_u32_e32 v21, vcc_lo, v22, v21, vcc_lo
	v_cmp_class_f32_e64 vcc_lo, v16, 0x1f8
	v_mov_b32_e32 v16, 0
	s_delay_alu instid0(VALU_DEP_3) | instskip(NEXT) | instid1(VALU_DEP_1)
	v_dual_cndmask_b32 v22, -1, v21 :: v_dual_cndmask_b32 v21, -1, v23
	v_cmpx_lt_i64_e32 -1, v[21:22]
	s_cbranch_execz .LBB48_99
; %bb.88:
	v_mov_b32_e32 v16, 1.0
	s_mov_b32 s14, exec_lo
	v_cmpx_lt_i64_e32 0, v[21:22]
	s_cbranch_execz .LBB48_98
; %bb.89:
	s_mov_b32 s10, exec_lo
	v_cmpx_ne_u64_e32 1, v[21:22]
	s_xor_b32 s16, exec_lo, s10
	s_cbranch_execz .LBB48_95
; %bb.90:
	v_mov_b32_e32 v16, 0x7fc00000
	s_mov_b32 s17, exec_lo
	v_cmpx_gt_u64_e32 0x81, v[21:22]
	s_cbranch_execz .LBB48_94
; %bb.91:
	v_dual_add_f32 v23, v24, v24 :: v_dual_mov_b32 v24, 1.0
	v_lshlrev_b64 v[21:22], 1, v[21:22]
	s_mov_b64 s[10:11], 2
	s_mov_b32 s18, 0
	s_delay_alu instid0(VALU_DEP_2)
	v_mov_b32_e32 v16, v23
	.p2align	6
.LBB48_92:                              ; =>This Inner Loop Header: Depth=1
	s_clz_i32_u32 s19, s11
	s_delay_alu instid0(SALU_CYCLE_1) | instskip(NEXT) | instid1(SALU_CYCLE_1)
	s_min_u32 s19, s19, 32
	s_lshl_b64 s[20:21], s[10:11], s19
	s_sub_i32 s19, 32, s19
	s_min_u32 s20, s20, 1
	s_delay_alu instid0(SALU_CYCLE_1) | instskip(SKIP_3) | instid1(SALU_CYCLE_1)
	s_or_b32 s20, s21, s20
	s_add_u32 s10, s10, 2
	v_cvt_f32_u32_e32 v49, s20
	s_addc_u32 s11, s11, 0
	v_cmp_ge_u64_e32 vcc_lo, s[10:11], v[21:22]
	s_delay_alu instid0(VALU_DEP_2) | instskip(SKIP_1) | instid1(VALU_DEP_1)
	v_ldexp_f32 v49, v49, s19
	s_or_b32 s18, vcc_lo, s18
	v_mul_f32_e32 v49, v24, v49
	v_mov_b32_e32 v24, v16
	s_delay_alu instid0(VALU_DEP_2)
	v_fma_f32 v16, v23, v16, -v49
	s_and_not1_b32 exec_lo, exec_lo, s18
	s_cbranch_execnz .LBB48_92
; %bb.93:
	s_or_b32 exec_lo, exec_lo, s18
.LBB48_94:
	s_delay_alu instid0(SALU_CYCLE_1)
	s_or_b32 exec_lo, exec_lo, s17
                                        ; implicit-def: $vgpr21_vgpr22_vgpr23_vgpr24
.LBB48_95:
	s_and_not1_saveexec_b32 s10, s16
; %bb.96:
	v_add_f32_e32 v16, v24, v24
; %bb.97:
	s_or_b32 exec_lo, exec_lo, s10
.LBB48_98:
	s_delay_alu instid0(SALU_CYCLE_1)
	s_or_b32 exec_lo, exec_lo, s14
.LBB48_99:
	s_delay_alu instid0(SALU_CYCLE_1) | instskip(SKIP_3) | instid1(VALU_DEP_1)
	s_or_b32 exec_lo, exec_lo, s13
	s_waitcnt vmcnt(2)
	v_lshlrev_b32_e32 v21, 16, v33
	s_mov_b32 s13, exec_lo
	v_trunc_f32_e32 v22, v21
	s_delay_alu instid0(VALU_DEP_1) | instskip(NEXT) | instid1(VALU_DEP_1)
	v_mul_f32_e64 v23, 0x2f800000, |v22|
	v_floor_f32_e32 v23, v23
	s_delay_alu instid0(VALU_DEP_1) | instskip(SKIP_2) | instid1(VALU_DEP_3)
	v_fma_f32 v24, 0xcf800000, v23, |v22|
	v_ashrrev_i32_e32 v22, 31, v22
	v_cvt_u32_f32_e32 v23, v23
	v_cvt_u32_f32_e32 v24, v24
	s_delay_alu instid0(VALU_DEP_2) | instskip(NEXT) | instid1(VALU_DEP_2)
	v_xor_b32_e32 v23, v23, v22
	v_xor_b32_e32 v24, v24, v22
	s_delay_alu instid0(VALU_DEP_1) | instskip(NEXT) | instid1(VALU_DEP_3)
	v_sub_co_u32 v24, vcc_lo, v24, v22
	v_sub_co_ci_u32_e32 v22, vcc_lo, v23, v22, vcc_lo
	v_cmp_class_f32_e64 vcc_lo, v21, 0x1f8
	v_mov_b32_e32 v21, 0
	s_delay_alu instid0(VALU_DEP_3) | instskip(NEXT) | instid1(VALU_DEP_1)
	v_dual_cndmask_b32 v23, -1, v22 :: v_dual_cndmask_b32 v22, -1, v24
	v_cmpx_lt_i64_e32 -1, v[22:23]
	s_cbranch_execz .LBB48_111
; %bb.100:
	v_mov_b32_e32 v21, 1.0
	s_mov_b32 s14, exec_lo
	v_cmpx_lt_i64_e32 0, v[22:23]
	s_cbranch_execz .LBB48_110
; %bb.101:
                                        ; implicit-def: $vgpr21
	s_mov_b32 s10, exec_lo
	v_cmpx_ne_u64_e32 1, v[22:23]
	s_xor_b32 s16, exec_lo, s10
	s_cbranch_execz .LBB48_107
; %bb.102:
	v_mov_b32_e32 v21, 0x7fc00000
	s_mov_b32 s17, exec_lo
	v_cmpx_gt_u64_e32 0x81, v[22:23]
	s_cbranch_execz .LBB48_106
; %bb.103:
	v_dual_add_f32 v24, v45, v45 :: v_dual_mov_b32 v49, 1.0
	v_lshlrev_b64 v[22:23], 1, v[22:23]
	s_mov_b64 s[10:11], 2
	s_mov_b32 s18, 0
	s_delay_alu instid0(VALU_DEP_2)
	v_mov_b32_e32 v21, v24
	.p2align	6
.LBB48_104:                             ; =>This Inner Loop Header: Depth=1
	s_clz_i32_u32 s19, s11
	s_delay_alu instid0(SALU_CYCLE_1) | instskip(NEXT) | instid1(SALU_CYCLE_1)
	s_min_u32 s19, s19, 32
	s_lshl_b64 s[20:21], s[10:11], s19
	s_sub_i32 s19, 32, s19
	s_min_u32 s20, s20, 1
	s_delay_alu instid0(SALU_CYCLE_1) | instskip(SKIP_3) | instid1(SALU_CYCLE_1)
	s_or_b32 s20, s21, s20
	s_add_u32 s10, s10, 2
	v_cvt_f32_u32_e32 v50, s20
	s_addc_u32 s11, s11, 0
	v_cmp_ge_u64_e32 vcc_lo, s[10:11], v[22:23]
	s_delay_alu instid0(VALU_DEP_2) | instskip(SKIP_1) | instid1(VALU_DEP_1)
	v_ldexp_f32 v50, v50, s19
	s_or_b32 s18, vcc_lo, s18
	v_mul_f32_e32 v50, v49, v50
	v_mov_b32_e32 v49, v21
	s_delay_alu instid0(VALU_DEP_2)
	v_fma_f32 v21, v24, v21, -v50
	s_and_not1_b32 exec_lo, exec_lo, s18
	s_cbranch_execnz .LBB48_104
; %bb.105:
	s_or_b32 exec_lo, exec_lo, s18
.LBB48_106:
	s_delay_alu instid0(SALU_CYCLE_1)
	s_or_b32 exec_lo, exec_lo, s17
.LBB48_107:
	s_and_not1_saveexec_b32 s10, s16
; %bb.108:
	v_add_f32_e32 v21, v45, v45
; %bb.109:
	s_or_b32 exec_lo, exec_lo, s10
.LBB48_110:
	s_delay_alu instid0(SALU_CYCLE_1)
	s_or_b32 exec_lo, exec_lo, s14
.LBB48_111:
	s_delay_alu instid0(SALU_CYCLE_1) | instskip(SKIP_2) | instid1(VALU_DEP_1)
	s_or_b32 exec_lo, exec_lo, s13
	v_and_b32_e32 v22, 0xffff0000, v33
	s_mov_b32 s13, exec_lo
	v_trunc_f32_e32 v23, v22
	s_delay_alu instid0(VALU_DEP_1) | instskip(NEXT) | instid1(VALU_DEP_1)
	v_mul_f32_e64 v24, 0x2f800000, |v23|
	v_floor_f32_e32 v24, v24
	s_delay_alu instid0(VALU_DEP_1) | instskip(SKIP_2) | instid1(VALU_DEP_3)
	v_fma_f32 v33, 0xcf800000, v24, |v23|
	v_ashrrev_i32_e32 v23, 31, v23
	v_cvt_u32_f32_e32 v24, v24
	v_cvt_u32_f32_e32 v33, v33
	s_delay_alu instid0(VALU_DEP_2) | instskip(NEXT) | instid1(VALU_DEP_2)
	v_xor_b32_e32 v24, v24, v23
	v_xor_b32_e32 v33, v33, v23
	s_delay_alu instid0(VALU_DEP_1) | instskip(NEXT) | instid1(VALU_DEP_3)
	v_sub_co_u32 v33, vcc_lo, v33, v23
	v_sub_co_ci_u32_e32 v23, vcc_lo, v24, v23, vcc_lo
	v_cmp_class_f32_e64 vcc_lo, v22, 0x1f8
	v_mov_b32_e32 v22, 0
	s_delay_alu instid0(VALU_DEP_3) | instskip(NEXT) | instid1(VALU_DEP_1)
	v_dual_cndmask_b32 v24, -1, v23 :: v_dual_cndmask_b32 v23, -1, v33
	v_cmpx_lt_i64_e32 -1, v[23:24]
	s_cbranch_execz .LBB48_123
; %bb.112:
	v_mov_b32_e32 v22, 1.0
	s_mov_b32 s14, exec_lo
	v_cmpx_lt_i64_e32 0, v[23:24]
	s_cbranch_execz .LBB48_122
; %bb.113:
	s_mov_b32 s10, exec_lo
	v_cmpx_ne_u64_e32 1, v[23:24]
	s_xor_b32 s16, exec_lo, s10
	s_cbranch_execz .LBB48_119
; %bb.114:
	v_mov_b32_e32 v22, 0x7fc00000
	s_mov_b32 s17, exec_lo
	v_cmpx_gt_u64_e32 0x81, v[23:24]
	s_cbranch_execz .LBB48_118
; %bb.115:
	v_add_f32_e32 v33, v46, v46
	v_lshlrev_b64 v[23:24], 1, v[23:24]
	v_mov_b32_e32 v45, 1.0
	s_mov_b64 s[10:11], 2
	s_mov_b32 s18, 0
	v_mov_b32_e32 v22, v33
	.p2align	6
.LBB48_116:                             ; =>This Inner Loop Header: Depth=1
	s_clz_i32_u32 s19, s11
	s_delay_alu instid0(SALU_CYCLE_1) | instskip(NEXT) | instid1(SALU_CYCLE_1)
	s_min_u32 s19, s19, 32
	s_lshl_b64 s[20:21], s[10:11], s19
	s_sub_i32 s19, 32, s19
	s_min_u32 s20, s20, 1
	s_delay_alu instid0(SALU_CYCLE_1) | instskip(SKIP_3) | instid1(SALU_CYCLE_1)
	s_or_b32 s20, s21, s20
	s_add_u32 s10, s10, 2
	v_cvt_f32_u32_e32 v49, s20
	s_addc_u32 s11, s11, 0
	v_cmp_ge_u64_e32 vcc_lo, s[10:11], v[23:24]
	s_delay_alu instid0(VALU_DEP_2) | instskip(SKIP_1) | instid1(VALU_DEP_1)
	v_ldexp_f32 v49, v49, s19
	s_or_b32 s18, vcc_lo, s18
	v_mul_f32_e32 v49, v45, v49
	v_mov_b32_e32 v45, v22
	s_delay_alu instid0(VALU_DEP_2)
	v_fma_f32 v22, v33, v22, -v49
	s_and_not1_b32 exec_lo, exec_lo, s18
	s_cbranch_execnz .LBB48_116
; %bb.117:
	s_or_b32 exec_lo, exec_lo, s18
.LBB48_118:
	s_delay_alu instid0(SALU_CYCLE_1)
	s_or_b32 exec_lo, exec_lo, s17
.LBB48_119:
	s_and_not1_saveexec_b32 s10, s16
; %bb.120:
	v_add_f32_e32 v22, v46, v46
; %bb.121:
	s_or_b32 exec_lo, exec_lo, s10
.LBB48_122:
	s_delay_alu instid0(SALU_CYCLE_1)
	s_or_b32 exec_lo, exec_lo, s14
.LBB48_123:
	s_delay_alu instid0(SALU_CYCLE_1) | instskip(SKIP_2) | instid1(VALU_DEP_1)
	s_or_b32 exec_lo, exec_lo, s13
	v_lshlrev_b32_e32 v23, 16, v34
	s_mov_b32 s13, exec_lo
	v_trunc_f32_e32 v24, v23
	s_delay_alu instid0(VALU_DEP_1) | instskip(NEXT) | instid1(VALU_DEP_1)
	v_mul_f32_e64 v33, 0x2f800000, |v24|
	v_floor_f32_e32 v33, v33
	s_delay_alu instid0(VALU_DEP_1) | instskip(SKIP_2) | instid1(VALU_DEP_3)
	v_fma_f32 v45, 0xcf800000, v33, |v24|
	v_ashrrev_i32_e32 v24, 31, v24
	v_cvt_u32_f32_e32 v33, v33
	v_cvt_u32_f32_e32 v45, v45
	s_delay_alu instid0(VALU_DEP_2) | instskip(NEXT) | instid1(VALU_DEP_2)
	v_xor_b32_e32 v33, v33, v24
	v_xor_b32_e32 v45, v45, v24
	s_delay_alu instid0(VALU_DEP_1) | instskip(NEXT) | instid1(VALU_DEP_3)
	v_sub_co_u32 v45, vcc_lo, v45, v24
	v_sub_co_ci_u32_e32 v24, vcc_lo, v33, v24, vcc_lo
	v_cmp_class_f32_e64 vcc_lo, v23, 0x1f8
	s_delay_alu instid0(VALU_DEP_2) | instskip(NEXT) | instid1(VALU_DEP_4)
	v_dual_mov_b32 v23, 0 :: v_dual_cndmask_b32 v46, -1, v24
	v_cndmask_b32_e32 v45, -1, v45, vcc_lo
	s_delay_alu instid0(VALU_DEP_1)
	v_cmpx_lt_i64_e32 -1, v[45:46]
	s_cbranch_execz .LBB48_135
; %bb.124:
	v_mov_b32_e32 v23, 1.0
	s_mov_b32 s14, exec_lo
	v_cmpx_lt_i64_e32 0, v[45:46]
	s_cbranch_execz .LBB48_134
; %bb.125:
	s_mov_b32 s10, exec_lo
	v_cmpx_ne_u64_e32 1, v[45:46]
	s_xor_b32 s16, exec_lo, s10
	s_cbranch_execz .LBB48_131
; %bb.126:
	v_mov_b32_e32 v23, 0x7fc00000
	s_mov_b32 s17, exec_lo
	v_cmpx_gt_u64_e32 0x81, v[45:46]
	s_cbranch_execz .LBB48_130
; %bb.127:
	v_dual_add_f32 v24, v47, v47 :: v_dual_mov_b32 v33, 1.0
	v_lshlrev_b64 v[45:46], 1, v[45:46]
	s_mov_b64 s[10:11], 2
	s_mov_b32 s18, 0
	s_delay_alu instid0(VALU_DEP_2)
	v_mov_b32_e32 v23, v24
	.p2align	6
.LBB48_128:                             ; =>This Inner Loop Header: Depth=1
	s_clz_i32_u32 s19, s11
	s_delay_alu instid0(SALU_CYCLE_1) | instskip(NEXT) | instid1(SALU_CYCLE_1)
	s_min_u32 s19, s19, 32
	s_lshl_b64 s[20:21], s[10:11], s19
	s_sub_i32 s19, 32, s19
	s_min_u32 s20, s20, 1
	s_delay_alu instid0(SALU_CYCLE_1) | instskip(SKIP_3) | instid1(SALU_CYCLE_1)
	s_or_b32 s20, s21, s20
	s_add_u32 s10, s10, 2
	v_cvt_f32_u32_e32 v49, s20
	s_addc_u32 s11, s11, 0
	v_cmp_ge_u64_e32 vcc_lo, s[10:11], v[45:46]
	s_delay_alu instid0(VALU_DEP_2) | instskip(SKIP_1) | instid1(VALU_DEP_1)
	v_ldexp_f32 v49, v49, s19
	s_or_b32 s18, vcc_lo, s18
	v_mul_f32_e32 v49, v33, v49
	v_mov_b32_e32 v33, v23
	s_delay_alu instid0(VALU_DEP_2)
	v_fma_f32 v23, v24, v23, -v49
	s_and_not1_b32 exec_lo, exec_lo, s18
	s_cbranch_execnz .LBB48_128
; %bb.129:
	s_or_b32 exec_lo, exec_lo, s18
.LBB48_130:
	s_delay_alu instid0(SALU_CYCLE_1)
	s_or_b32 exec_lo, exec_lo, s17
.LBB48_131:
	s_and_not1_saveexec_b32 s10, s16
; %bb.132:
	v_add_f32_e32 v23, v47, v47
; %bb.133:
	s_or_b32 exec_lo, exec_lo, s10
.LBB48_134:
	s_delay_alu instid0(SALU_CYCLE_1)
	s_or_b32 exec_lo, exec_lo, s14
.LBB48_135:
	s_delay_alu instid0(SALU_CYCLE_1) | instskip(SKIP_2) | instid1(VALU_DEP_1)
	s_or_b32 exec_lo, exec_lo, s13
	v_and_b32_e32 v24, 0xffff0000, v34
	s_mov_b32 s13, exec_lo
	v_trunc_f32_e32 v33, v24
	s_delay_alu instid0(VALU_DEP_1) | instskip(NEXT) | instid1(VALU_DEP_1)
	v_mul_f32_e64 v34, 0x2f800000, |v33|
	v_floor_f32_e32 v34, v34
	s_delay_alu instid0(VALU_DEP_1) | instskip(SKIP_2) | instid1(VALU_DEP_3)
	v_fma_f32 v45, 0xcf800000, v34, |v33|
	v_ashrrev_i32_e32 v33, 31, v33
	v_cvt_u32_f32_e32 v34, v34
	v_cvt_u32_f32_e32 v45, v45
	s_delay_alu instid0(VALU_DEP_2) | instskip(NEXT) | instid1(VALU_DEP_2)
	v_xor_b32_e32 v34, v34, v33
	v_xor_b32_e32 v45, v45, v33
	s_delay_alu instid0(VALU_DEP_1) | instskip(NEXT) | instid1(VALU_DEP_3)
	v_sub_co_u32 v45, vcc_lo, v45, v33
	v_sub_co_ci_u32_e32 v33, vcc_lo, v34, v33, vcc_lo
	v_cmp_class_f32_e64 vcc_lo, v24, 0x1f8
	v_mov_b32_e32 v24, 0
	s_delay_alu instid0(VALU_DEP_3) | instskip(SKIP_1) | instid1(VALU_DEP_1)
	v_cndmask_b32_e32 v34, -1, v33, vcc_lo
	v_cndmask_b32_e32 v33, -1, v45, vcc_lo
	v_cmpx_lt_i64_e32 -1, v[33:34]
	s_cbranch_execz .LBB48_147
; %bb.136:
	v_mov_b32_e32 v24, 1.0
	s_mov_b32 s14, exec_lo
	v_cmpx_lt_i64_e32 0, v[33:34]
	s_cbranch_execz .LBB48_146
; %bb.137:
	s_mov_b32 s10, exec_lo
	v_cmpx_ne_u64_e32 1, v[33:34]
	s_xor_b32 s16, exec_lo, s10
	s_cbranch_execz .LBB48_143
; %bb.138:
	v_mov_b32_e32 v24, 0x7fc00000
	s_mov_b32 s17, exec_lo
	v_cmpx_gt_u64_e32 0x81, v[33:34]
	s_cbranch_execz .LBB48_142
; %bb.139:
	v_dual_add_f32 v45, v48, v48 :: v_dual_mov_b32 v46, 1.0
	v_lshlrev_b64 v[33:34], 1, v[33:34]
	s_mov_b64 s[10:11], 2
	s_mov_b32 s18, 0
	s_delay_alu instid0(VALU_DEP_2)
	v_mov_b32_e32 v24, v45
	.p2align	6
.LBB48_140:                             ; =>This Inner Loop Header: Depth=1
	s_clz_i32_u32 s19, s11
	s_delay_alu instid0(SALU_CYCLE_1) | instskip(NEXT) | instid1(SALU_CYCLE_1)
	s_min_u32 s19, s19, 32
	s_lshl_b64 s[20:21], s[10:11], s19
	s_sub_i32 s19, 32, s19
	s_min_u32 s20, s20, 1
	s_delay_alu instid0(SALU_CYCLE_1) | instskip(SKIP_3) | instid1(SALU_CYCLE_1)
	s_or_b32 s20, s21, s20
	s_add_u32 s10, s10, 2
	v_cvt_f32_u32_e32 v47, s20
	s_addc_u32 s11, s11, 0
	v_cmp_ge_u64_e32 vcc_lo, s[10:11], v[33:34]
	s_delay_alu instid0(VALU_DEP_2) | instskip(SKIP_1) | instid1(VALU_DEP_1)
	v_ldexp_f32 v47, v47, s19
	s_or_b32 s18, vcc_lo, s18
	v_dual_mul_f32 v47, v46, v47 :: v_dual_mov_b32 v46, v24
	s_delay_alu instid0(VALU_DEP_1)
	v_fma_f32 v24, v45, v24, -v47
	s_and_not1_b32 exec_lo, exec_lo, s18
	s_cbranch_execnz .LBB48_140
; %bb.141:
	s_or_b32 exec_lo, exec_lo, s18
.LBB48_142:
	s_delay_alu instid0(SALU_CYCLE_1)
	s_or_b32 exec_lo, exec_lo, s17
                                        ; implicit-def: $vgpr45_vgpr46_vgpr47_vgpr48
.LBB48_143:
	s_and_not1_saveexec_b32 s10, s16
; %bb.144:
	v_add_f32_e32 v24, v48, v48
; %bb.145:
	s_or_b32 exec_lo, exec_lo, s10
.LBB48_146:
	s_delay_alu instid0(SALU_CYCLE_1)
	s_or_b32 exec_lo, exec_lo, s14
.LBB48_147:
	s_delay_alu instid0(SALU_CYCLE_1) | instskip(SKIP_2) | instid1(VALU_DEP_1)
	s_or_b32 exec_lo, exec_lo, s13
	v_lshlrev_b32_e32 v33, 16, v35
	s_mov_b32 s13, exec_lo
	v_trunc_f32_e32 v34, v33
	s_delay_alu instid0(VALU_DEP_1) | instskip(NEXT) | instid1(VALU_DEP_1)
	v_mul_f32_e64 v45, 0x2f800000, |v34|
	v_floor_f32_e32 v45, v45
	s_delay_alu instid0(VALU_DEP_1) | instskip(SKIP_2) | instid1(VALU_DEP_3)
	v_fma_f32 v46, 0xcf800000, v45, |v34|
	v_ashrrev_i32_e32 v34, 31, v34
	v_cvt_u32_f32_e32 v45, v45
	v_cvt_u32_f32_e32 v46, v46
	s_delay_alu instid0(VALU_DEP_2) | instskip(NEXT) | instid1(VALU_DEP_2)
	v_xor_b32_e32 v45, v45, v34
	v_xor_b32_e32 v46, v46, v34
	s_delay_alu instid0(VALU_DEP_1) | instskip(NEXT) | instid1(VALU_DEP_3)
	v_sub_co_u32 v47, vcc_lo, v46, v34
	v_sub_co_ci_u32_e32 v34, vcc_lo, v45, v34, vcc_lo
	v_cmp_class_f32_e64 vcc_lo, v33, 0x1f8
	s_delay_alu instid0(VALU_DEP_2) | instskip(NEXT) | instid1(VALU_DEP_4)
	v_dual_mov_b32 v33, 0 :: v_dual_cndmask_b32 v46, -1, v34
	v_cndmask_b32_e32 v45, -1, v47, vcc_lo
	s_delay_alu instid0(VALU_DEP_1)
	v_cmpx_lt_i64_e32 -1, v[45:46]
	s_cbranch_execz .LBB48_159
; %bb.148:
	v_mov_b32_e32 v33, 1.0
	s_mov_b32 s14, exec_lo
	v_cmpx_lt_i64_e32 0, v[45:46]
	s_cbranch_execz .LBB48_158
; %bb.149:
                                        ; implicit-def: $vgpr33
	s_mov_b32 s10, exec_lo
	v_cmpx_ne_u64_e32 1, v[45:46]
	s_xor_b32 s16, exec_lo, s10
	s_cbranch_execz .LBB48_155
; %bb.150:
	v_mov_b32_e32 v33, 0x7fc00000
	s_mov_b32 s17, exec_lo
	v_cmpx_gt_u64_e32 0x81, v[45:46]
	s_cbranch_execz .LBB48_154
; %bb.151:
	v_dual_add_f32 v34, v41, v41 :: v_dual_mov_b32 v47, 1.0
	v_lshlrev_b64 v[45:46], 1, v[45:46]
	s_mov_b64 s[10:11], 2
	s_mov_b32 s18, 0
	s_delay_alu instid0(VALU_DEP_2)
	v_mov_b32_e32 v33, v34
	.p2align	6
.LBB48_152:                             ; =>This Inner Loop Header: Depth=1
	s_clz_i32_u32 s19, s11
	s_delay_alu instid0(SALU_CYCLE_1) | instskip(NEXT) | instid1(SALU_CYCLE_1)
	s_min_u32 s19, s19, 32
	s_lshl_b64 s[20:21], s[10:11], s19
	s_sub_i32 s19, 32, s19
	s_min_u32 s20, s20, 1
	s_delay_alu instid0(SALU_CYCLE_1) | instskip(SKIP_3) | instid1(SALU_CYCLE_1)
	s_or_b32 s20, s21, s20
	s_add_u32 s10, s10, 2
	v_cvt_f32_u32_e32 v48, s20
	s_addc_u32 s11, s11, 0
	v_cmp_ge_u64_e32 vcc_lo, s[10:11], v[45:46]
	s_delay_alu instid0(VALU_DEP_2) | instskip(SKIP_1) | instid1(VALU_DEP_1)
	v_ldexp_f32 v48, v48, s19
	s_or_b32 s18, vcc_lo, s18
	v_dual_mul_f32 v48, v47, v48 :: v_dual_mov_b32 v47, v33
	s_delay_alu instid0(VALU_DEP_1)
	v_fma_f32 v33, v34, v33, -v48
	s_and_not1_b32 exec_lo, exec_lo, s18
	s_cbranch_execnz .LBB48_152
; %bb.153:
	s_or_b32 exec_lo, exec_lo, s18
.LBB48_154:
	s_delay_alu instid0(SALU_CYCLE_1)
	s_or_b32 exec_lo, exec_lo, s17
.LBB48_155:
	s_and_not1_saveexec_b32 s10, s16
; %bb.156:
	v_add_f32_e32 v33, v41, v41
; %bb.157:
	s_or_b32 exec_lo, exec_lo, s10
.LBB48_158:
	s_delay_alu instid0(SALU_CYCLE_1)
	s_or_b32 exec_lo, exec_lo, s14
.LBB48_159:
	s_delay_alu instid0(SALU_CYCLE_1) | instskip(SKIP_2) | instid1(VALU_DEP_1)
	s_or_b32 exec_lo, exec_lo, s13
	v_and_b32_e32 v34, 0xffff0000, v35
	s_mov_b32 s13, exec_lo
	v_trunc_f32_e32 v35, v34
	s_delay_alu instid0(VALU_DEP_1) | instskip(NEXT) | instid1(VALU_DEP_1)
	v_mul_f32_e64 v41, 0x2f800000, |v35|
	v_floor_f32_e32 v41, v41
	s_delay_alu instid0(VALU_DEP_1) | instskip(SKIP_2) | instid1(VALU_DEP_3)
	v_fma_f32 v45, 0xcf800000, v41, |v35|
	v_ashrrev_i32_e32 v35, 31, v35
	v_cvt_u32_f32_e32 v41, v41
	v_cvt_u32_f32_e32 v45, v45
	s_delay_alu instid0(VALU_DEP_2) | instskip(NEXT) | instid1(VALU_DEP_2)
	v_xor_b32_e32 v41, v41, v35
	v_xor_b32_e32 v45, v45, v35
	s_delay_alu instid0(VALU_DEP_1) | instskip(NEXT) | instid1(VALU_DEP_3)
	v_sub_co_u32 v45, vcc_lo, v45, v35
	v_sub_co_ci_u32_e32 v35, vcc_lo, v41, v35, vcc_lo
	v_cmp_class_f32_e64 vcc_lo, v34, 0x1f8
	s_delay_alu instid0(VALU_DEP_3) | instskip(NEXT) | instid1(VALU_DEP_3)
	v_dual_mov_b32 v34, 0 :: v_dual_cndmask_b32 v45, -1, v45
	v_cndmask_b32_e32 v46, -1, v35, vcc_lo
	s_delay_alu instid0(VALU_DEP_1)
	v_cmpx_lt_i64_e32 -1, v[45:46]
	s_cbranch_execz .LBB48_171
; %bb.160:
	v_mov_b32_e32 v34, 1.0
	s_mov_b32 s14, exec_lo
	v_cmpx_lt_i64_e32 0, v[45:46]
	s_cbranch_execz .LBB48_170
; %bb.161:
	s_mov_b32 s10, exec_lo
	v_cmpx_ne_u64_e32 1, v[45:46]
	s_xor_b32 s16, exec_lo, s10
	s_cbranch_execz .LBB48_167
; %bb.162:
	v_mov_b32_e32 v34, 0x7fc00000
	s_mov_b32 s17, exec_lo
	v_cmpx_gt_u64_e32 0x81, v[45:46]
	s_cbranch_execz .LBB48_166
; %bb.163:
	v_add_f32_e32 v35, v42, v42
	v_lshlrev_b64 v[45:46], 1, v[45:46]
	v_mov_b32_e32 v41, 1.0
	s_mov_b64 s[10:11], 2
	s_mov_b32 s18, 0
	v_mov_b32_e32 v34, v35
	.p2align	6
.LBB48_164:                             ; =>This Inner Loop Header: Depth=1
	s_clz_i32_u32 s19, s11
	s_delay_alu instid0(SALU_CYCLE_1) | instskip(NEXT) | instid1(SALU_CYCLE_1)
	s_min_u32 s19, s19, 32
	s_lshl_b64 s[20:21], s[10:11], s19
	s_sub_i32 s19, 32, s19
	s_min_u32 s20, s20, 1
	s_delay_alu instid0(SALU_CYCLE_1) | instskip(SKIP_3) | instid1(SALU_CYCLE_1)
	s_or_b32 s20, s21, s20
	s_add_u32 s10, s10, 2
	v_cvt_f32_u32_e32 v47, s20
	s_addc_u32 s11, s11, 0
	v_cmp_ge_u64_e32 vcc_lo, s[10:11], v[45:46]
	s_delay_alu instid0(VALU_DEP_2) | instskip(SKIP_1) | instid1(VALU_DEP_1)
	v_ldexp_f32 v47, v47, s19
	s_or_b32 s18, vcc_lo, s18
	v_mul_f32_e32 v47, v41, v47
	v_mov_b32_e32 v41, v34
	s_delay_alu instid0(VALU_DEP_2)
	v_fma_f32 v34, v35, v34, -v47
	s_and_not1_b32 exec_lo, exec_lo, s18
	s_cbranch_execnz .LBB48_164
; %bb.165:
	s_or_b32 exec_lo, exec_lo, s18
.LBB48_166:
	s_delay_alu instid0(SALU_CYCLE_1)
	s_or_b32 exec_lo, exec_lo, s17
.LBB48_167:
	s_and_not1_saveexec_b32 s10, s16
; %bb.168:
	v_add_f32_e32 v34, v42, v42
; %bb.169:
	s_or_b32 exec_lo, exec_lo, s10
.LBB48_170:
	s_delay_alu instid0(SALU_CYCLE_1)
	s_or_b32 exec_lo, exec_lo, s14
.LBB48_171:
	s_delay_alu instid0(SALU_CYCLE_1) | instskip(SKIP_2) | instid1(VALU_DEP_1)
	s_or_b32 exec_lo, exec_lo, s13
	v_lshlrev_b32_e32 v35, 16, v36
	s_mov_b32 s13, exec_lo
	v_trunc_f32_e32 v41, v35
	s_delay_alu instid0(VALU_DEP_1) | instskip(NEXT) | instid1(VALU_DEP_1)
	v_mul_f32_e64 v42, 0x2f800000, |v41|
	v_floor_f32_e32 v42, v42
	s_delay_alu instid0(VALU_DEP_1) | instskip(SKIP_2) | instid1(VALU_DEP_3)
	v_fma_f32 v45, 0xcf800000, v42, |v41|
	v_ashrrev_i32_e32 v41, 31, v41
	v_cvt_u32_f32_e32 v42, v42
	v_cvt_u32_f32_e32 v45, v45
	s_delay_alu instid0(VALU_DEP_2) | instskip(NEXT) | instid1(VALU_DEP_2)
	v_xor_b32_e32 v42, v42, v41
	v_xor_b32_e32 v45, v45, v41
	s_delay_alu instid0(VALU_DEP_1) | instskip(NEXT) | instid1(VALU_DEP_3)
	v_sub_co_u32 v45, vcc_lo, v45, v41
	v_sub_co_ci_u32_e32 v41, vcc_lo, v42, v41, vcc_lo
	v_cmp_class_f32_e64 vcc_lo, v35, 0x1f8
	s_delay_alu instid0(VALU_DEP_2) | instskip(NEXT) | instid1(VALU_DEP_4)
	v_dual_mov_b32 v35, 0 :: v_dual_cndmask_b32 v42, -1, v41
	v_cndmask_b32_e32 v41, -1, v45, vcc_lo
	s_delay_alu instid0(VALU_DEP_1)
	v_cmpx_lt_i64_e32 -1, v[41:42]
	s_cbranch_execz .LBB48_183
; %bb.172:
	v_mov_b32_e32 v35, 1.0
	s_mov_b32 s14, exec_lo
	v_cmpx_lt_i64_e32 0, v[41:42]
	s_cbranch_execz .LBB48_182
; %bb.173:
	s_mov_b32 s10, exec_lo
	v_cmpx_ne_u64_e32 1, v[41:42]
	s_xor_b32 s16, exec_lo, s10
	s_cbranch_execz .LBB48_179
; %bb.174:
	v_mov_b32_e32 v35, 0x7fc00000
	s_mov_b32 s17, exec_lo
	v_cmpx_gt_u64_e32 0x81, v[41:42]
	s_cbranch_execz .LBB48_178
; %bb.175:
	v_dual_add_f32 v45, v43, v43 :: v_dual_mov_b32 v46, 1.0
	v_lshlrev_b64 v[41:42], 1, v[41:42]
	s_mov_b64 s[10:11], 2
	s_mov_b32 s18, 0
	s_delay_alu instid0(VALU_DEP_2)
	v_mov_b32_e32 v35, v45
	.p2align	6
.LBB48_176:                             ; =>This Inner Loop Header: Depth=1
	s_clz_i32_u32 s19, s11
	s_delay_alu instid0(SALU_CYCLE_1) | instskip(NEXT) | instid1(SALU_CYCLE_1)
	s_min_u32 s19, s19, 32
	s_lshl_b64 s[20:21], s[10:11], s19
	s_sub_i32 s19, 32, s19
	s_min_u32 s20, s20, 1
	s_delay_alu instid0(SALU_CYCLE_1) | instskip(SKIP_3) | instid1(SALU_CYCLE_1)
	s_or_b32 s20, s21, s20
	s_add_u32 s10, s10, 2
	v_cvt_f32_u32_e32 v47, s20
	s_addc_u32 s11, s11, 0
	v_cmp_ge_u64_e32 vcc_lo, s[10:11], v[41:42]
	s_delay_alu instid0(VALU_DEP_2) | instskip(SKIP_1) | instid1(VALU_DEP_1)
	v_ldexp_f32 v47, v47, s19
	s_or_b32 s18, vcc_lo, s18
	v_dual_mul_f32 v47, v46, v47 :: v_dual_mov_b32 v46, v35
	s_delay_alu instid0(VALU_DEP_1)
	v_fma_f32 v35, v45, v35, -v47
	s_and_not1_b32 exec_lo, exec_lo, s18
	s_cbranch_execnz .LBB48_176
; %bb.177:
	s_or_b32 exec_lo, exec_lo, s18
.LBB48_178:
	s_delay_alu instid0(SALU_CYCLE_1)
	s_or_b32 exec_lo, exec_lo, s17
.LBB48_179:
	s_and_not1_saveexec_b32 s10, s16
; %bb.180:
	v_add_f32_e32 v35, v43, v43
; %bb.181:
	s_or_b32 exec_lo, exec_lo, s10
.LBB48_182:
	s_delay_alu instid0(SALU_CYCLE_1)
	s_or_b32 exec_lo, exec_lo, s14
.LBB48_183:
	s_delay_alu instid0(SALU_CYCLE_1) | instskip(SKIP_2) | instid1(VALU_DEP_1)
	s_or_b32 exec_lo, exec_lo, s13
	v_and_b32_e32 v36, 0xffff0000, v36
	s_mov_b32 s13, exec_lo
	v_trunc_f32_e32 v41, v36
	s_delay_alu instid0(VALU_DEP_1) | instskip(NEXT) | instid1(VALU_DEP_1)
	v_mul_f32_e64 v42, 0x2f800000, |v41|
	v_floor_f32_e32 v42, v42
	s_delay_alu instid0(VALU_DEP_1) | instskip(SKIP_2) | instid1(VALU_DEP_3)
	v_fma_f32 v43, 0xcf800000, v42, |v41|
	v_ashrrev_i32_e32 v41, 31, v41
	v_cvt_u32_f32_e32 v42, v42
	v_cvt_u32_f32_e32 v43, v43
	s_delay_alu instid0(VALU_DEP_2) | instskip(NEXT) | instid1(VALU_DEP_2)
	v_xor_b32_e32 v42, v42, v41
	v_xor_b32_e32 v43, v43, v41
	s_delay_alu instid0(VALU_DEP_1) | instskip(NEXT) | instid1(VALU_DEP_3)
	v_sub_co_u32 v43, vcc_lo, v43, v41
	v_sub_co_ci_u32_e32 v41, vcc_lo, v42, v41, vcc_lo
	v_cmp_class_f32_e64 vcc_lo, v36, 0x1f8
	v_mov_b32_e32 v36, 0
	s_delay_alu instid0(VALU_DEP_3) | instskip(NEXT) | instid1(VALU_DEP_1)
	v_dual_cndmask_b32 v42, -1, v41 :: v_dual_cndmask_b32 v41, -1, v43
	v_cmpx_lt_i64_e32 -1, v[41:42]
	s_cbranch_execz .LBB48_195
; %bb.184:
	v_mov_b32_e32 v36, 1.0
	s_mov_b32 s14, exec_lo
	v_cmpx_lt_i64_e32 0, v[41:42]
	s_cbranch_execz .LBB48_194
; %bb.185:
	s_mov_b32 s10, exec_lo
	v_cmpx_ne_u64_e32 1, v[41:42]
	s_xor_b32 s16, exec_lo, s10
	s_cbranch_execz .LBB48_191
; %bb.186:
	v_mov_b32_e32 v36, 0x7fc00000
	s_mov_b32 s17, exec_lo
	v_cmpx_gt_u64_e32 0x81, v[41:42]
	s_cbranch_execz .LBB48_190
; %bb.187:
	v_dual_add_f32 v43, v44, v44 :: v_dual_mov_b32 v44, 1.0
	v_lshlrev_b64 v[41:42], 1, v[41:42]
	s_mov_b64 s[10:11], 2
	s_mov_b32 s18, 0
	s_delay_alu instid0(VALU_DEP_2)
	v_mov_b32_e32 v36, v43
	.p2align	6
.LBB48_188:                             ; =>This Inner Loop Header: Depth=1
	s_clz_i32_u32 s19, s11
	s_delay_alu instid0(SALU_CYCLE_1) | instskip(NEXT) | instid1(SALU_CYCLE_1)
	s_min_u32 s19, s19, 32
	s_lshl_b64 s[20:21], s[10:11], s19
	s_sub_i32 s19, 32, s19
	s_min_u32 s20, s20, 1
	s_delay_alu instid0(SALU_CYCLE_1) | instskip(SKIP_3) | instid1(SALU_CYCLE_1)
	s_or_b32 s20, s21, s20
	s_add_u32 s10, s10, 2
	v_cvt_f32_u32_e32 v45, s20
	s_addc_u32 s11, s11, 0
	v_cmp_ge_u64_e32 vcc_lo, s[10:11], v[41:42]
	s_delay_alu instid0(VALU_DEP_2) | instskip(SKIP_1) | instid1(VALU_DEP_1)
	v_ldexp_f32 v45, v45, s19
	s_or_b32 s18, vcc_lo, s18
	v_mul_f32_e32 v45, v44, v45
	v_mov_b32_e32 v44, v36
	s_delay_alu instid0(VALU_DEP_2)
	v_fma_f32 v36, v43, v36, -v45
	s_and_not1_b32 exec_lo, exec_lo, s18
	s_cbranch_execnz .LBB48_188
; %bb.189:
	s_or_b32 exec_lo, exec_lo, s18
.LBB48_190:
	s_delay_alu instid0(SALU_CYCLE_1)
	s_or_b32 exec_lo, exec_lo, s17
                                        ; implicit-def: $vgpr41_vgpr42_vgpr43_vgpr44
.LBB48_191:
	s_and_not1_saveexec_b32 s10, s16
; %bb.192:
	v_add_f32_e32 v36, v44, v44
; %bb.193:
	s_or_b32 exec_lo, exec_lo, s10
.LBB48_194:
	s_delay_alu instid0(SALU_CYCLE_1)
	s_or_b32 exec_lo, exec_lo, s14
.LBB48_195:
	s_delay_alu instid0(SALU_CYCLE_1) | instskip(SKIP_3) | instid1(VALU_DEP_1)
	s_or_b32 exec_lo, exec_lo, s13
	s_waitcnt vmcnt(1)
	v_lshlrev_b32_e32 v41, 16, v29
	s_mov_b32 s13, exec_lo
	v_trunc_f32_e32 v42, v41
	s_delay_alu instid0(VALU_DEP_1) | instskip(NEXT) | instid1(VALU_DEP_1)
	v_mul_f32_e64 v43, 0x2f800000, |v42|
	v_floor_f32_e32 v43, v43
	s_delay_alu instid0(VALU_DEP_1) | instskip(SKIP_2) | instid1(VALU_DEP_3)
	v_fma_f32 v44, 0xcf800000, v43, |v42|
	v_ashrrev_i32_e32 v42, 31, v42
	v_cvt_u32_f32_e32 v43, v43
	v_cvt_u32_f32_e32 v44, v44
	s_delay_alu instid0(VALU_DEP_2) | instskip(NEXT) | instid1(VALU_DEP_2)
	v_xor_b32_e32 v43, v43, v42
	v_xor_b32_e32 v44, v44, v42
	s_delay_alu instid0(VALU_DEP_1) | instskip(NEXT) | instid1(VALU_DEP_3)
	v_sub_co_u32 v44, vcc_lo, v44, v42
	v_sub_co_ci_u32_e32 v42, vcc_lo, v43, v42, vcc_lo
	v_cmp_class_f32_e64 vcc_lo, v41, 0x1f8
	v_mov_b32_e32 v41, 0
	s_delay_alu instid0(VALU_DEP_3) | instskip(NEXT) | instid1(VALU_DEP_1)
	v_dual_cndmask_b32 v43, -1, v42 :: v_dual_cndmask_b32 v42, -1, v44
	v_cmpx_lt_i64_e32 -1, v[42:43]
	s_cbranch_execz .LBB48_207
; %bb.196:
	v_mov_b32_e32 v41, 1.0
	s_mov_b32 s14, exec_lo
	v_cmpx_lt_i64_e32 0, v[42:43]
	s_cbranch_execz .LBB48_206
; %bb.197:
                                        ; implicit-def: $vgpr41
	s_mov_b32 s10, exec_lo
	v_cmpx_ne_u64_e32 1, v[42:43]
	s_xor_b32 s16, exec_lo, s10
	s_cbranch_execz .LBB48_203
; %bb.198:
	v_mov_b32_e32 v41, 0x7fc00000
	s_mov_b32 s17, exec_lo
	v_cmpx_gt_u64_e32 0x81, v[42:43]
	s_cbranch_execz .LBB48_202
; %bb.199:
	v_dual_add_f32 v44, v37, v37 :: v_dual_mov_b32 v45, 1.0
	v_lshlrev_b64 v[42:43], 1, v[42:43]
	s_mov_b64 s[10:11], 2
	s_mov_b32 s18, 0
	s_delay_alu instid0(VALU_DEP_2)
	v_mov_b32_e32 v41, v44
	.p2align	6
.LBB48_200:                             ; =>This Inner Loop Header: Depth=1
	s_clz_i32_u32 s19, s11
	s_delay_alu instid0(SALU_CYCLE_1) | instskip(NEXT) | instid1(SALU_CYCLE_1)
	s_min_u32 s19, s19, 32
	s_lshl_b64 s[20:21], s[10:11], s19
	s_sub_i32 s19, 32, s19
	s_min_u32 s20, s20, 1
	s_delay_alu instid0(SALU_CYCLE_1) | instskip(SKIP_3) | instid1(SALU_CYCLE_1)
	s_or_b32 s20, s21, s20
	s_add_u32 s10, s10, 2
	v_cvt_f32_u32_e32 v46, s20
	s_addc_u32 s11, s11, 0
	v_cmp_ge_u64_e32 vcc_lo, s[10:11], v[42:43]
	s_delay_alu instid0(VALU_DEP_2) | instskip(SKIP_1) | instid1(VALU_DEP_1)
	v_ldexp_f32 v46, v46, s19
	s_or_b32 s18, vcc_lo, s18
	v_mul_f32_e32 v46, v45, v46
	v_mov_b32_e32 v45, v41
	s_delay_alu instid0(VALU_DEP_2)
	v_fma_f32 v41, v44, v41, -v46
	s_and_not1_b32 exec_lo, exec_lo, s18
	s_cbranch_execnz .LBB48_200
; %bb.201:
	s_or_b32 exec_lo, exec_lo, s18
.LBB48_202:
	s_delay_alu instid0(SALU_CYCLE_1)
	s_or_b32 exec_lo, exec_lo, s17
.LBB48_203:
	s_and_not1_saveexec_b32 s10, s16
; %bb.204:
	v_add_f32_e32 v41, v37, v37
; %bb.205:
	s_or_b32 exec_lo, exec_lo, s10
.LBB48_206:
	s_delay_alu instid0(SALU_CYCLE_1)
	s_or_b32 exec_lo, exec_lo, s14
.LBB48_207:
	s_delay_alu instid0(SALU_CYCLE_1) | instskip(SKIP_2) | instid1(VALU_DEP_1)
	s_or_b32 exec_lo, exec_lo, s13
	v_and_b32_e32 v29, 0xffff0000, v29
	s_mov_b32 s13, exec_lo
	v_trunc_f32_e32 v37, v29
	s_delay_alu instid0(VALU_DEP_1) | instskip(NEXT) | instid1(VALU_DEP_1)
	v_mul_f32_e64 v42, 0x2f800000, |v37|
	v_floor_f32_e32 v42, v42
	s_delay_alu instid0(VALU_DEP_1) | instskip(SKIP_2) | instid1(VALU_DEP_3)
	v_fma_f32 v43, 0xcf800000, v42, |v37|
	v_ashrrev_i32_e32 v37, 31, v37
	v_cvt_u32_f32_e32 v42, v42
	v_cvt_u32_f32_e32 v43, v43
	s_delay_alu instid0(VALU_DEP_2) | instskip(NEXT) | instid1(VALU_DEP_2)
	v_xor_b32_e32 v42, v42, v37
	v_xor_b32_e32 v43, v43, v37
	s_delay_alu instid0(VALU_DEP_1) | instskip(NEXT) | instid1(VALU_DEP_3)
	v_sub_co_u32 v43, vcc_lo, v43, v37
	v_sub_co_ci_u32_e32 v37, vcc_lo, v42, v37, vcc_lo
	v_mov_b32_e32 v42, 0
	v_cmp_class_f32_e64 vcc_lo, v29, 0x1f8
	s_delay_alu instid0(VALU_DEP_3) | instskip(NEXT) | instid1(VALU_DEP_1)
	v_dual_cndmask_b32 v44, -1, v37 :: v_dual_cndmask_b32 v43, -1, v43
	v_cmpx_lt_i64_e32 -1, v[43:44]
	s_cbranch_execz .LBB48_219
; %bb.208:
	v_mov_b32_e32 v42, 1.0
	s_mov_b32 s14, exec_lo
	v_cmpx_lt_i64_e32 0, v[43:44]
	s_cbranch_execz .LBB48_218
; %bb.209:
	s_mov_b32 s10, exec_lo
	v_cmpx_ne_u64_e32 1, v[43:44]
	s_xor_b32 s16, exec_lo, s10
	s_cbranch_execz .LBB48_215
; %bb.210:
	v_mov_b32_e32 v42, 0x7fc00000
	s_mov_b32 s17, exec_lo
	v_cmpx_gt_u64_e32 0x81, v[43:44]
	s_cbranch_execz .LBB48_214
; %bb.211:
	v_add_f32_e32 v29, v38, v38
	v_lshlrev_b64 v[43:44], 1, v[43:44]
	v_mov_b32_e32 v37, 1.0
	s_mov_b64 s[10:11], 2
	s_mov_b32 s18, 0
	v_mov_b32_e32 v42, v29
	.p2align	6
.LBB48_212:                             ; =>This Inner Loop Header: Depth=1
	s_clz_i32_u32 s19, s11
	s_delay_alu instid0(SALU_CYCLE_1) | instskip(NEXT) | instid1(SALU_CYCLE_1)
	s_min_u32 s19, s19, 32
	s_lshl_b64 s[20:21], s[10:11], s19
	s_sub_i32 s19, 32, s19
	s_min_u32 s20, s20, 1
	s_delay_alu instid0(SALU_CYCLE_1) | instskip(SKIP_3) | instid1(SALU_CYCLE_1)
	s_or_b32 s20, s21, s20
	s_add_u32 s10, s10, 2
	v_cvt_f32_u32_e32 v45, s20
	s_addc_u32 s11, s11, 0
	v_cmp_ge_u64_e32 vcc_lo, s[10:11], v[43:44]
	s_delay_alu instid0(VALU_DEP_2) | instskip(SKIP_1) | instid1(VALU_DEP_1)
	v_ldexp_f32 v45, v45, s19
	s_or_b32 s18, vcc_lo, s18
	v_mul_f32_e32 v45, v37, v45
	v_mov_b32_e32 v37, v42
	s_delay_alu instid0(VALU_DEP_2)
	v_fma_f32 v42, v29, v42, -v45
	s_and_not1_b32 exec_lo, exec_lo, s18
	s_cbranch_execnz .LBB48_212
; %bb.213:
	s_or_b32 exec_lo, exec_lo, s18
.LBB48_214:
	s_delay_alu instid0(SALU_CYCLE_1)
	s_or_b32 exec_lo, exec_lo, s17
.LBB48_215:
	s_and_not1_saveexec_b32 s10, s16
; %bb.216:
	v_add_f32_e32 v42, v38, v38
; %bb.217:
	s_or_b32 exec_lo, exec_lo, s10
.LBB48_218:
	s_delay_alu instid0(SALU_CYCLE_1)
	s_or_b32 exec_lo, exec_lo, s14
.LBB48_219:
	s_delay_alu instid0(SALU_CYCLE_1) | instskip(SKIP_2) | instid1(VALU_DEP_1)
	s_or_b32 exec_lo, exec_lo, s13
	v_lshlrev_b32_e32 v29, 16, v30
	s_mov_b32 s13, exec_lo
	v_trunc_f32_e32 v37, v29
	s_delay_alu instid0(VALU_DEP_1) | instskip(NEXT) | instid1(VALU_DEP_1)
	v_mul_f32_e64 v38, 0x2f800000, |v37|
	v_floor_f32_e32 v38, v38
	s_delay_alu instid0(VALU_DEP_1) | instskip(SKIP_2) | instid1(VALU_DEP_3)
	v_fma_f32 v43, 0xcf800000, v38, |v37|
	v_ashrrev_i32_e32 v37, 31, v37
	v_cvt_u32_f32_e32 v38, v38
	v_cvt_u32_f32_e32 v43, v43
	s_delay_alu instid0(VALU_DEP_2) | instskip(NEXT) | instid1(VALU_DEP_2)
	v_xor_b32_e32 v38, v38, v37
	v_xor_b32_e32 v43, v43, v37
	s_delay_alu instid0(VALU_DEP_1) | instskip(NEXT) | instid1(VALU_DEP_3)
	v_sub_co_u32 v43, vcc_lo, v43, v37
	v_sub_co_ci_u32_e32 v37, vcc_lo, v38, v37, vcc_lo
	v_cmp_class_f32_e64 vcc_lo, v29, 0x1f8
	s_delay_alu instid0(VALU_DEP_2) | instskip(SKIP_1) | instid1(VALU_DEP_2)
	v_dual_cndmask_b32 v38, -1, v37 :: v_dual_cndmask_b32 v37, -1, v43
	v_mov_b32_e32 v43, 0
	v_cmpx_lt_i64_e32 -1, v[37:38]
	s_cbranch_execz .LBB48_231
; %bb.220:
	v_mov_b32_e32 v43, 1.0
	s_mov_b32 s14, exec_lo
	v_cmpx_lt_i64_e32 0, v[37:38]
	s_cbranch_execz .LBB48_230
; %bb.221:
	s_mov_b32 s10, exec_lo
	v_cmpx_ne_u64_e32 1, v[37:38]
	s_xor_b32 s16, exec_lo, s10
	s_cbranch_execz .LBB48_227
; %bb.222:
	v_mov_b32_e32 v43, 0x7fc00000
	s_mov_b32 s17, exec_lo
	v_cmpx_gt_u64_e32 0x81, v[37:38]
	s_cbranch_execz .LBB48_226
; %bb.223:
	v_dual_add_f32 v29, v39, v39 :: v_dual_mov_b32 v44, 1.0
	v_lshlrev_b64 v[37:38], 1, v[37:38]
	s_mov_b64 s[10:11], 2
	s_mov_b32 s18, 0
	s_delay_alu instid0(VALU_DEP_2)
	v_mov_b32_e32 v43, v29
	.p2align	6
.LBB48_224:                             ; =>This Inner Loop Header: Depth=1
	s_clz_i32_u32 s19, s11
	s_delay_alu instid0(SALU_CYCLE_1) | instskip(NEXT) | instid1(SALU_CYCLE_1)
	s_min_u32 s19, s19, 32
	s_lshl_b64 s[20:21], s[10:11], s19
	s_sub_i32 s19, 32, s19
	s_min_u32 s20, s20, 1
	s_delay_alu instid0(SALU_CYCLE_1) | instskip(SKIP_3) | instid1(SALU_CYCLE_1)
	s_or_b32 s20, s21, s20
	s_add_u32 s10, s10, 2
	v_cvt_f32_u32_e32 v45, s20
	s_addc_u32 s11, s11, 0
	v_cmp_ge_u64_e32 vcc_lo, s[10:11], v[37:38]
	s_delay_alu instid0(VALU_DEP_2) | instskip(SKIP_1) | instid1(VALU_DEP_1)
	v_ldexp_f32 v45, v45, s19
	s_or_b32 s18, vcc_lo, s18
	v_dual_mul_f32 v45, v44, v45 :: v_dual_mov_b32 v44, v43
	s_delay_alu instid0(VALU_DEP_1)
	v_fma_f32 v43, v29, v43, -v45
	s_and_not1_b32 exec_lo, exec_lo, s18
	s_cbranch_execnz .LBB48_224
; %bb.225:
	s_or_b32 exec_lo, exec_lo, s18
.LBB48_226:
	s_delay_alu instid0(SALU_CYCLE_1)
	s_or_b32 exec_lo, exec_lo, s17
.LBB48_227:
	s_and_not1_saveexec_b32 s10, s16
; %bb.228:
	v_add_f32_e32 v43, v39, v39
; %bb.229:
	s_or_b32 exec_lo, exec_lo, s10
.LBB48_230:
	s_delay_alu instid0(SALU_CYCLE_1)
	s_or_b32 exec_lo, exec_lo, s14
.LBB48_231:
	s_delay_alu instid0(SALU_CYCLE_1) | instskip(SKIP_2) | instid1(VALU_DEP_1)
	s_or_b32 exec_lo, exec_lo, s13
	v_dual_mov_b32 v44, 0 :: v_dual_and_b32 v29, 0xffff0000, v30
	s_mov_b32 s13, exec_lo
	v_trunc_f32_e32 v30, v29
	s_delay_alu instid0(VALU_DEP_1) | instskip(NEXT) | instid1(VALU_DEP_1)
	v_mul_f32_e64 v37, 0x2f800000, |v30|
	v_floor_f32_e32 v37, v37
	s_delay_alu instid0(VALU_DEP_1) | instskip(SKIP_2) | instid1(VALU_DEP_3)
	v_fma_f32 v38, 0xcf800000, v37, |v30|
	v_ashrrev_i32_e32 v30, 31, v30
	v_cvt_u32_f32_e32 v37, v37
	v_cvt_u32_f32_e32 v38, v38
	s_delay_alu instid0(VALU_DEP_2) | instskip(NEXT) | instid1(VALU_DEP_2)
	v_xor_b32_e32 v37, v37, v30
	v_xor_b32_e32 v38, v38, v30
	s_delay_alu instid0(VALU_DEP_1) | instskip(NEXT) | instid1(VALU_DEP_3)
	v_sub_co_u32 v38, vcc_lo, v38, v30
	v_sub_co_ci_u32_e32 v30, vcc_lo, v37, v30, vcc_lo
	v_cmp_class_f32_e64 vcc_lo, v29, 0x1f8
	s_delay_alu instid0(VALU_DEP_2) | instskip(NEXT) | instid1(VALU_DEP_4)
	v_cndmask_b32_e32 v30, -1, v30, vcc_lo
	v_cndmask_b32_e32 v29, -1, v38, vcc_lo
	s_delay_alu instid0(VALU_DEP_1)
	v_cmpx_lt_i64_e32 -1, v[29:30]
	s_cbranch_execz .LBB48_243
; %bb.232:
	v_mov_b32_e32 v44, 1.0
	s_mov_b32 s14, exec_lo
	v_cmpx_lt_i64_e32 0, v[29:30]
	s_cbranch_execz .LBB48_242
; %bb.233:
	s_mov_b32 s10, exec_lo
	v_cmpx_ne_u64_e32 1, v[29:30]
	s_xor_b32 s16, exec_lo, s10
	s_cbranch_execz .LBB48_239
; %bb.234:
	v_mov_b32_e32 v44, 0x7fc00000
	s_mov_b32 s17, exec_lo
	v_cmpx_gt_u64_e32 0x81, v[29:30]
	s_cbranch_execz .LBB48_238
; %bb.235:
	v_dual_add_f32 v37, v40, v40 :: v_dual_mov_b32 v38, 1.0
	v_lshlrev_b64 v[29:30], 1, v[29:30]
	s_mov_b64 s[10:11], 2
	s_mov_b32 s18, 0
	s_delay_alu instid0(VALU_DEP_2)
	v_mov_b32_e32 v44, v37
	.p2align	6
.LBB48_236:                             ; =>This Inner Loop Header: Depth=1
	s_clz_i32_u32 s19, s11
	s_delay_alu instid0(SALU_CYCLE_1) | instskip(NEXT) | instid1(SALU_CYCLE_1)
	s_min_u32 s19, s19, 32
	s_lshl_b64 s[20:21], s[10:11], s19
	s_sub_i32 s19, 32, s19
	s_min_u32 s20, s20, 1
	s_delay_alu instid0(SALU_CYCLE_1) | instskip(SKIP_3) | instid1(SALU_CYCLE_1)
	s_or_b32 s20, s21, s20
	s_add_u32 s10, s10, 2
	v_cvt_f32_u32_e32 v39, s20
	s_addc_u32 s11, s11, 0
	v_cmp_ge_u64_e32 vcc_lo, s[10:11], v[29:30]
	s_delay_alu instid0(VALU_DEP_2) | instskip(SKIP_2) | instid1(VALU_DEP_2)
	v_ldexp_f32 v39, v39, s19
	v_mov_b32_e32 v40, v44
	s_or_b32 s18, vcc_lo, s18
	v_dual_mul_f32 v39, v38, v39 :: v_dual_mov_b32 v38, v44
	s_delay_alu instid0(VALU_DEP_1)
	v_fma_f32 v44, v37, v40, -v39
	s_and_not1_b32 exec_lo, exec_lo, s18
	s_cbranch_execnz .LBB48_236
; %bb.237:
	s_or_b32 exec_lo, exec_lo, s18
.LBB48_238:
	s_delay_alu instid0(SALU_CYCLE_1)
	s_or_b32 exec_lo, exec_lo, s17
                                        ; implicit-def: $vgpr37_vgpr38_vgpr39_vgpr40
.LBB48_239:
	s_and_not1_saveexec_b32 s10, s16
; %bb.240:
	v_add_f32_e32 v44, v40, v40
; %bb.241:
	s_or_b32 exec_lo, exec_lo, s10
.LBB48_242:
	s_delay_alu instid0(SALU_CYCLE_1)
	s_or_b32 exec_lo, exec_lo, s14
.LBB48_243:
	s_delay_alu instid0(SALU_CYCLE_1) | instskip(SKIP_2) | instid1(VALU_DEP_1)
	s_or_b32 exec_lo, exec_lo, s13
	v_lshlrev_b32_e32 v29, 16, v31
	s_mov_b32 s13, exec_lo
	v_trunc_f32_e32 v30, v29
	s_delay_alu instid0(VALU_DEP_1) | instskip(NEXT) | instid1(VALU_DEP_1)
	v_mul_f32_e64 v37, 0x2f800000, |v30|
	v_floor_f32_e32 v37, v37
	s_delay_alu instid0(VALU_DEP_1) | instskip(SKIP_2) | instid1(VALU_DEP_3)
	v_fma_f32 v38, 0xcf800000, v37, |v30|
	v_ashrrev_i32_e32 v30, 31, v30
	v_cvt_u32_f32_e32 v37, v37
	v_cvt_u32_f32_e32 v38, v38
	s_delay_alu instid0(VALU_DEP_2) | instskip(NEXT) | instid1(VALU_DEP_2)
	v_xor_b32_e32 v37, v37, v30
	v_xor_b32_e32 v38, v38, v30
	s_delay_alu instid0(VALU_DEP_1) | instskip(NEXT) | instid1(VALU_DEP_3)
	v_sub_co_u32 v39, vcc_lo, v38, v30
	v_sub_co_ci_u32_e32 v30, vcc_lo, v37, v30, vcc_lo
	v_cmp_class_f32_e64 vcc_lo, v29, 0x1f8
	s_delay_alu instid0(VALU_DEP_2) | instskip(NEXT) | instid1(VALU_DEP_4)
	v_dual_mov_b32 v29, 0 :: v_dual_cndmask_b32 v38, -1, v30
	v_cndmask_b32_e32 v37, -1, v39, vcc_lo
	s_delay_alu instid0(VALU_DEP_1)
	v_cmpx_lt_i64_e32 -1, v[37:38]
	s_cbranch_execz .LBB48_255
; %bb.244:
	v_mov_b32_e32 v29, 1.0
	s_mov_b32 s14, exec_lo
	v_cmpx_lt_i64_e32 0, v[37:38]
	s_cbranch_execz .LBB48_254
; %bb.245:
                                        ; implicit-def: $vgpr29
	s_mov_b32 s10, exec_lo
	v_cmpx_ne_u64_e32 1, v[37:38]
	s_xor_b32 s16, exec_lo, s10
	s_cbranch_execz .LBB48_251
; %bb.246:
	v_mov_b32_e32 v29, 0x7fc00000
	s_mov_b32 s17, exec_lo
	v_cmpx_gt_u64_e32 0x81, v[37:38]
	s_cbranch_execz .LBB48_250
; %bb.247:
	v_dual_add_f32 v30, v25, v25 :: v_dual_mov_b32 v39, 1.0
	v_lshlrev_b64 v[37:38], 1, v[37:38]
	s_mov_b64 s[10:11], 2
	s_mov_b32 s18, 0
	s_delay_alu instid0(VALU_DEP_2)
	v_mov_b32_e32 v29, v30
	.p2align	6
.LBB48_248:                             ; =>This Inner Loop Header: Depth=1
	s_clz_i32_u32 s19, s11
	s_delay_alu instid0(SALU_CYCLE_1) | instskip(NEXT) | instid1(SALU_CYCLE_1)
	s_min_u32 s19, s19, 32
	s_lshl_b64 s[20:21], s[10:11], s19
	s_sub_i32 s19, 32, s19
	s_min_u32 s20, s20, 1
	s_delay_alu instid0(SALU_CYCLE_1) | instskip(SKIP_3) | instid1(SALU_CYCLE_1)
	s_or_b32 s20, s21, s20
	s_add_u32 s10, s10, 2
	v_cvt_f32_u32_e32 v40, s20
	s_addc_u32 s11, s11, 0
	v_cmp_ge_u64_e32 vcc_lo, s[10:11], v[37:38]
	s_delay_alu instid0(VALU_DEP_2) | instskip(SKIP_1) | instid1(VALU_DEP_1)
	v_ldexp_f32 v40, v40, s19
	s_or_b32 s18, vcc_lo, s18
	v_dual_mul_f32 v40, v39, v40 :: v_dual_mov_b32 v39, v29
	s_delay_alu instid0(VALU_DEP_1)
	v_fma_f32 v29, v30, v29, -v40
	s_and_not1_b32 exec_lo, exec_lo, s18
	s_cbranch_execnz .LBB48_248
; %bb.249:
	s_or_b32 exec_lo, exec_lo, s18
.LBB48_250:
	s_delay_alu instid0(SALU_CYCLE_1)
	s_or_b32 exec_lo, exec_lo, s17
.LBB48_251:
	s_and_not1_saveexec_b32 s10, s16
; %bb.252:
	v_add_f32_e32 v29, v25, v25
; %bb.253:
	s_or_b32 exec_lo, exec_lo, s10
.LBB48_254:
	s_delay_alu instid0(SALU_CYCLE_1)
	s_or_b32 exec_lo, exec_lo, s14
.LBB48_255:
	s_delay_alu instid0(SALU_CYCLE_1) | instskip(SKIP_2) | instid1(VALU_DEP_1)
	s_or_b32 exec_lo, exec_lo, s13
	v_and_b32_e32 v25, 0xffff0000, v31
	s_mov_b32 s13, exec_lo
	v_trunc_f32_e32 v30, v25
	s_delay_alu instid0(VALU_DEP_1) | instskip(NEXT) | instid1(VALU_DEP_1)
	v_mul_f32_e64 v31, 0x2f800000, |v30|
	v_floor_f32_e32 v31, v31
	s_delay_alu instid0(VALU_DEP_1) | instskip(SKIP_2) | instid1(VALU_DEP_3)
	v_fma_f32 v37, 0xcf800000, v31, |v30|
	v_ashrrev_i32_e32 v30, 31, v30
	v_cvt_u32_f32_e32 v31, v31
	v_cvt_u32_f32_e32 v37, v37
	s_delay_alu instid0(VALU_DEP_2) | instskip(NEXT) | instid1(VALU_DEP_2)
	v_xor_b32_e32 v31, v31, v30
	v_xor_b32_e32 v37, v37, v30
	s_delay_alu instid0(VALU_DEP_1) | instskip(NEXT) | instid1(VALU_DEP_3)
	v_sub_co_u32 v37, vcc_lo, v37, v30
	v_sub_co_ci_u32_e32 v30, vcc_lo, v31, v30, vcc_lo
	v_cmp_class_f32_e64 vcc_lo, v25, 0x1f8
	s_delay_alu instid0(VALU_DEP_2) | instskip(SKIP_1) | instid1(VALU_DEP_2)
	v_dual_cndmask_b32 v38, -1, v30 :: v_dual_cndmask_b32 v37, -1, v37
	v_mov_b32_e32 v30, 0
	v_cmpx_lt_i64_e32 -1, v[37:38]
	s_cbranch_execz .LBB48_267
; %bb.256:
	v_mov_b32_e32 v30, 1.0
	s_mov_b32 s14, exec_lo
	v_cmpx_lt_i64_e32 0, v[37:38]
	s_cbranch_execz .LBB48_266
; %bb.257:
	s_mov_b32 s10, exec_lo
	v_cmpx_ne_u64_e32 1, v[37:38]
	s_xor_b32 s16, exec_lo, s10
	s_cbranch_execz .LBB48_263
; %bb.258:
	v_mov_b32_e32 v30, 0x7fc00000
	s_mov_b32 s17, exec_lo
	v_cmpx_gt_u64_e32 0x81, v[37:38]
	s_cbranch_execz .LBB48_262
; %bb.259:
	v_add_f32_e32 v25, v26, v26
	v_lshlrev_b64 v[37:38], 1, v[37:38]
	v_mov_b32_e32 v31, 1.0
	s_mov_b64 s[10:11], 2
	s_mov_b32 s18, 0
	v_mov_b32_e32 v30, v25
	.p2align	6
.LBB48_260:                             ; =>This Inner Loop Header: Depth=1
	s_clz_i32_u32 s19, s11
	s_delay_alu instid0(SALU_CYCLE_1) | instskip(NEXT) | instid1(SALU_CYCLE_1)
	s_min_u32 s19, s19, 32
	s_lshl_b64 s[20:21], s[10:11], s19
	s_sub_i32 s19, 32, s19
	s_min_u32 s20, s20, 1
	s_delay_alu instid0(SALU_CYCLE_1) | instskip(SKIP_3) | instid1(SALU_CYCLE_1)
	s_or_b32 s20, s21, s20
	s_add_u32 s10, s10, 2
	v_cvt_f32_u32_e32 v39, s20
	s_addc_u32 s11, s11, 0
	v_cmp_ge_u64_e32 vcc_lo, s[10:11], v[37:38]
	s_delay_alu instid0(VALU_DEP_2) | instskip(SKIP_1) | instid1(VALU_DEP_1)
	v_ldexp_f32 v39, v39, s19
	s_or_b32 s18, vcc_lo, s18
	v_mul_f32_e32 v39, v31, v39
	v_mov_b32_e32 v31, v30
	s_delay_alu instid0(VALU_DEP_2)
	v_fma_f32 v30, v25, v30, -v39
	s_and_not1_b32 exec_lo, exec_lo, s18
	s_cbranch_execnz .LBB48_260
; %bb.261:
	s_or_b32 exec_lo, exec_lo, s18
.LBB48_262:
	s_delay_alu instid0(SALU_CYCLE_1)
	s_or_b32 exec_lo, exec_lo, s17
.LBB48_263:
	s_and_not1_saveexec_b32 s10, s16
; %bb.264:
	v_add_f32_e32 v30, v26, v26
; %bb.265:
	s_or_b32 exec_lo, exec_lo, s10
.LBB48_266:
	s_delay_alu instid0(SALU_CYCLE_1)
	s_or_b32 exec_lo, exec_lo, s14
.LBB48_267:
	s_delay_alu instid0(SALU_CYCLE_1) | instskip(SKIP_2) | instid1(VALU_DEP_1)
	s_or_b32 exec_lo, exec_lo, s13
	v_lshlrev_b32_e32 v25, 16, v32
	s_mov_b32 s13, exec_lo
	v_trunc_f32_e32 v26, v25
	s_delay_alu instid0(VALU_DEP_1) | instskip(NEXT) | instid1(VALU_DEP_1)
	v_mul_f32_e64 v31, 0x2f800000, |v26|
	v_floor_f32_e32 v31, v31
	s_delay_alu instid0(VALU_DEP_1) | instskip(SKIP_2) | instid1(VALU_DEP_3)
	v_fma_f32 v37, 0xcf800000, v31, |v26|
	v_ashrrev_i32_e32 v26, 31, v26
	v_cvt_u32_f32_e32 v31, v31
	v_cvt_u32_f32_e32 v37, v37
	s_delay_alu instid0(VALU_DEP_2) | instskip(NEXT) | instid1(VALU_DEP_2)
	v_xor_b32_e32 v31, v31, v26
	v_xor_b32_e32 v37, v37, v26
	s_delay_alu instid0(VALU_DEP_1) | instskip(NEXT) | instid1(VALU_DEP_3)
	v_sub_co_u32 v37, vcc_lo, v37, v26
	v_sub_co_ci_u32_e32 v26, vcc_lo, v31, v26, vcc_lo
	v_cmp_class_f32_e64 vcc_lo, v25, 0x1f8
	s_delay_alu instid0(VALU_DEP_2) | instskip(NEXT) | instid1(VALU_DEP_4)
	v_dual_mov_b32 v31, 0 :: v_dual_cndmask_b32 v26, -1, v26
	v_cndmask_b32_e32 v25, -1, v37, vcc_lo
	s_delay_alu instid0(VALU_DEP_1)
	v_cmpx_lt_i64_e32 -1, v[25:26]
	s_cbranch_execz .LBB48_279
; %bb.268:
	v_mov_b32_e32 v31, 1.0
	s_mov_b32 s14, exec_lo
	v_cmpx_lt_i64_e32 0, v[25:26]
	s_cbranch_execz .LBB48_278
; %bb.269:
	s_mov_b32 s10, exec_lo
	v_cmpx_ne_u64_e32 1, v[25:26]
	s_xor_b32 s16, exec_lo, s10
	s_cbranch_execz .LBB48_275
; %bb.270:
	v_mov_b32_e32 v31, 0x7fc00000
	s_mov_b32 s17, exec_lo
	v_cmpx_gt_u64_e32 0x81, v[25:26]
	s_cbranch_execz .LBB48_274
; %bb.271:
	v_dual_add_f32 v37, v27, v27 :: v_dual_mov_b32 v38, 1.0
	v_lshlrev_b64 v[25:26], 1, v[25:26]
	s_mov_b64 s[10:11], 2
	s_mov_b32 s18, 0
	s_delay_alu instid0(VALU_DEP_2)
	v_mov_b32_e32 v31, v37
	.p2align	6
.LBB48_272:                             ; =>This Inner Loop Header: Depth=1
	s_clz_i32_u32 s19, s11
	s_delay_alu instid0(SALU_CYCLE_1) | instskip(NEXT) | instid1(SALU_CYCLE_1)
	s_min_u32 s19, s19, 32
	s_lshl_b64 s[20:21], s[10:11], s19
	s_sub_i32 s19, 32, s19
	s_min_u32 s20, s20, 1
	s_delay_alu instid0(SALU_CYCLE_1) | instskip(SKIP_3) | instid1(SALU_CYCLE_1)
	s_or_b32 s20, s21, s20
	s_add_u32 s10, s10, 2
	v_cvt_f32_u32_e32 v39, s20
	s_addc_u32 s11, s11, 0
	v_cmp_ge_u64_e32 vcc_lo, s[10:11], v[25:26]
	s_delay_alu instid0(VALU_DEP_2) | instskip(SKIP_1) | instid1(VALU_DEP_1)
	v_ldexp_f32 v39, v39, s19
	s_or_b32 s18, vcc_lo, s18
	v_dual_mul_f32 v39, v38, v39 :: v_dual_mov_b32 v38, v31
	s_delay_alu instid0(VALU_DEP_1)
	v_fma_f32 v31, v37, v31, -v39
	s_and_not1_b32 exec_lo, exec_lo, s18
	s_cbranch_execnz .LBB48_272
; %bb.273:
	s_or_b32 exec_lo, exec_lo, s18
.LBB48_274:
	s_delay_alu instid0(SALU_CYCLE_1)
	s_or_b32 exec_lo, exec_lo, s17
.LBB48_275:
	s_and_not1_saveexec_b32 s10, s16
; %bb.276:
	v_add_f32_e32 v31, v27, v27
; %bb.277:
	s_or_b32 exec_lo, exec_lo, s10
.LBB48_278:
	s_delay_alu instid0(SALU_CYCLE_1)
	s_or_b32 exec_lo, exec_lo, s14
.LBB48_279:
	s_delay_alu instid0(SALU_CYCLE_1) | instskip(SKIP_2) | instid1(VALU_DEP_1)
	s_or_b32 exec_lo, exec_lo, s13
	v_and_b32_e32 v25, 0xffff0000, v32
	s_mov_b32 s13, exec_lo
	v_trunc_f32_e32 v26, v25
	s_delay_alu instid0(VALU_DEP_1) | instskip(NEXT) | instid1(VALU_DEP_1)
	v_mul_f32_e64 v27, 0x2f800000, |v26|
	v_floor_f32_e32 v27, v27
	s_delay_alu instid0(VALU_DEP_1) | instskip(SKIP_2) | instid1(VALU_DEP_3)
	v_fma_f32 v32, 0xcf800000, v27, |v26|
	v_ashrrev_i32_e32 v26, 31, v26
	v_cvt_u32_f32_e32 v27, v27
	v_cvt_u32_f32_e32 v32, v32
	s_delay_alu instid0(VALU_DEP_2) | instskip(NEXT) | instid1(VALU_DEP_2)
	v_xor_b32_e32 v27, v27, v26
	v_xor_b32_e32 v32, v32, v26
	s_delay_alu instid0(VALU_DEP_1) | instskip(NEXT) | instid1(VALU_DEP_3)
	v_sub_co_u32 v32, vcc_lo, v32, v26
	v_sub_co_ci_u32_e32 v26, vcc_lo, v27, v26, vcc_lo
	v_cmp_class_f32_e64 vcc_lo, v25, 0x1f8
	s_delay_alu instid0(VALU_DEP_2) | instskip(SKIP_1) | instid1(VALU_DEP_2)
	v_dual_cndmask_b32 v26, -1, v26 :: v_dual_cndmask_b32 v25, -1, v32
	v_mov_b32_e32 v32, 0
	v_cmpx_lt_i64_e32 -1, v[25:26]
	s_cbranch_execz .LBB48_291
; %bb.280:
	v_mov_b32_e32 v32, 1.0
	s_mov_b32 s14, exec_lo
	v_cmpx_lt_i64_e32 0, v[25:26]
	s_cbranch_execz .LBB48_290
; %bb.281:
	s_mov_b32 s10, exec_lo
	v_cmpx_ne_u64_e32 1, v[25:26]
	s_xor_b32 s16, exec_lo, s10
	s_cbranch_execz .LBB48_287
; %bb.282:
	v_mov_b32_e32 v32, 0x7fc00000
	s_mov_b32 s17, exec_lo
	v_cmpx_gt_u64_e32 0x81, v[25:26]
	s_cbranch_execz .LBB48_286
; %bb.283:
	v_dual_add_f32 v27, v28, v28 :: v_dual_mov_b32 v28, 1.0
	v_lshlrev_b64 v[25:26], 1, v[25:26]
	s_mov_b64 s[10:11], 2
	s_mov_b32 s18, 0
	s_delay_alu instid0(VALU_DEP_2)
	v_mov_b32_e32 v32, v27
	.p2align	6
.LBB48_284:                             ; =>This Inner Loop Header: Depth=1
	s_clz_i32_u32 s19, s11
	s_delay_alu instid0(SALU_CYCLE_1) | instskip(NEXT) | instid1(SALU_CYCLE_1)
	s_min_u32 s19, s19, 32
	s_lshl_b64 s[20:21], s[10:11], s19
	s_sub_i32 s19, 32, s19
	s_min_u32 s20, s20, 1
	s_delay_alu instid0(SALU_CYCLE_1) | instskip(SKIP_3) | instid1(SALU_CYCLE_1)
	s_or_b32 s20, s21, s20
	s_add_u32 s10, s10, 2
	v_cvt_f32_u32_e32 v37, s20
	s_addc_u32 s11, s11, 0
	v_cmp_ge_u64_e32 vcc_lo, s[10:11], v[25:26]
	s_delay_alu instid0(VALU_DEP_2) | instskip(SKIP_1) | instid1(VALU_DEP_1)
	v_ldexp_f32 v37, v37, s19
	s_or_b32 s18, vcc_lo, s18
	v_mul_f32_e32 v37, v28, v37
	v_mov_b32_e32 v28, v32
	s_delay_alu instid0(VALU_DEP_2)
	v_fma_f32 v32, v27, v32, -v37
	s_and_not1_b32 exec_lo, exec_lo, s18
	s_cbranch_execnz .LBB48_284
; %bb.285:
	s_or_b32 exec_lo, exec_lo, s18
.LBB48_286:
	s_delay_alu instid0(SALU_CYCLE_1)
	s_or_b32 exec_lo, exec_lo, s17
                                        ; implicit-def: $vgpr25_vgpr26_vgpr27_vgpr28
.LBB48_287:
	s_and_not1_saveexec_b32 s10, s16
; %bb.288:
	v_add_f32_e32 v32, v28, v28
; %bb.289:
	s_or_b32 exec_lo, exec_lo, s10
.LBB48_290:
	s_delay_alu instid0(SALU_CYCLE_1)
	s_or_b32 exec_lo, exec_lo, s14
.LBB48_291:
	s_delay_alu instid0(SALU_CYCLE_1) | instskip(SKIP_3) | instid1(VALU_DEP_1)
	s_or_b32 exec_lo, exec_lo, s13
	s_waitcnt vmcnt(0)
	v_lshlrev_b32_e32 v25, 16, v9
	s_mov_b32 s13, exec_lo
	v_trunc_f32_e32 v26, v25
	s_delay_alu instid0(VALU_DEP_1) | instskip(NEXT) | instid1(VALU_DEP_1)
	v_mul_f32_e64 v27, 0x2f800000, |v26|
	v_floor_f32_e32 v27, v27
	s_delay_alu instid0(VALU_DEP_1) | instskip(SKIP_2) | instid1(VALU_DEP_3)
	v_fma_f32 v28, 0xcf800000, v27, |v26|
	v_ashrrev_i32_e32 v26, 31, v26
	v_cvt_u32_f32_e32 v27, v27
	v_cvt_u32_f32_e32 v28, v28
	s_delay_alu instid0(VALU_DEP_2) | instskip(NEXT) | instid1(VALU_DEP_2)
	v_xor_b32_e32 v27, v27, v26
	v_xor_b32_e32 v28, v28, v26
	s_delay_alu instid0(VALU_DEP_1) | instskip(NEXT) | instid1(VALU_DEP_3)
	v_sub_co_u32 v28, vcc_lo, v28, v26
	v_sub_co_ci_u32_e32 v26, vcc_lo, v27, v26, vcc_lo
	v_cmp_class_f32_e64 vcc_lo, v25, 0x1f8
	v_mov_b32_e32 v25, 0
	s_delay_alu instid0(VALU_DEP_3) | instskip(NEXT) | instid1(VALU_DEP_1)
	v_dual_cndmask_b32 v27, -1, v26 :: v_dual_cndmask_b32 v26, -1, v28
	v_cmpx_lt_i64_e32 -1, v[26:27]
	s_cbranch_execz .LBB48_303
; %bb.292:
	v_mov_b32_e32 v25, 1.0
	s_mov_b32 s14, exec_lo
	v_cmpx_lt_i64_e32 0, v[26:27]
	s_cbranch_execz .LBB48_302
; %bb.293:
                                        ; implicit-def: $vgpr25
	s_mov_b32 s10, exec_lo
	v_cmpx_ne_u64_e32 1, v[26:27]
	s_xor_b32 s16, exec_lo, s10
	s_cbranch_execz .LBB48_299
; %bb.294:
	v_mov_b32_e32 v25, 0x7fc00000
	s_mov_b32 s17, exec_lo
	v_cmpx_gt_u64_e32 0x81, v[26:27]
	s_cbranch_execz .LBB48_298
; %bb.295:
	v_dual_add_f32 v28, v17, v17 :: v_dual_mov_b32 v37, 1.0
	v_lshlrev_b64 v[26:27], 1, v[26:27]
	s_mov_b64 s[10:11], 2
	s_mov_b32 s18, 0
	s_delay_alu instid0(VALU_DEP_2)
	v_mov_b32_e32 v25, v28
	.p2align	6
.LBB48_296:                             ; =>This Inner Loop Header: Depth=1
	s_clz_i32_u32 s19, s11
	s_delay_alu instid0(SALU_CYCLE_1) | instskip(NEXT) | instid1(SALU_CYCLE_1)
	s_min_u32 s19, s19, 32
	s_lshl_b64 s[20:21], s[10:11], s19
	s_sub_i32 s19, 32, s19
	s_min_u32 s20, s20, 1
	s_delay_alu instid0(SALU_CYCLE_1) | instskip(SKIP_3) | instid1(SALU_CYCLE_1)
	s_or_b32 s20, s21, s20
	s_add_u32 s10, s10, 2
	v_cvt_f32_u32_e32 v38, s20
	s_addc_u32 s11, s11, 0
	v_cmp_ge_u64_e32 vcc_lo, s[10:11], v[26:27]
	s_delay_alu instid0(VALU_DEP_2) | instskip(SKIP_1) | instid1(VALU_DEP_1)
	v_ldexp_f32 v38, v38, s19
	s_or_b32 s18, vcc_lo, s18
	v_mul_f32_e32 v38, v37, v38
	v_mov_b32_e32 v37, v25
	s_delay_alu instid0(VALU_DEP_2)
	v_fma_f32 v25, v28, v25, -v38
	s_and_not1_b32 exec_lo, exec_lo, s18
	s_cbranch_execnz .LBB48_296
; %bb.297:
	s_or_b32 exec_lo, exec_lo, s18
.LBB48_298:
	s_delay_alu instid0(SALU_CYCLE_1)
	s_or_b32 exec_lo, exec_lo, s17
.LBB48_299:
	s_and_not1_saveexec_b32 s10, s16
; %bb.300:
	v_add_f32_e32 v25, v17, v17
; %bb.301:
	s_or_b32 exec_lo, exec_lo, s10
.LBB48_302:
	s_delay_alu instid0(SALU_CYCLE_1)
	s_or_b32 exec_lo, exec_lo, s14
.LBB48_303:
	s_delay_alu instid0(SALU_CYCLE_1) | instskip(SKIP_2) | instid1(VALU_DEP_1)
	s_or_b32 exec_lo, exec_lo, s13
	v_and_b32_e32 v9, 0xffff0000, v9
	s_mov_b32 s13, exec_lo
	v_trunc_f32_e32 v17, v9
	s_delay_alu instid0(VALU_DEP_1) | instskip(NEXT) | instid1(VALU_DEP_1)
	v_mul_f32_e64 v26, 0x2f800000, |v17|
	v_floor_f32_e32 v26, v26
	s_delay_alu instid0(VALU_DEP_1) | instskip(SKIP_2) | instid1(VALU_DEP_3)
	v_fma_f32 v27, 0xcf800000, v26, |v17|
	v_ashrrev_i32_e32 v17, 31, v17
	v_cvt_u32_f32_e32 v26, v26
	v_cvt_u32_f32_e32 v27, v27
	s_delay_alu instid0(VALU_DEP_2) | instskip(NEXT) | instid1(VALU_DEP_2)
	v_xor_b32_e32 v26, v26, v17
	v_xor_b32_e32 v27, v27, v17
	s_delay_alu instid0(VALU_DEP_1) | instskip(NEXT) | instid1(VALU_DEP_3)
	v_sub_co_u32 v27, vcc_lo, v27, v17
	v_sub_co_ci_u32_e32 v17, vcc_lo, v26, v17, vcc_lo
	v_mov_b32_e32 v26, 0
	v_cmp_class_f32_e64 vcc_lo, v9, 0x1f8
	s_delay_alu instid0(VALU_DEP_3) | instskip(NEXT) | instid1(VALU_DEP_1)
	v_dual_cndmask_b32 v28, -1, v17 :: v_dual_cndmask_b32 v27, -1, v27
	v_cmpx_lt_i64_e32 -1, v[27:28]
	s_cbranch_execz .LBB48_315
; %bb.304:
	v_mov_b32_e32 v26, 1.0
	s_mov_b32 s14, exec_lo
	v_cmpx_lt_i64_e32 0, v[27:28]
	s_cbranch_execz .LBB48_314
; %bb.305:
	s_mov_b32 s10, exec_lo
	v_cmpx_ne_u64_e32 1, v[27:28]
	s_xor_b32 s16, exec_lo, s10
	s_cbranch_execz .LBB48_311
; %bb.306:
	v_mov_b32_e32 v26, 0x7fc00000
	s_mov_b32 s17, exec_lo
	v_cmpx_gt_u64_e32 0x81, v[27:28]
	s_cbranch_execz .LBB48_310
; %bb.307:
	v_add_f32_e32 v9, v18, v18
	v_lshlrev_b64 v[27:28], 1, v[27:28]
	v_mov_b32_e32 v17, 1.0
	s_mov_b64 s[10:11], 2
	s_mov_b32 s18, 0
	v_mov_b32_e32 v26, v9
	.p2align	6
.LBB48_308:                             ; =>This Inner Loop Header: Depth=1
	s_clz_i32_u32 s19, s11
	s_delay_alu instid0(SALU_CYCLE_1) | instskip(NEXT) | instid1(SALU_CYCLE_1)
	s_min_u32 s19, s19, 32
	s_lshl_b64 s[20:21], s[10:11], s19
	s_sub_i32 s19, 32, s19
	s_min_u32 s20, s20, 1
	s_delay_alu instid0(SALU_CYCLE_1) | instskip(SKIP_3) | instid1(SALU_CYCLE_1)
	s_or_b32 s20, s21, s20
	s_add_u32 s10, s10, 2
	v_cvt_f32_u32_e32 v37, s20
	s_addc_u32 s11, s11, 0
	v_cmp_ge_u64_e32 vcc_lo, s[10:11], v[27:28]
	s_delay_alu instid0(VALU_DEP_2) | instskip(SKIP_1) | instid1(VALU_DEP_1)
	v_ldexp_f32 v37, v37, s19
	s_or_b32 s18, vcc_lo, s18
	v_mul_f32_e32 v37, v17, v37
	v_mov_b32_e32 v17, v26
	s_delay_alu instid0(VALU_DEP_2)
	v_fma_f32 v26, v9, v26, -v37
	s_and_not1_b32 exec_lo, exec_lo, s18
	s_cbranch_execnz .LBB48_308
; %bb.309:
	s_or_b32 exec_lo, exec_lo, s18
.LBB48_310:
	s_delay_alu instid0(SALU_CYCLE_1)
	s_or_b32 exec_lo, exec_lo, s17
.LBB48_311:
	s_and_not1_saveexec_b32 s10, s16
; %bb.312:
	v_add_f32_e32 v26, v18, v18
; %bb.313:
	s_or_b32 exec_lo, exec_lo, s10
.LBB48_314:
	s_delay_alu instid0(SALU_CYCLE_1)
	s_or_b32 exec_lo, exec_lo, s14
.LBB48_315:
	s_delay_alu instid0(SALU_CYCLE_1) | instskip(SKIP_2) | instid1(VALU_DEP_1)
	s_or_b32 exec_lo, exec_lo, s13
	v_lshlrev_b32_e32 v9, 16, v10
	s_mov_b32 s13, exec_lo
	v_trunc_f32_e32 v17, v9
	s_delay_alu instid0(VALU_DEP_1) | instskip(NEXT) | instid1(VALU_DEP_1)
	v_mul_f32_e64 v18, 0x2f800000, |v17|
	v_floor_f32_e32 v18, v18
	s_delay_alu instid0(VALU_DEP_1) | instskip(SKIP_2) | instid1(VALU_DEP_3)
	v_fma_f32 v27, 0xcf800000, v18, |v17|
	v_ashrrev_i32_e32 v17, 31, v17
	v_cvt_u32_f32_e32 v18, v18
	v_cvt_u32_f32_e32 v27, v27
	s_delay_alu instid0(VALU_DEP_2) | instskip(NEXT) | instid1(VALU_DEP_2)
	v_xor_b32_e32 v18, v18, v17
	v_xor_b32_e32 v27, v27, v17
	s_delay_alu instid0(VALU_DEP_1) | instskip(NEXT) | instid1(VALU_DEP_3)
	v_sub_co_u32 v27, vcc_lo, v27, v17
	v_sub_co_ci_u32_e32 v17, vcc_lo, v18, v17, vcc_lo
	v_cmp_class_f32_e64 vcc_lo, v9, 0x1f8
	s_delay_alu instid0(VALU_DEP_2) | instskip(SKIP_1) | instid1(VALU_DEP_2)
	v_dual_cndmask_b32 v18, -1, v17 :: v_dual_cndmask_b32 v17, -1, v27
	v_mov_b32_e32 v27, 0
	v_cmpx_lt_i64_e32 -1, v[17:18]
	s_cbranch_execz .LBB48_327
; %bb.316:
	v_mov_b32_e32 v27, 1.0
	s_mov_b32 s14, exec_lo
	v_cmpx_lt_i64_e32 0, v[17:18]
	s_cbranch_execz .LBB48_326
; %bb.317:
	s_mov_b32 s10, exec_lo
	v_cmpx_ne_u64_e32 1, v[17:18]
	s_xor_b32 s16, exec_lo, s10
	s_cbranch_execz .LBB48_323
; %bb.318:
	v_mov_b32_e32 v27, 0x7fc00000
	s_mov_b32 s17, exec_lo
	v_cmpx_gt_u64_e32 0x81, v[17:18]
	s_cbranch_execz .LBB48_322
; %bb.319:
	v_dual_add_f32 v9, v19, v19 :: v_dual_mov_b32 v28, 1.0
	v_lshlrev_b64 v[17:18], 1, v[17:18]
	s_mov_b64 s[10:11], 2
	s_mov_b32 s18, 0
	s_delay_alu instid0(VALU_DEP_2)
	v_mov_b32_e32 v27, v9
	.p2align	6
.LBB48_320:                             ; =>This Inner Loop Header: Depth=1
	s_clz_i32_u32 s19, s11
	s_delay_alu instid0(SALU_CYCLE_1) | instskip(NEXT) | instid1(SALU_CYCLE_1)
	s_min_u32 s19, s19, 32
	s_lshl_b64 s[20:21], s[10:11], s19
	s_sub_i32 s19, 32, s19
	s_min_u32 s20, s20, 1
	s_delay_alu instid0(SALU_CYCLE_1) | instskip(SKIP_3) | instid1(SALU_CYCLE_1)
	s_or_b32 s20, s21, s20
	s_add_u32 s10, s10, 2
	v_cvt_f32_u32_e32 v37, s20
	s_addc_u32 s11, s11, 0
	v_cmp_ge_u64_e32 vcc_lo, s[10:11], v[17:18]
	s_delay_alu instid0(VALU_DEP_2) | instskip(SKIP_1) | instid1(VALU_DEP_1)
	v_ldexp_f32 v37, v37, s19
	s_or_b32 s18, vcc_lo, s18
	v_dual_mul_f32 v37, v28, v37 :: v_dual_mov_b32 v28, v27
	s_delay_alu instid0(VALU_DEP_1)
	v_fma_f32 v27, v9, v27, -v37
	s_and_not1_b32 exec_lo, exec_lo, s18
	s_cbranch_execnz .LBB48_320
; %bb.321:
	s_or_b32 exec_lo, exec_lo, s18
.LBB48_322:
	s_delay_alu instid0(SALU_CYCLE_1)
	s_or_b32 exec_lo, exec_lo, s17
.LBB48_323:
	s_and_not1_saveexec_b32 s10, s16
; %bb.324:
	v_add_f32_e32 v27, v19, v19
; %bb.325:
	s_or_b32 exec_lo, exec_lo, s10
.LBB48_326:
	s_delay_alu instid0(SALU_CYCLE_1)
	s_or_b32 exec_lo, exec_lo, s14
.LBB48_327:
	s_delay_alu instid0(SALU_CYCLE_1) | instskip(SKIP_2) | instid1(VALU_DEP_1)
	s_or_b32 exec_lo, exec_lo, s13
	v_dual_mov_b32 v28, 0 :: v_dual_and_b32 v9, 0xffff0000, v10
	s_mov_b32 s13, exec_lo
	v_trunc_f32_e32 v10, v9
	s_delay_alu instid0(VALU_DEP_1) | instskip(NEXT) | instid1(VALU_DEP_1)
	v_mul_f32_e64 v17, 0x2f800000, |v10|
	v_floor_f32_e32 v17, v17
	s_delay_alu instid0(VALU_DEP_1) | instskip(SKIP_2) | instid1(VALU_DEP_3)
	v_fma_f32 v18, 0xcf800000, v17, |v10|
	v_ashrrev_i32_e32 v10, 31, v10
	v_cvt_u32_f32_e32 v17, v17
	v_cvt_u32_f32_e32 v18, v18
	s_delay_alu instid0(VALU_DEP_2) | instskip(NEXT) | instid1(VALU_DEP_2)
	v_xor_b32_e32 v17, v17, v10
	v_xor_b32_e32 v18, v18, v10
	s_delay_alu instid0(VALU_DEP_1) | instskip(NEXT) | instid1(VALU_DEP_3)
	v_sub_co_u32 v18, vcc_lo, v18, v10
	v_sub_co_ci_u32_e32 v10, vcc_lo, v17, v10, vcc_lo
	v_cmp_class_f32_e64 vcc_lo, v9, 0x1f8
	s_delay_alu instid0(VALU_DEP_2) | instskip(NEXT) | instid1(VALU_DEP_4)
	v_cndmask_b32_e32 v10, -1, v10, vcc_lo
	v_cndmask_b32_e32 v9, -1, v18, vcc_lo
	s_delay_alu instid0(VALU_DEP_1)
	v_cmpx_lt_i64_e32 -1, v[9:10]
	s_cbranch_execz .LBB48_339
; %bb.328:
	v_mov_b32_e32 v28, 1.0
	s_mov_b32 s14, exec_lo
	v_cmpx_lt_i64_e32 0, v[9:10]
	s_cbranch_execz .LBB48_338
; %bb.329:
	s_mov_b32 s10, exec_lo
	v_cmpx_ne_u64_e32 1, v[9:10]
	s_xor_b32 s16, exec_lo, s10
	s_cbranch_execz .LBB48_335
; %bb.330:
	v_mov_b32_e32 v28, 0x7fc00000
	s_mov_b32 s17, exec_lo
	v_cmpx_gt_u64_e32 0x81, v[9:10]
	s_cbranch_execz .LBB48_334
; %bb.331:
	v_dual_add_f32 v17, v20, v20 :: v_dual_mov_b32 v18, 1.0
	v_lshlrev_b64 v[9:10], 1, v[9:10]
	s_mov_b64 s[10:11], 2
	s_mov_b32 s18, 0
	s_delay_alu instid0(VALU_DEP_2)
	v_mov_b32_e32 v28, v17
	.p2align	6
.LBB48_332:                             ; =>This Inner Loop Header: Depth=1
	s_clz_i32_u32 s19, s11
	s_delay_alu instid0(SALU_CYCLE_1) | instskip(NEXT) | instid1(SALU_CYCLE_1)
	s_min_u32 s19, s19, 32
	s_lshl_b64 s[20:21], s[10:11], s19
	s_sub_i32 s19, 32, s19
	s_min_u32 s20, s20, 1
	s_delay_alu instid0(SALU_CYCLE_1) | instskip(SKIP_3) | instid1(SALU_CYCLE_1)
	s_or_b32 s20, s21, s20
	s_add_u32 s10, s10, 2
	v_cvt_f32_u32_e32 v19, s20
	s_addc_u32 s11, s11, 0
	v_cmp_ge_u64_e32 vcc_lo, s[10:11], v[9:10]
	s_delay_alu instid0(VALU_DEP_2) | instskip(SKIP_2) | instid1(VALU_DEP_2)
	v_ldexp_f32 v19, v19, s19
	v_mov_b32_e32 v20, v28
	s_or_b32 s18, vcc_lo, s18
	v_dual_mul_f32 v19, v18, v19 :: v_dual_mov_b32 v18, v28
	s_delay_alu instid0(VALU_DEP_1)
	v_fma_f32 v28, v17, v20, -v19
	s_and_not1_b32 exec_lo, exec_lo, s18
	s_cbranch_execnz .LBB48_332
; %bb.333:
	s_or_b32 exec_lo, exec_lo, s18
.LBB48_334:
	s_delay_alu instid0(SALU_CYCLE_1)
	s_or_b32 exec_lo, exec_lo, s17
                                        ; implicit-def: $vgpr17_vgpr18_vgpr19_vgpr20
.LBB48_335:
	s_and_not1_saveexec_b32 s10, s16
; %bb.336:
	v_add_f32_e32 v28, v20, v20
; %bb.337:
	s_or_b32 exec_lo, exec_lo, s10
.LBB48_338:
	s_delay_alu instid0(SALU_CYCLE_1)
	s_or_b32 exec_lo, exec_lo, s14
.LBB48_339:
	s_delay_alu instid0(SALU_CYCLE_1) | instskip(SKIP_2) | instid1(VALU_DEP_1)
	s_or_b32 exec_lo, exec_lo, s13
	v_lshlrev_b32_e32 v9, 16, v11
	s_mov_b32 s13, exec_lo
	v_trunc_f32_e32 v10, v9
	s_delay_alu instid0(VALU_DEP_1) | instskip(NEXT) | instid1(VALU_DEP_1)
	v_mul_f32_e64 v17, 0x2f800000, |v10|
	v_floor_f32_e32 v17, v17
	s_delay_alu instid0(VALU_DEP_1) | instskip(SKIP_2) | instid1(VALU_DEP_3)
	v_fma_f32 v18, 0xcf800000, v17, |v10|
	v_ashrrev_i32_e32 v10, 31, v10
	v_cvt_u32_f32_e32 v17, v17
	v_cvt_u32_f32_e32 v18, v18
	s_delay_alu instid0(VALU_DEP_2) | instskip(NEXT) | instid1(VALU_DEP_2)
	v_xor_b32_e32 v17, v17, v10
	v_xor_b32_e32 v18, v18, v10
	s_delay_alu instid0(VALU_DEP_1) | instskip(NEXT) | instid1(VALU_DEP_3)
	v_sub_co_u32 v19, vcc_lo, v18, v10
	v_sub_co_ci_u32_e32 v10, vcc_lo, v17, v10, vcc_lo
	v_cmp_class_f32_e64 vcc_lo, v9, 0x1f8
	s_delay_alu instid0(VALU_DEP_2) | instskip(NEXT) | instid1(VALU_DEP_4)
	v_dual_mov_b32 v9, 0 :: v_dual_cndmask_b32 v18, -1, v10
	v_cndmask_b32_e32 v17, -1, v19, vcc_lo
	s_delay_alu instid0(VALU_DEP_1)
	v_cmpx_lt_i64_e32 -1, v[17:18]
	s_cbranch_execz .LBB48_351
; %bb.340:
	v_mov_b32_e32 v9, 1.0
	s_mov_b32 s14, exec_lo
	v_cmpx_lt_i64_e32 0, v[17:18]
	s_cbranch_execz .LBB48_350
; %bb.341:
                                        ; implicit-def: $vgpr9
	s_mov_b32 s10, exec_lo
	v_cmpx_ne_u64_e32 1, v[17:18]
	s_xor_b32 s16, exec_lo, s10
	s_cbranch_execz .LBB48_347
; %bb.342:
	v_mov_b32_e32 v9, 0x7fc00000
	s_mov_b32 s17, exec_lo
	v_cmpx_gt_u64_e32 0x81, v[17:18]
	s_cbranch_execz .LBB48_346
; %bb.343:
	v_dual_add_f32 v10, v5, v5 :: v_dual_mov_b32 v19, 1.0
	v_lshlrev_b64 v[17:18], 1, v[17:18]
	s_mov_b64 s[10:11], 2
	s_mov_b32 s18, 0
	s_delay_alu instid0(VALU_DEP_2)
	v_mov_b32_e32 v9, v10
	.p2align	6
.LBB48_344:                             ; =>This Inner Loop Header: Depth=1
	s_clz_i32_u32 s19, s11
	s_delay_alu instid0(SALU_CYCLE_1) | instskip(NEXT) | instid1(SALU_CYCLE_1)
	s_min_u32 s19, s19, 32
	s_lshl_b64 s[20:21], s[10:11], s19
	s_sub_i32 s19, 32, s19
	s_min_u32 s20, s20, 1
	s_delay_alu instid0(SALU_CYCLE_1) | instskip(SKIP_3) | instid1(SALU_CYCLE_1)
	s_or_b32 s20, s21, s20
	s_add_u32 s10, s10, 2
	v_cvt_f32_u32_e32 v20, s20
	s_addc_u32 s11, s11, 0
	v_cmp_ge_u64_e32 vcc_lo, s[10:11], v[17:18]
	s_delay_alu instid0(VALU_DEP_2) | instskip(SKIP_1) | instid1(VALU_DEP_1)
	v_ldexp_f32 v20, v20, s19
	s_or_b32 s18, vcc_lo, s18
	v_dual_mul_f32 v20, v19, v20 :: v_dual_mov_b32 v19, v9
	s_delay_alu instid0(VALU_DEP_1)
	v_fma_f32 v9, v10, v9, -v20
	s_and_not1_b32 exec_lo, exec_lo, s18
	s_cbranch_execnz .LBB48_344
; %bb.345:
	s_or_b32 exec_lo, exec_lo, s18
.LBB48_346:
	s_delay_alu instid0(SALU_CYCLE_1)
	s_or_b32 exec_lo, exec_lo, s17
.LBB48_347:
	s_and_not1_saveexec_b32 s10, s16
; %bb.348:
	v_add_f32_e32 v9, v5, v5
; %bb.349:
	s_or_b32 exec_lo, exec_lo, s10
.LBB48_350:
	s_delay_alu instid0(SALU_CYCLE_1)
	s_or_b32 exec_lo, exec_lo, s14
.LBB48_351:
	s_delay_alu instid0(SALU_CYCLE_1) | instskip(SKIP_2) | instid1(VALU_DEP_1)
	s_or_b32 exec_lo, exec_lo, s13
	v_and_b32_e32 v5, 0xffff0000, v11
	s_mov_b32 s13, exec_lo
	v_trunc_f32_e32 v10, v5
	s_delay_alu instid0(VALU_DEP_1) | instskip(NEXT) | instid1(VALU_DEP_1)
	v_mul_f32_e64 v11, 0x2f800000, |v10|
	v_floor_f32_e32 v11, v11
	s_delay_alu instid0(VALU_DEP_1) | instskip(SKIP_2) | instid1(VALU_DEP_3)
	v_fma_f32 v17, 0xcf800000, v11, |v10|
	v_ashrrev_i32_e32 v10, 31, v10
	v_cvt_u32_f32_e32 v11, v11
	v_cvt_u32_f32_e32 v17, v17
	s_delay_alu instid0(VALU_DEP_2) | instskip(NEXT) | instid1(VALU_DEP_2)
	v_xor_b32_e32 v11, v11, v10
	v_xor_b32_e32 v17, v17, v10
	s_delay_alu instid0(VALU_DEP_1) | instskip(NEXT) | instid1(VALU_DEP_3)
	v_sub_co_u32 v17, vcc_lo, v17, v10
	v_sub_co_ci_u32_e32 v10, vcc_lo, v11, v10, vcc_lo
	v_cmp_class_f32_e64 vcc_lo, v5, 0x1f8
	s_delay_alu instid0(VALU_DEP_2) | instskip(SKIP_1) | instid1(VALU_DEP_2)
	v_dual_cndmask_b32 v18, -1, v10 :: v_dual_cndmask_b32 v17, -1, v17
	v_mov_b32_e32 v10, 0
	v_cmpx_lt_i64_e32 -1, v[17:18]
	s_cbranch_execz .LBB48_363
; %bb.352:
	v_mov_b32_e32 v10, 1.0
	s_mov_b32 s14, exec_lo
	v_cmpx_lt_i64_e32 0, v[17:18]
	s_cbranch_execz .LBB48_362
; %bb.353:
	s_mov_b32 s10, exec_lo
	v_cmpx_ne_u64_e32 1, v[17:18]
	s_xor_b32 s16, exec_lo, s10
	s_cbranch_execz .LBB48_359
; %bb.354:
	v_mov_b32_e32 v10, 0x7fc00000
	s_mov_b32 s17, exec_lo
	v_cmpx_gt_u64_e32 0x81, v[17:18]
	s_cbranch_execz .LBB48_358
; %bb.355:
	v_add_f32_e32 v5, v6, v6
	v_lshlrev_b64 v[17:18], 1, v[17:18]
	v_mov_b32_e32 v11, 1.0
	s_mov_b64 s[10:11], 2
	s_mov_b32 s18, 0
	v_mov_b32_e32 v10, v5
	.p2align	6
.LBB48_356:                             ; =>This Inner Loop Header: Depth=1
	s_clz_i32_u32 s19, s11
	s_delay_alu instid0(SALU_CYCLE_1) | instskip(NEXT) | instid1(SALU_CYCLE_1)
	s_min_u32 s19, s19, 32
	s_lshl_b64 s[20:21], s[10:11], s19
	s_sub_i32 s19, 32, s19
	s_min_u32 s20, s20, 1
	s_delay_alu instid0(SALU_CYCLE_1) | instskip(SKIP_3) | instid1(SALU_CYCLE_1)
	s_or_b32 s20, s21, s20
	s_add_u32 s10, s10, 2
	v_cvt_f32_u32_e32 v19, s20
	s_addc_u32 s11, s11, 0
	v_cmp_ge_u64_e32 vcc_lo, s[10:11], v[17:18]
	s_delay_alu instid0(VALU_DEP_2) | instskip(SKIP_1) | instid1(VALU_DEP_1)
	v_ldexp_f32 v19, v19, s19
	s_or_b32 s18, vcc_lo, s18
	v_mul_f32_e32 v19, v11, v19
	v_mov_b32_e32 v11, v10
	s_delay_alu instid0(VALU_DEP_2)
	v_fma_f32 v10, v5, v10, -v19
	s_and_not1_b32 exec_lo, exec_lo, s18
	s_cbranch_execnz .LBB48_356
; %bb.357:
	s_or_b32 exec_lo, exec_lo, s18
.LBB48_358:
	s_delay_alu instid0(SALU_CYCLE_1)
	s_or_b32 exec_lo, exec_lo, s17
.LBB48_359:
	s_and_not1_saveexec_b32 s10, s16
; %bb.360:
	v_add_f32_e32 v10, v6, v6
; %bb.361:
	s_or_b32 exec_lo, exec_lo, s10
.LBB48_362:
	s_delay_alu instid0(SALU_CYCLE_1)
	s_or_b32 exec_lo, exec_lo, s14
.LBB48_363:
	s_delay_alu instid0(SALU_CYCLE_1) | instskip(SKIP_2) | instid1(VALU_DEP_1)
	s_or_b32 exec_lo, exec_lo, s13
	v_lshlrev_b32_e32 v5, 16, v12
	s_mov_b32 s13, exec_lo
	v_trunc_f32_e32 v6, v5
	s_delay_alu instid0(VALU_DEP_1) | instskip(NEXT) | instid1(VALU_DEP_1)
	v_mul_f32_e64 v11, 0x2f800000, |v6|
	v_floor_f32_e32 v11, v11
	s_delay_alu instid0(VALU_DEP_1) | instskip(SKIP_2) | instid1(VALU_DEP_3)
	v_fma_f32 v17, 0xcf800000, v11, |v6|
	v_ashrrev_i32_e32 v6, 31, v6
	v_cvt_u32_f32_e32 v11, v11
	v_cvt_u32_f32_e32 v17, v17
	s_delay_alu instid0(VALU_DEP_2) | instskip(NEXT) | instid1(VALU_DEP_2)
	v_xor_b32_e32 v11, v11, v6
	v_xor_b32_e32 v17, v17, v6
	s_delay_alu instid0(VALU_DEP_1) | instskip(NEXT) | instid1(VALU_DEP_3)
	v_sub_co_u32 v17, vcc_lo, v17, v6
	v_sub_co_ci_u32_e32 v6, vcc_lo, v11, v6, vcc_lo
	v_cmp_class_f32_e64 vcc_lo, v5, 0x1f8
	s_delay_alu instid0(VALU_DEP_2) | instskip(NEXT) | instid1(VALU_DEP_4)
	v_dual_mov_b32 v11, 0 :: v_dual_cndmask_b32 v6, -1, v6
	v_cndmask_b32_e32 v5, -1, v17, vcc_lo
	s_delay_alu instid0(VALU_DEP_1)
	v_cmpx_lt_i64_e32 -1, v[5:6]
	s_cbranch_execz .LBB48_375
; %bb.364:
	v_mov_b32_e32 v11, 1.0
	s_mov_b32 s14, exec_lo
	v_cmpx_lt_i64_e32 0, v[5:6]
	s_cbranch_execz .LBB48_374
; %bb.365:
	s_mov_b32 s10, exec_lo
	v_cmpx_ne_u64_e32 1, v[5:6]
	s_xor_b32 s16, exec_lo, s10
	s_cbranch_execz .LBB48_371
; %bb.366:
	v_mov_b32_e32 v11, 0x7fc00000
	s_mov_b32 s17, exec_lo
	v_cmpx_gt_u64_e32 0x81, v[5:6]
	s_cbranch_execz .LBB48_370
; %bb.367:
	v_dual_add_f32 v17, v7, v7 :: v_dual_mov_b32 v18, 1.0
	v_lshlrev_b64 v[5:6], 1, v[5:6]
	s_mov_b64 s[10:11], 2
	s_mov_b32 s18, 0
	s_delay_alu instid0(VALU_DEP_2)
	v_mov_b32_e32 v11, v17
	.p2align	6
.LBB48_368:                             ; =>This Inner Loop Header: Depth=1
	s_clz_i32_u32 s19, s11
	s_delay_alu instid0(SALU_CYCLE_1) | instskip(NEXT) | instid1(SALU_CYCLE_1)
	s_min_u32 s19, s19, 32
	s_lshl_b64 s[20:21], s[10:11], s19
	s_sub_i32 s19, 32, s19
	s_min_u32 s20, s20, 1
	s_delay_alu instid0(SALU_CYCLE_1) | instskip(SKIP_3) | instid1(SALU_CYCLE_1)
	s_or_b32 s20, s21, s20
	s_add_u32 s10, s10, 2
	v_cvt_f32_u32_e32 v19, s20
	s_addc_u32 s11, s11, 0
	v_cmp_ge_u64_e32 vcc_lo, s[10:11], v[5:6]
	s_delay_alu instid0(VALU_DEP_2) | instskip(SKIP_1) | instid1(VALU_DEP_1)
	v_ldexp_f32 v19, v19, s19
	s_or_b32 s18, vcc_lo, s18
	v_dual_mul_f32 v19, v18, v19 :: v_dual_mov_b32 v18, v11
	s_delay_alu instid0(VALU_DEP_1)
	v_fma_f32 v11, v17, v11, -v19
	s_and_not1_b32 exec_lo, exec_lo, s18
	s_cbranch_execnz .LBB48_368
; %bb.369:
	s_or_b32 exec_lo, exec_lo, s18
.LBB48_370:
	s_delay_alu instid0(SALU_CYCLE_1)
	s_or_b32 exec_lo, exec_lo, s17
.LBB48_371:
	s_and_not1_saveexec_b32 s10, s16
; %bb.372:
	v_add_f32_e32 v11, v7, v7
; %bb.373:
	s_or_b32 exec_lo, exec_lo, s10
.LBB48_374:
	s_delay_alu instid0(SALU_CYCLE_1)
	s_or_b32 exec_lo, exec_lo, s14
.LBB48_375:
	s_delay_alu instid0(SALU_CYCLE_1) | instskip(SKIP_2) | instid1(VALU_DEP_1)
	s_or_b32 exec_lo, exec_lo, s13
	v_and_b32_e32 v5, 0xffff0000, v12
	s_mov_b32 s13, exec_lo
	v_trunc_f32_e32 v6, v5
	s_delay_alu instid0(VALU_DEP_1) | instskip(NEXT) | instid1(VALU_DEP_1)
	v_mul_f32_e64 v7, 0x2f800000, |v6|
	v_floor_f32_e32 v7, v7
	s_delay_alu instid0(VALU_DEP_1) | instskip(SKIP_2) | instid1(VALU_DEP_3)
	v_fma_f32 v12, 0xcf800000, v7, |v6|
	v_ashrrev_i32_e32 v6, 31, v6
	v_cvt_u32_f32_e32 v7, v7
	v_cvt_u32_f32_e32 v12, v12
	s_delay_alu instid0(VALU_DEP_2) | instskip(NEXT) | instid1(VALU_DEP_2)
	v_xor_b32_e32 v7, v7, v6
	v_xor_b32_e32 v12, v12, v6
	s_delay_alu instid0(VALU_DEP_1) | instskip(NEXT) | instid1(VALU_DEP_3)
	v_sub_co_u32 v12, vcc_lo, v12, v6
	v_sub_co_ci_u32_e32 v6, vcc_lo, v7, v6, vcc_lo
	v_cmp_class_f32_e64 vcc_lo, v5, 0x1f8
	s_delay_alu instid0(VALU_DEP_2) | instskip(SKIP_1) | instid1(VALU_DEP_2)
	v_dual_cndmask_b32 v6, -1, v6 :: v_dual_cndmask_b32 v5, -1, v12
	v_mov_b32_e32 v12, 0
	v_cmpx_lt_i64_e32 -1, v[5:6]
	s_cbranch_execz .LBB48_387
; %bb.376:
	v_mov_b32_e32 v12, 1.0
	s_mov_b32 s14, exec_lo
	v_cmpx_lt_i64_e32 0, v[5:6]
	s_cbranch_execz .LBB48_386
; %bb.377:
	s_mov_b32 s10, exec_lo
	v_cmpx_ne_u64_e32 1, v[5:6]
	s_xor_b32 s16, exec_lo, s10
	s_cbranch_execz .LBB48_383
; %bb.378:
	v_mov_b32_e32 v12, 0x7fc00000
	s_mov_b32 s17, exec_lo
	v_cmpx_gt_u64_e32 0x81, v[5:6]
	s_cbranch_execz .LBB48_382
; %bb.379:
	v_dual_add_f32 v7, v8, v8 :: v_dual_mov_b32 v8, 1.0
	v_lshlrev_b64 v[5:6], 1, v[5:6]
	s_mov_b64 s[10:11], 2
	s_mov_b32 s18, 0
	s_delay_alu instid0(VALU_DEP_2)
	v_mov_b32_e32 v12, v7
	.p2align	6
.LBB48_380:                             ; =>This Inner Loop Header: Depth=1
	s_clz_i32_u32 s19, s11
	s_delay_alu instid0(SALU_CYCLE_1) | instskip(NEXT) | instid1(SALU_CYCLE_1)
	s_min_u32 s19, s19, 32
	s_lshl_b64 s[20:21], s[10:11], s19
	s_sub_i32 s19, 32, s19
	s_min_u32 s20, s20, 1
	s_delay_alu instid0(SALU_CYCLE_1) | instskip(SKIP_3) | instid1(SALU_CYCLE_1)
	s_or_b32 s20, s21, s20
	s_add_u32 s10, s10, 2
	v_cvt_f32_u32_e32 v17, s20
	s_addc_u32 s11, s11, 0
	v_cmp_ge_u64_e32 vcc_lo, s[10:11], v[5:6]
	s_delay_alu instid0(VALU_DEP_2) | instskip(SKIP_1) | instid1(VALU_DEP_1)
	v_ldexp_f32 v17, v17, s19
	s_or_b32 s18, vcc_lo, s18
	v_mul_f32_e32 v17, v8, v17
	v_mov_b32_e32 v8, v12
	s_delay_alu instid0(VALU_DEP_2)
	v_fma_f32 v12, v7, v12, -v17
	s_and_not1_b32 exec_lo, exec_lo, s18
	s_cbranch_execnz .LBB48_380
; %bb.381:
	s_or_b32 exec_lo, exec_lo, s18
.LBB48_382:
	s_delay_alu instid0(SALU_CYCLE_1)
	s_or_b32 exec_lo, exec_lo, s17
                                        ; implicit-def: $vgpr5_vgpr6_vgpr7_vgpr8
.LBB48_383:
	s_and_not1_saveexec_b32 s10, s16
; %bb.384:
	v_add_f32_e32 v12, v8, v8
; %bb.385:
	s_or_b32 exec_lo, exec_lo, s10
.LBB48_386:
	s_delay_alu instid0(SALU_CYCLE_1)
	s_or_b32 exec_lo, exec_lo, s14
.LBB48_387:
	s_delay_alu instid0(SALU_CYCLE_1) | instskip(SKIP_3) | instid1(VALU_DEP_1)
	s_or_b32 exec_lo, exec_lo, s13
	s_add_u32 s10, s4, s8
	s_addc_u32 s11, s5, s9
	v_add_co_u32 v5, s9, s10, v54
	v_add_co_ci_u32_e64 v6, null, s11, 0, s9
	s_clause 0x1
	global_store_b128 v54, v[1:4], s[10:11]
	global_store_b128 v54, v[13:16], s[10:11] offset:16
	v_add_co_u32 v1, vcc_lo, 0x4000, v5
	v_add_co_ci_u32_e32 v2, vcc_lo, 0, v6, vcc_lo
	v_add_co_u32 v3, vcc_lo, 0xc000, v5
	v_add_co_ci_u32_e32 v4, vcc_lo, 0, v6, vcc_lo
	s_clause 0x5
	global_store_b128 v[1:2], v[21:24], off
	global_store_b128 v[1:2], v[33:36], off offset:16
	global_store_b128 v53, v[41:44], s[10:11]
	global_store_b128 v53, v[29:32], s[10:11] offset:16
	global_store_b128 v[3:4], v[25:28], off
	global_store_b128 v[3:4], v[9:12], off offset:16
	s_branch .LBB48_2
.LBB48_388:
	s_clause 0x1
	s_load_b32 s10, s[0:1], 0x24
	s_load_b128 s[16:19], s[0:1], 0x28
	v_dual_mov_b32 v31, v0 :: v_dual_mov_b32 v0, s4
	v_dual_mov_b32 v1, s5 :: v_dual_mov_b32 v2, s6
	;; [unrolled: 1-line block ×4, first 2 shown]
	s_add_u32 s8, s0, 56
	s_addc_u32 s9, s1, 0
	s_mov_b32 s12, s15
	s_getpc_b64 s[0:1]
	s_add_u32 s0, s0, _ZN2at6native25elementwise_kernel_helperILb1ENS0_13BinaryFunctorIfffZZZNS0_12_GLOBAL__N_132hermite_polynomial_h_kernel_cudaERNS_18TensorIteratorBaseEENKUlvE_clEvENKUlvE0_clEvEUlffE_EENS0_6memory8policies11unroll_baseILi512ESt5arrayIPcLm3EE23TrivialOffsetCalculatorILi2EjESG_ILi1EjENSA_12LoadWithCastILi2EEENSA_13StoreWithCastILi1EEELi32ELi1EEEEEvT0_T1_@rel32@lo+4
	s_addc_u32 s1, s1, _ZN2at6native25elementwise_kernel_helperILb1ENS0_13BinaryFunctorIfffZZZNS0_12_GLOBAL__N_132hermite_polynomial_h_kernel_cudaERNS_18TensorIteratorBaseEENKUlvE_clEvENKUlvE0_clEvEUlffE_EENS0_6memory8policies11unroll_baseILi512ESt5arrayIPcLm3EE23TrivialOffsetCalculatorILi2EjESG_ILi1EjENSA_12LoadWithCastILi2EEENSA_13StoreWithCastILi1EEELi32ELi1EEEEEvT0_T1_@rel32@hi+12
	s_waitcnt lgkmcnt(0)
	v_lshrrev_b16 v8, 8, s10
	v_dual_mov_b32 v7, s10 :: v_dual_mov_b32 v10, s17
	v_dual_mov_b32 v9, s16 :: v_dual_mov_b32 v12, s19
	v_mov_b32_e32 v11, s18
	s_swappc_b64 s[30:31], s[0:1]
	s_endpgm
	.section	.rodata,"a",@progbits
	.p2align	6, 0x0
	.amdhsa_kernel _ZN2at6native39vectorized_templated_elementwise_kernelILi8ENS0_13BinaryFunctorIfffZZZNS0_12_GLOBAL__N_132hermite_polynomial_h_kernel_cudaERNS_18TensorIteratorBaseEENKUlvE_clEvENKUlvE0_clEvEUlffE_EESt5arrayIPcLm3EE23TrivialOffsetCalculatorILi2EjESD_ILi1EjENS0_6memory12LoadWithCastILi2EEENSG_13StoreWithCastILi1EEEfJfN3c108BFloat16EEEEviT0_T1_T2_T3_T4_T5_
		.amdhsa_group_segment_fixed_size 0
		.amdhsa_private_segment_fixed_size 272
		.amdhsa_kernarg_size 312
		.amdhsa_user_sgpr_count 15
		.amdhsa_user_sgpr_dispatch_ptr 0
		.amdhsa_user_sgpr_queue_ptr 0
		.amdhsa_user_sgpr_kernarg_segment_ptr 1
		.amdhsa_user_sgpr_dispatch_id 0
		.amdhsa_user_sgpr_private_segment_size 0
		.amdhsa_wavefront_size32 1
		.amdhsa_uses_dynamic_stack 0
		.amdhsa_enable_private_segment 1
		.amdhsa_system_sgpr_workgroup_id_x 1
		.amdhsa_system_sgpr_workgroup_id_y 0
		.amdhsa_system_sgpr_workgroup_id_z 0
		.amdhsa_system_sgpr_workgroup_info 0
		.amdhsa_system_vgpr_workitem_id 0
		.amdhsa_next_free_vgpr 68
		.amdhsa_next_free_sgpr 77
		.amdhsa_reserve_vcc 1
		.amdhsa_float_round_mode_32 0
		.amdhsa_float_round_mode_16_64 0
		.amdhsa_float_denorm_mode_32 3
		.amdhsa_float_denorm_mode_16_64 3
		.amdhsa_dx10_clamp 1
		.amdhsa_ieee_mode 1
		.amdhsa_fp16_overflow 0
		.amdhsa_workgroup_processor_mode 1
		.amdhsa_memory_ordered 1
		.amdhsa_forward_progress 0
		.amdhsa_shared_vgpr_count 0
		.amdhsa_exception_fp_ieee_invalid_op 0
		.amdhsa_exception_fp_denorm_src 0
		.amdhsa_exception_fp_ieee_div_zero 0
		.amdhsa_exception_fp_ieee_overflow 0
		.amdhsa_exception_fp_ieee_underflow 0
		.amdhsa_exception_fp_ieee_inexact 0
		.amdhsa_exception_int_div_zero 0
	.end_amdhsa_kernel
	.section	.text._ZN2at6native39vectorized_templated_elementwise_kernelILi8ENS0_13BinaryFunctorIfffZZZNS0_12_GLOBAL__N_132hermite_polynomial_h_kernel_cudaERNS_18TensorIteratorBaseEENKUlvE_clEvENKUlvE0_clEvEUlffE_EESt5arrayIPcLm3EE23TrivialOffsetCalculatorILi2EjESD_ILi1EjENS0_6memory12LoadWithCastILi2EEENSG_13StoreWithCastILi1EEEfJfN3c108BFloat16EEEEviT0_T1_T2_T3_T4_T5_,"axG",@progbits,_ZN2at6native39vectorized_templated_elementwise_kernelILi8ENS0_13BinaryFunctorIfffZZZNS0_12_GLOBAL__N_132hermite_polynomial_h_kernel_cudaERNS_18TensorIteratorBaseEENKUlvE_clEvENKUlvE0_clEvEUlffE_EESt5arrayIPcLm3EE23TrivialOffsetCalculatorILi2EjESD_ILi1EjENS0_6memory12LoadWithCastILi2EEENSG_13StoreWithCastILi1EEEfJfN3c108BFloat16EEEEviT0_T1_T2_T3_T4_T5_,comdat
.Lfunc_end48:
	.size	_ZN2at6native39vectorized_templated_elementwise_kernelILi8ENS0_13BinaryFunctorIfffZZZNS0_12_GLOBAL__N_132hermite_polynomial_h_kernel_cudaERNS_18TensorIteratorBaseEENKUlvE_clEvENKUlvE0_clEvEUlffE_EESt5arrayIPcLm3EE23TrivialOffsetCalculatorILi2EjESD_ILi1EjENS0_6memory12LoadWithCastILi2EEENSG_13StoreWithCastILi1EEEfJfN3c108BFloat16EEEEviT0_T1_T2_T3_T4_T5_, .Lfunc_end48-_ZN2at6native39vectorized_templated_elementwise_kernelILi8ENS0_13BinaryFunctorIfffZZZNS0_12_GLOBAL__N_132hermite_polynomial_h_kernel_cudaERNS_18TensorIteratorBaseEENKUlvE_clEvENKUlvE0_clEvEUlffE_EESt5arrayIPcLm3EE23TrivialOffsetCalculatorILi2EjESD_ILi1EjENS0_6memory12LoadWithCastILi2EEENSG_13StoreWithCastILi1EEEfJfN3c108BFloat16EEEEviT0_T1_T2_T3_T4_T5_
                                        ; -- End function
	.section	.AMDGPU.csdata,"",@progbits
; Kernel info:
; codeLenInByte = 11760
; NumSgprs: 79
; NumVgprs: 68
; ScratchSize: 272
; MemoryBound: 0
; FloatMode: 240
; IeeeMode: 1
; LDSByteSize: 0 bytes/workgroup (compile time only)
; SGPRBlocks: 9
; VGPRBlocks: 8
; NumSGPRsForWavesPerEU: 79
; NumVGPRsForWavesPerEU: 68
; Occupancy: 16
; WaveLimiterHint : 0
; COMPUTE_PGM_RSRC2:SCRATCH_EN: 1
; COMPUTE_PGM_RSRC2:USER_SGPR: 15
; COMPUTE_PGM_RSRC2:TRAP_HANDLER: 0
; COMPUTE_PGM_RSRC2:TGID_X_EN: 1
; COMPUTE_PGM_RSRC2:TGID_Y_EN: 0
; COMPUTE_PGM_RSRC2:TGID_Z_EN: 0
; COMPUTE_PGM_RSRC2:TIDIG_COMP_CNT: 0
	.section	.text._ZN2at6native39vectorized_templated_elementwise_kernelILi4ENS0_13BinaryFunctorIfffZZZNS0_12_GLOBAL__N_132hermite_polynomial_h_kernel_cudaERNS_18TensorIteratorBaseEENKUlvE_clEvENKUlvE0_clEvEUlffE_EESt5arrayIPcLm3EE23TrivialOffsetCalculatorILi2EjESD_ILi1EjENS0_6memory12LoadWithCastILi2EEENSG_13StoreWithCastILi1EEEfJfN3c108BFloat16EEEEviT0_T1_T2_T3_T4_T5_,"axG",@progbits,_ZN2at6native39vectorized_templated_elementwise_kernelILi4ENS0_13BinaryFunctorIfffZZZNS0_12_GLOBAL__N_132hermite_polynomial_h_kernel_cudaERNS_18TensorIteratorBaseEENKUlvE_clEvENKUlvE0_clEvEUlffE_EESt5arrayIPcLm3EE23TrivialOffsetCalculatorILi2EjESD_ILi1EjENS0_6memory12LoadWithCastILi2EEENSG_13StoreWithCastILi1EEEfJfN3c108BFloat16EEEEviT0_T1_T2_T3_T4_T5_,comdat
	.globl	_ZN2at6native39vectorized_templated_elementwise_kernelILi4ENS0_13BinaryFunctorIfffZZZNS0_12_GLOBAL__N_132hermite_polynomial_h_kernel_cudaERNS_18TensorIteratorBaseEENKUlvE_clEvENKUlvE0_clEvEUlffE_EESt5arrayIPcLm3EE23TrivialOffsetCalculatorILi2EjESD_ILi1EjENS0_6memory12LoadWithCastILi2EEENSG_13StoreWithCastILi1EEEfJfN3c108BFloat16EEEEviT0_T1_T2_T3_T4_T5_ ; -- Begin function _ZN2at6native39vectorized_templated_elementwise_kernelILi4ENS0_13BinaryFunctorIfffZZZNS0_12_GLOBAL__N_132hermite_polynomial_h_kernel_cudaERNS_18TensorIteratorBaseEENKUlvE_clEvENKUlvE0_clEvEUlffE_EESt5arrayIPcLm3EE23TrivialOffsetCalculatorILi2EjESD_ILi1EjENS0_6memory12LoadWithCastILi2EEENSG_13StoreWithCastILi1EEEfJfN3c108BFloat16EEEEviT0_T1_T2_T3_T4_T5_
	.p2align	8
	.type	_ZN2at6native39vectorized_templated_elementwise_kernelILi4ENS0_13BinaryFunctorIfffZZZNS0_12_GLOBAL__N_132hermite_polynomial_h_kernel_cudaERNS_18TensorIteratorBaseEENKUlvE_clEvENKUlvE0_clEvEUlffE_EESt5arrayIPcLm3EE23TrivialOffsetCalculatorILi2EjESD_ILi1EjENS0_6memory12LoadWithCastILi2EEENSG_13StoreWithCastILi1EEEfJfN3c108BFloat16EEEEviT0_T1_T2_T3_T4_T5_,@function
_ZN2at6native39vectorized_templated_elementwise_kernelILi4ENS0_13BinaryFunctorIfffZZZNS0_12_GLOBAL__N_132hermite_polynomial_h_kernel_cudaERNS_18TensorIteratorBaseEENKUlvE_clEvENKUlvE0_clEvEUlffE_EESt5arrayIPcLm3EE23TrivialOffsetCalculatorILi2EjESD_ILi1EjENS0_6memory12LoadWithCastILi2EEENSG_13StoreWithCastILi1EEEfJfN3c108BFloat16EEEEviT0_T1_T2_T3_T4_T5_: ; @_ZN2at6native39vectorized_templated_elementwise_kernelILi4ENS0_13BinaryFunctorIfffZZZNS0_12_GLOBAL__N_132hermite_polynomial_h_kernel_cudaERNS_18TensorIteratorBaseEENKUlvE_clEvENKUlvE0_clEvEUlffE_EESt5arrayIPcLm3EE23TrivialOffsetCalculatorILi2EjESD_ILi1EjENS0_6memory12LoadWithCastILi2EEENSG_13StoreWithCastILi1EEEfJfN3c108BFloat16EEEEviT0_T1_T2_T3_T4_T5_
; %bb.0:
	s_clause 0x3
	s_load_b32 s8, s[0:1], 0x38
	s_load_b32 s9, s[0:1], 0x0
	s_load_b64 s[2:3], s[0:1], 0x18
	s_load_b128 s[4:7], s[0:1], 0x8
	s_not_b32 s10, s15
	s_mov_b32 s32, 0
	s_waitcnt lgkmcnt(0)
	s_add_i32 s8, s8, s10
	s_delay_alu instid0(SALU_CYCLE_1) | instskip(SKIP_2) | instid1(SALU_CYCLE_1)
	s_lshl_b32 s10, s8, 14
	s_mov_b32 s8, -1
	s_sub_i32 s12, s9, s10
	s_cmpk_gt_i32 s12, 0x3fff
	s_cbranch_scc1 .LBB49_3
; %bb.1:
	s_and_b32 vcc_lo, exec_lo, s8
	s_cbranch_vccnz .LBB49_388
.LBB49_2:
	s_nop 0
	s_sendmsg sendmsg(MSG_DEALLOC_VGPRS)
	s_endpgm
.LBB49_3:
	s_ashr_i32 s11, s10, 31
	v_lshlrev_b32_e32 v53, 4, v0
	s_lshl_b64 s[8:9], s[10:11], 2
	v_lshlrev_b32_e32 v13, 3, v0
	s_add_u32 s16, s6, s8
	s_addc_u32 s17, s7, s9
	v_add_co_u32 v7, s13, s16, v53
	s_delay_alu instid0(VALU_DEP_1) | instskip(SKIP_1) | instid1(VALU_DEP_2)
	v_add_co_ci_u32_e64 v8, null, s17, 0, s13
	s_lshl_b64 s[10:11], s[10:11], 1
	v_add_co_u32 v1, vcc_lo, 0x2000, v7
	s_delay_alu instid0(VALU_DEP_2)
	v_add_co_ci_u32_e32 v2, vcc_lo, 0, v8, vcc_lo
	s_add_u32 s10, s2, s10
	s_addc_u32 s11, s3, s11
	global_load_b64 v[3:4], v13, s[10:11]
	s_clause 0x1
	global_load_b128 v[9:12], v53, s[16:17]
	global_load_b128 v[17:20], v[1:2], off
	v_or_b32_e32 v37, 0x400, v0
	v_or_b32_e32 v39, 0x800, v0
	v_add_co_u32 v1, vcc_lo, 0x6000, v7
	v_add_co_ci_u32_e32 v2, vcc_lo, 0, v8, vcc_lo
	s_delay_alu instid0(VALU_DEP_4)
	v_lshlrev_b32_e32 v56, 4, v37
	v_add_co_u32 v5, vcc_lo, 0xa000, v7
	v_or_b32_e32 v41, 0xc00, v0
	v_lshlrev_b32_e32 v54, 4, v39
	v_add_co_ci_u32_e32 v6, vcc_lo, 0, v8, vcc_lo
	s_clause 0x3
	global_load_b128 v[25:28], v56, s[16:17]
	global_load_b128 v[33:36], v[1:2], off
	global_load_b128 v[29:32], v54, s[16:17]
	global_load_b128 v[21:24], v[5:6], off
	v_add_co_u32 v1, vcc_lo, 0xe000, v7
	v_lshlrev_b32_e32 v55, 4, v41
	v_add_co_u32 v42, s13, s10, v13
	v_add_co_ci_u32_e32 v2, vcc_lo, 0, v8, vcc_lo
	v_add_co_ci_u32_e64 v43, null, s11, 0, s13
	s_clause 0x1
	global_load_b128 v[13:16], v55, s[16:17]
	global_load_b128 v[5:8], v[1:2], off
	v_add_co_u32 v1, vcc_lo, 0x1000, v42
	v_add_co_ci_u32_e32 v2, vcc_lo, 0, v43, vcc_lo
	v_lshlrev_b32_e32 v44, 3, v37
	v_add_co_u32 v37, vcc_lo, 0x3000, v42
	v_add_co_ci_u32_e32 v38, vcc_lo, 0, v43, vcc_lo
	v_lshlrev_b32_e32 v57, 3, v39
	v_add_co_u32 v39, vcc_lo, 0x5000, v42
	v_add_co_ci_u32_e32 v40, vcc_lo, 0, v43, vcc_lo
	v_add_co_u32 v51, vcc_lo, 0x7000, v42
	v_lshlrev_b32_e32 v58, 3, v41
	v_add_co_ci_u32_e32 v52, vcc_lo, 0, v43, vcc_lo
	s_clause 0x6
	global_load_b64 v[49:50], v[1:2], off
	global_load_b64 v[47:48], v44, s[10:11]
	global_load_b64 v[45:46], v[37:38], off
	global_load_b64 v[43:44], v57, s[10:11]
	;; [unrolled: 2-line block ×3, first 2 shown]
	global_load_b64 v[37:38], v[51:52], off
	s_mov_b32 s13, exec_lo
	s_waitcnt vmcnt(15)
	v_lshlrev_b32_e32 v1, 16, v3
	s_delay_alu instid0(VALU_DEP_1) | instskip(NEXT) | instid1(VALU_DEP_1)
	v_trunc_f32_e32 v2, v1
	v_mul_f32_e64 v51, 0x2f800000, |v2|
	s_delay_alu instid0(VALU_DEP_1) | instskip(NEXT) | instid1(VALU_DEP_1)
	v_floor_f32_e32 v51, v51
	v_fma_f32 v52, 0xcf800000, v51, |v2|
	v_ashrrev_i32_e32 v2, 31, v2
	v_cvt_u32_f32_e32 v51, v51
	s_delay_alu instid0(VALU_DEP_3) | instskip(NEXT) | instid1(VALU_DEP_2)
	v_cvt_u32_f32_e32 v52, v52
	v_xor_b32_e32 v51, v51, v2
	s_delay_alu instid0(VALU_DEP_2) | instskip(NEXT) | instid1(VALU_DEP_1)
	v_xor_b32_e32 v52, v52, v2
	v_sub_co_u32 v57, vcc_lo, v52, v2
	s_delay_alu instid0(VALU_DEP_3) | instskip(SKIP_2) | instid1(VALU_DEP_3)
	v_sub_co_ci_u32_e32 v2, vcc_lo, v51, v2, vcc_lo
	v_cmp_class_f32_e64 vcc_lo, v1, 0x1f8
	v_mov_b32_e32 v1, 0
	v_dual_cndmask_b32 v51, -1, v57 :: v_dual_cndmask_b32 v52, -1, v2
	s_delay_alu instid0(VALU_DEP_1)
	v_cmpx_lt_i64_e32 -1, v[51:52]
	s_cbranch_execz .LBB49_15
; %bb.4:
	v_mov_b32_e32 v1, 1.0
	s_mov_b32 s14, exec_lo
	v_cmpx_lt_i64_e32 0, v[51:52]
	s_cbranch_execz .LBB49_14
; %bb.5:
                                        ; implicit-def: $vgpr1
	s_mov_b32 s10, exec_lo
	v_cmpx_ne_u64_e32 1, v[51:52]
	s_xor_b32 s16, exec_lo, s10
	s_cbranch_execz .LBB49_11
; %bb.6:
	v_mov_b32_e32 v1, 0x7fc00000
	s_mov_b32 s17, exec_lo
	v_cmpx_gt_u64_e32 0x81, v[51:52]
	s_cbranch_execz .LBB49_10
; %bb.7:
	s_waitcnt vmcnt(14)
	v_dual_add_f32 v2, v9, v9 :: v_dual_mov_b32 v57, 1.0
	v_lshlrev_b64 v[51:52], 1, v[51:52]
	s_mov_b64 s[10:11], 2
	s_mov_b32 s18, 0
	s_delay_alu instid0(VALU_DEP_2)
	v_mov_b32_e32 v1, v2
	.p2align	6
.LBB49_8:                               ; =>This Inner Loop Header: Depth=1
	s_clz_i32_u32 s19, s11
	s_delay_alu instid0(SALU_CYCLE_1) | instskip(NEXT) | instid1(SALU_CYCLE_1)
	s_min_u32 s19, s19, 32
	s_lshl_b64 s[20:21], s[10:11], s19
	s_sub_i32 s19, 32, s19
	s_min_u32 s20, s20, 1
	s_delay_alu instid0(SALU_CYCLE_1) | instskip(SKIP_3) | instid1(SALU_CYCLE_1)
	s_or_b32 s20, s21, s20
	s_add_u32 s10, s10, 2
	v_cvt_f32_u32_e32 v58, s20
	s_addc_u32 s11, s11, 0
	v_cmp_ge_u64_e32 vcc_lo, s[10:11], v[51:52]
	s_delay_alu instid0(VALU_DEP_2) | instskip(SKIP_1) | instid1(VALU_DEP_1)
	v_ldexp_f32 v58, v58, s19
	s_or_b32 s18, vcc_lo, s18
	v_mul_f32_e32 v58, v57, v58
	v_mov_b32_e32 v57, v1
	s_delay_alu instid0(VALU_DEP_2)
	v_fma_f32 v1, v2, v1, -v58
	s_and_not1_b32 exec_lo, exec_lo, s18
	s_cbranch_execnz .LBB49_8
; %bb.9:
	s_or_b32 exec_lo, exec_lo, s18
.LBB49_10:
	s_delay_alu instid0(SALU_CYCLE_1)
	s_or_b32 exec_lo, exec_lo, s17
.LBB49_11:
	s_and_not1_saveexec_b32 s10, s16
	s_cbranch_execz .LBB49_13
; %bb.12:
	s_waitcnt vmcnt(14)
	v_add_f32_e32 v1, v9, v9
.LBB49_13:
	s_or_b32 exec_lo, exec_lo, s10
.LBB49_14:
	s_delay_alu instid0(SALU_CYCLE_1)
	s_or_b32 exec_lo, exec_lo, s14
.LBB49_15:
	s_delay_alu instid0(SALU_CYCLE_1) | instskip(SKIP_2) | instid1(VALU_DEP_1)
	s_or_b32 exec_lo, exec_lo, s13
	v_and_b32_e32 v2, 0xffff0000, v3
	s_mov_b32 s13, exec_lo
	v_trunc_f32_e32 v3, v2
	s_waitcnt vmcnt(14)
	s_delay_alu instid0(VALU_DEP_1) | instskip(NEXT) | instid1(VALU_DEP_1)
	v_mul_f32_e64 v9, 0x2f800000, |v3|
	v_floor_f32_e32 v9, v9
	s_delay_alu instid0(VALU_DEP_1) | instskip(SKIP_2) | instid1(VALU_DEP_3)
	v_fma_f32 v51, 0xcf800000, v9, |v3|
	v_ashrrev_i32_e32 v3, 31, v3
	v_cvt_u32_f32_e32 v9, v9
	v_cvt_u32_f32_e32 v51, v51
	s_delay_alu instid0(VALU_DEP_2) | instskip(NEXT) | instid1(VALU_DEP_2)
	v_xor_b32_e32 v9, v9, v3
	v_xor_b32_e32 v51, v51, v3
	s_delay_alu instid0(VALU_DEP_1) | instskip(NEXT) | instid1(VALU_DEP_3)
	v_sub_co_u32 v51, vcc_lo, v51, v3
	v_sub_co_ci_u32_e32 v3, vcc_lo, v9, v3, vcc_lo
	v_cmp_class_f32_e64 vcc_lo, v2, 0x1f8
	v_mov_b32_e32 v2, 0
	s_delay_alu instid0(VALU_DEP_3) | instskip(SKIP_1) | instid1(VALU_DEP_1)
	v_cndmask_b32_e32 v52, -1, v3, vcc_lo
	v_cndmask_b32_e32 v51, -1, v51, vcc_lo
	v_cmpx_lt_i64_e32 -1, v[51:52]
	s_cbranch_execz .LBB49_27
; %bb.16:
	v_mov_b32_e32 v2, 1.0
	s_mov_b32 s14, exec_lo
	v_cmpx_lt_i64_e32 0, v[51:52]
	s_cbranch_execz .LBB49_26
; %bb.17:
	s_mov_b32 s10, exec_lo
	v_cmpx_ne_u64_e32 1, v[51:52]
	s_xor_b32 s16, exec_lo, s10
	s_cbranch_execz .LBB49_23
; %bb.18:
	v_mov_b32_e32 v2, 0x7fc00000
	s_mov_b32 s17, exec_lo
	v_cmpx_gt_u64_e32 0x81, v[51:52]
	s_cbranch_execz .LBB49_22
; %bb.19:
	v_add_f32_e32 v3, v10, v10
	v_lshlrev_b64 v[51:52], 1, v[51:52]
	v_mov_b32_e32 v9, 1.0
	s_mov_b64 s[10:11], 2
	s_mov_b32 s18, 0
	v_mov_b32_e32 v2, v3
	.p2align	6
.LBB49_20:                              ; =>This Inner Loop Header: Depth=1
	s_clz_i32_u32 s19, s11
	s_delay_alu instid0(SALU_CYCLE_1) | instskip(NEXT) | instid1(SALU_CYCLE_1)
	s_min_u32 s19, s19, 32
	s_lshl_b64 s[20:21], s[10:11], s19
	s_sub_i32 s19, 32, s19
	s_min_u32 s20, s20, 1
	s_delay_alu instid0(SALU_CYCLE_1) | instskip(SKIP_3) | instid1(SALU_CYCLE_1)
	s_or_b32 s20, s21, s20
	s_add_u32 s10, s10, 2
	v_cvt_f32_u32_e32 v57, s20
	s_addc_u32 s11, s11, 0
	v_cmp_ge_u64_e32 vcc_lo, s[10:11], v[51:52]
	s_delay_alu instid0(VALU_DEP_2) | instskip(SKIP_1) | instid1(VALU_DEP_1)
	v_ldexp_f32 v57, v57, s19
	s_or_b32 s18, vcc_lo, s18
	v_mul_f32_e32 v57, v9, v57
	v_mov_b32_e32 v9, v2
	s_delay_alu instid0(VALU_DEP_2)
	v_fma_f32 v2, v3, v2, -v57
	s_and_not1_b32 exec_lo, exec_lo, s18
	s_cbranch_execnz .LBB49_20
; %bb.21:
	s_or_b32 exec_lo, exec_lo, s18
.LBB49_22:
	s_delay_alu instid0(SALU_CYCLE_1)
	s_or_b32 exec_lo, exec_lo, s17
.LBB49_23:
	s_and_not1_saveexec_b32 s10, s16
; %bb.24:
	v_add_f32_e32 v2, v10, v10
; %bb.25:
	s_or_b32 exec_lo, exec_lo, s10
.LBB49_26:
	s_delay_alu instid0(SALU_CYCLE_1)
	s_or_b32 exec_lo, exec_lo, s14
.LBB49_27:
	s_delay_alu instid0(SALU_CYCLE_1) | instskip(SKIP_2) | instid1(VALU_DEP_1)
	s_or_b32 exec_lo, exec_lo, s13
	v_lshlrev_b32_e32 v3, 16, v4
	s_mov_b32 s13, exec_lo
	v_trunc_f32_e32 v9, v3
	s_delay_alu instid0(VALU_DEP_1) | instskip(NEXT) | instid1(VALU_DEP_1)
	v_mul_f32_e64 v10, 0x2f800000, |v9|
	v_floor_f32_e32 v10, v10
	s_delay_alu instid0(VALU_DEP_1) | instskip(SKIP_2) | instid1(VALU_DEP_3)
	v_fma_f32 v51, 0xcf800000, v10, |v9|
	v_ashrrev_i32_e32 v9, 31, v9
	v_cvt_u32_f32_e32 v10, v10
	v_cvt_u32_f32_e32 v51, v51
	s_delay_alu instid0(VALU_DEP_2) | instskip(NEXT) | instid1(VALU_DEP_2)
	v_xor_b32_e32 v10, v10, v9
	v_xor_b32_e32 v51, v51, v9
	s_delay_alu instid0(VALU_DEP_1) | instskip(NEXT) | instid1(VALU_DEP_3)
	v_sub_co_u32 v51, vcc_lo, v51, v9
	v_sub_co_ci_u32_e32 v9, vcc_lo, v10, v9, vcc_lo
	v_cmp_class_f32_e64 vcc_lo, v3, 0x1f8
	s_delay_alu instid0(VALU_DEP_2) | instskip(NEXT) | instid1(VALU_DEP_4)
	v_dual_mov_b32 v3, 0 :: v_dual_cndmask_b32 v10, -1, v9
	v_cndmask_b32_e32 v9, -1, v51, vcc_lo
	s_delay_alu instid0(VALU_DEP_1)
	v_cmpx_lt_i64_e32 -1, v[9:10]
	s_cbranch_execz .LBB49_39
; %bb.28:
	v_mov_b32_e32 v3, 1.0
	s_mov_b32 s14, exec_lo
	v_cmpx_lt_i64_e32 0, v[9:10]
	s_cbranch_execz .LBB49_38
; %bb.29:
	s_mov_b32 s10, exec_lo
	v_cmpx_ne_u64_e32 1, v[9:10]
	s_xor_b32 s16, exec_lo, s10
	s_cbranch_execz .LBB49_35
; %bb.30:
	v_mov_b32_e32 v3, 0x7fc00000
	s_mov_b32 s17, exec_lo
	v_cmpx_gt_u64_e32 0x81, v[9:10]
	s_cbranch_execz .LBB49_34
; %bb.31:
	v_dual_add_f32 v51, v11, v11 :: v_dual_mov_b32 v52, 1.0
	v_lshlrev_b64 v[9:10], 1, v[9:10]
	s_mov_b64 s[10:11], 2
	s_mov_b32 s18, 0
	s_delay_alu instid0(VALU_DEP_2)
	v_mov_b32_e32 v3, v51
	.p2align	6
.LBB49_32:                              ; =>This Inner Loop Header: Depth=1
	s_clz_i32_u32 s19, s11
	s_delay_alu instid0(SALU_CYCLE_1) | instskip(NEXT) | instid1(SALU_CYCLE_1)
	s_min_u32 s19, s19, 32
	s_lshl_b64 s[20:21], s[10:11], s19
	s_sub_i32 s19, 32, s19
	s_min_u32 s20, s20, 1
	s_delay_alu instid0(SALU_CYCLE_1) | instskip(SKIP_3) | instid1(SALU_CYCLE_1)
	s_or_b32 s20, s21, s20
	s_add_u32 s10, s10, 2
	v_cvt_f32_u32_e32 v57, s20
	s_addc_u32 s11, s11, 0
	v_cmp_ge_u64_e32 vcc_lo, s[10:11], v[9:10]
	s_delay_alu instid0(VALU_DEP_2) | instskip(SKIP_1) | instid1(VALU_DEP_1)
	v_ldexp_f32 v57, v57, s19
	s_or_b32 s18, vcc_lo, s18
	v_dual_mul_f32 v57, v52, v57 :: v_dual_mov_b32 v52, v3
	s_delay_alu instid0(VALU_DEP_1)
	v_fma_f32 v3, v51, v3, -v57
	s_and_not1_b32 exec_lo, exec_lo, s18
	s_cbranch_execnz .LBB49_32
; %bb.33:
	s_or_b32 exec_lo, exec_lo, s18
.LBB49_34:
	s_delay_alu instid0(SALU_CYCLE_1)
	s_or_b32 exec_lo, exec_lo, s17
.LBB49_35:
	s_and_not1_saveexec_b32 s10, s16
; %bb.36:
	v_add_f32_e32 v3, v11, v11
; %bb.37:
	s_or_b32 exec_lo, exec_lo, s10
.LBB49_38:
	s_delay_alu instid0(SALU_CYCLE_1)
	s_or_b32 exec_lo, exec_lo, s14
.LBB49_39:
	s_delay_alu instid0(SALU_CYCLE_1) | instskip(SKIP_2) | instid1(VALU_DEP_1)
	s_or_b32 exec_lo, exec_lo, s13
	v_and_b32_e32 v4, 0xffff0000, v4
	s_mov_b32 s13, exec_lo
	v_trunc_f32_e32 v9, v4
	s_delay_alu instid0(VALU_DEP_1) | instskip(NEXT) | instid1(VALU_DEP_1)
	v_mul_f32_e64 v10, 0x2f800000, |v9|
	v_floor_f32_e32 v10, v10
	s_delay_alu instid0(VALU_DEP_1) | instskip(SKIP_2) | instid1(VALU_DEP_3)
	v_fma_f32 v11, 0xcf800000, v10, |v9|
	v_ashrrev_i32_e32 v9, 31, v9
	v_cvt_u32_f32_e32 v10, v10
	v_cvt_u32_f32_e32 v11, v11
	s_delay_alu instid0(VALU_DEP_2) | instskip(NEXT) | instid1(VALU_DEP_2)
	v_xor_b32_e32 v10, v10, v9
	v_xor_b32_e32 v11, v11, v9
	s_delay_alu instid0(VALU_DEP_1) | instskip(NEXT) | instid1(VALU_DEP_3)
	v_sub_co_u32 v11, vcc_lo, v11, v9
	v_sub_co_ci_u32_e32 v9, vcc_lo, v10, v9, vcc_lo
	v_cmp_class_f32_e64 vcc_lo, v4, 0x1f8
	v_mov_b32_e32 v4, 0
	s_delay_alu instid0(VALU_DEP_3) | instskip(NEXT) | instid1(VALU_DEP_1)
	v_dual_cndmask_b32 v10, -1, v9 :: v_dual_cndmask_b32 v9, -1, v11
	v_cmpx_lt_i64_e32 -1, v[9:10]
	s_cbranch_execz .LBB49_51
; %bb.40:
	v_mov_b32_e32 v4, 1.0
	s_mov_b32 s14, exec_lo
	v_cmpx_lt_i64_e32 0, v[9:10]
	s_cbranch_execz .LBB49_50
; %bb.41:
	s_mov_b32 s10, exec_lo
	v_cmpx_ne_u64_e32 1, v[9:10]
	s_xor_b32 s16, exec_lo, s10
	s_cbranch_execz .LBB49_47
; %bb.42:
	v_mov_b32_e32 v4, 0x7fc00000
	s_mov_b32 s17, exec_lo
	v_cmpx_gt_u64_e32 0x81, v[9:10]
	s_cbranch_execz .LBB49_46
; %bb.43:
	v_dual_add_f32 v11, v12, v12 :: v_dual_mov_b32 v12, 1.0
	v_lshlrev_b64 v[9:10], 1, v[9:10]
	s_mov_b64 s[10:11], 2
	s_mov_b32 s18, 0
	s_delay_alu instid0(VALU_DEP_2)
	v_mov_b32_e32 v4, v11
	.p2align	6
.LBB49_44:                              ; =>This Inner Loop Header: Depth=1
	s_clz_i32_u32 s19, s11
	s_delay_alu instid0(SALU_CYCLE_1) | instskip(NEXT) | instid1(SALU_CYCLE_1)
	s_min_u32 s19, s19, 32
	s_lshl_b64 s[20:21], s[10:11], s19
	s_sub_i32 s19, 32, s19
	s_min_u32 s20, s20, 1
	s_delay_alu instid0(SALU_CYCLE_1) | instskip(SKIP_3) | instid1(SALU_CYCLE_1)
	s_or_b32 s20, s21, s20
	s_add_u32 s10, s10, 2
	v_cvt_f32_u32_e32 v51, s20
	s_addc_u32 s11, s11, 0
	v_cmp_ge_u64_e32 vcc_lo, s[10:11], v[9:10]
	s_delay_alu instid0(VALU_DEP_2) | instskip(SKIP_1) | instid1(VALU_DEP_1)
	v_ldexp_f32 v51, v51, s19
	s_or_b32 s18, vcc_lo, s18
	v_mul_f32_e32 v51, v12, v51
	v_mov_b32_e32 v12, v4
	s_delay_alu instid0(VALU_DEP_2)
	v_fma_f32 v4, v11, v4, -v51
	s_and_not1_b32 exec_lo, exec_lo, s18
	s_cbranch_execnz .LBB49_44
; %bb.45:
	s_or_b32 exec_lo, exec_lo, s18
.LBB49_46:
	s_delay_alu instid0(SALU_CYCLE_1)
	s_or_b32 exec_lo, exec_lo, s17
                                        ; implicit-def: $vgpr9_vgpr10_vgpr11_vgpr12
.LBB49_47:
	s_and_not1_saveexec_b32 s10, s16
; %bb.48:
	v_add_f32_e32 v4, v12, v12
; %bb.49:
	s_or_b32 exec_lo, exec_lo, s10
.LBB49_50:
	s_delay_alu instid0(SALU_CYCLE_1)
	s_or_b32 exec_lo, exec_lo, s14
.LBB49_51:
	s_delay_alu instid0(SALU_CYCLE_1) | instskip(SKIP_3) | instid1(VALU_DEP_1)
	s_or_b32 exec_lo, exec_lo, s13
	s_waitcnt vmcnt(6)
	v_lshlrev_b32_e32 v9, 16, v49
	s_mov_b32 s13, exec_lo
	v_trunc_f32_e32 v10, v9
	s_delay_alu instid0(VALU_DEP_1) | instskip(NEXT) | instid1(VALU_DEP_1)
	v_mul_f32_e64 v11, 0x2f800000, |v10|
	v_floor_f32_e32 v11, v11
	s_delay_alu instid0(VALU_DEP_1) | instskip(SKIP_2) | instid1(VALU_DEP_3)
	v_fma_f32 v12, 0xcf800000, v11, |v10|
	v_ashrrev_i32_e32 v10, 31, v10
	v_cvt_u32_f32_e32 v11, v11
	v_cvt_u32_f32_e32 v12, v12
	s_delay_alu instid0(VALU_DEP_2) | instskip(NEXT) | instid1(VALU_DEP_2)
	v_xor_b32_e32 v11, v11, v10
	v_xor_b32_e32 v12, v12, v10
	s_delay_alu instid0(VALU_DEP_1) | instskip(NEXT) | instid1(VALU_DEP_3)
	v_sub_co_u32 v12, vcc_lo, v12, v10
	v_sub_co_ci_u32_e32 v10, vcc_lo, v11, v10, vcc_lo
	v_cmp_class_f32_e64 vcc_lo, v9, 0x1f8
	v_mov_b32_e32 v9, 0
	s_delay_alu instid0(VALU_DEP_3) | instskip(NEXT) | instid1(VALU_DEP_1)
	v_dual_cndmask_b32 v11, -1, v10 :: v_dual_cndmask_b32 v10, -1, v12
	v_cmpx_lt_i64_e32 -1, v[10:11]
	s_cbranch_execz .LBB49_63
; %bb.52:
	v_mov_b32_e32 v9, 1.0
	s_mov_b32 s14, exec_lo
	v_cmpx_lt_i64_e32 0, v[10:11]
	s_cbranch_execz .LBB49_62
; %bb.53:
                                        ; implicit-def: $vgpr9
	s_mov_b32 s10, exec_lo
	v_cmpx_ne_u64_e32 1, v[10:11]
	s_xor_b32 s16, exec_lo, s10
	s_cbranch_execz .LBB49_59
; %bb.54:
	v_mov_b32_e32 v9, 0x7fc00000
	s_mov_b32 s17, exec_lo
	v_cmpx_gt_u64_e32 0x81, v[10:11]
	s_cbranch_execz .LBB49_58
; %bb.55:
	v_dual_add_f32 v12, v17, v17 :: v_dual_mov_b32 v51, 1.0
	v_lshlrev_b64 v[10:11], 1, v[10:11]
	s_mov_b64 s[10:11], 2
	s_mov_b32 s18, 0
	s_delay_alu instid0(VALU_DEP_2)
	v_mov_b32_e32 v9, v12
	.p2align	6
.LBB49_56:                              ; =>This Inner Loop Header: Depth=1
	s_clz_i32_u32 s19, s11
	s_delay_alu instid0(SALU_CYCLE_1) | instskip(NEXT) | instid1(SALU_CYCLE_1)
	s_min_u32 s19, s19, 32
	s_lshl_b64 s[20:21], s[10:11], s19
	s_sub_i32 s19, 32, s19
	s_min_u32 s20, s20, 1
	s_delay_alu instid0(SALU_CYCLE_1) | instskip(SKIP_3) | instid1(SALU_CYCLE_1)
	s_or_b32 s20, s21, s20
	s_add_u32 s10, s10, 2
	v_cvt_f32_u32_e32 v52, s20
	s_addc_u32 s11, s11, 0
	v_cmp_ge_u64_e32 vcc_lo, s[10:11], v[10:11]
	s_delay_alu instid0(VALU_DEP_2) | instskip(SKIP_1) | instid1(VALU_DEP_1)
	v_ldexp_f32 v52, v52, s19
	s_or_b32 s18, vcc_lo, s18
	v_dual_mul_f32 v52, v51, v52 :: v_dual_mov_b32 v51, v9
	s_delay_alu instid0(VALU_DEP_1)
	v_fma_f32 v9, v12, v9, -v52
	s_and_not1_b32 exec_lo, exec_lo, s18
	s_cbranch_execnz .LBB49_56
; %bb.57:
	s_or_b32 exec_lo, exec_lo, s18
.LBB49_58:
	s_delay_alu instid0(SALU_CYCLE_1)
	s_or_b32 exec_lo, exec_lo, s17
.LBB49_59:
	s_and_not1_saveexec_b32 s10, s16
; %bb.60:
	v_add_f32_e32 v9, v17, v17
; %bb.61:
	s_or_b32 exec_lo, exec_lo, s10
.LBB49_62:
	s_delay_alu instid0(SALU_CYCLE_1)
	s_or_b32 exec_lo, exec_lo, s14
.LBB49_63:
	s_delay_alu instid0(SALU_CYCLE_1) | instskip(SKIP_2) | instid1(VALU_DEP_1)
	s_or_b32 exec_lo, exec_lo, s13
	v_and_b32_e32 v10, 0xffff0000, v49
	s_mov_b32 s13, exec_lo
	v_trunc_f32_e32 v11, v10
	s_delay_alu instid0(VALU_DEP_1) | instskip(NEXT) | instid1(VALU_DEP_1)
	v_mul_f32_e64 v12, 0x2f800000, |v11|
	v_floor_f32_e32 v12, v12
	s_delay_alu instid0(VALU_DEP_1) | instskip(SKIP_2) | instid1(VALU_DEP_3)
	v_fma_f32 v17, 0xcf800000, v12, |v11|
	v_ashrrev_i32_e32 v11, 31, v11
	v_cvt_u32_f32_e32 v12, v12
	v_cvt_u32_f32_e32 v17, v17
	s_delay_alu instid0(VALU_DEP_2) | instskip(NEXT) | instid1(VALU_DEP_2)
	v_xor_b32_e32 v12, v12, v11
	v_xor_b32_e32 v17, v17, v11
	s_delay_alu instid0(VALU_DEP_1) | instskip(NEXT) | instid1(VALU_DEP_3)
	v_sub_co_u32 v17, vcc_lo, v17, v11
	v_sub_co_ci_u32_e32 v11, vcc_lo, v12, v11, vcc_lo
	v_cmp_class_f32_e64 vcc_lo, v10, 0x1f8
	v_mov_b32_e32 v10, 0
	s_delay_alu instid0(VALU_DEP_3) | instskip(NEXT) | instid1(VALU_DEP_1)
	v_dual_cndmask_b32 v12, -1, v11 :: v_dual_cndmask_b32 v11, -1, v17
	v_cmpx_lt_i64_e32 -1, v[11:12]
	s_cbranch_execz .LBB49_75
; %bb.64:
	v_mov_b32_e32 v10, 1.0
	s_mov_b32 s14, exec_lo
	v_cmpx_lt_i64_e32 0, v[11:12]
	s_cbranch_execz .LBB49_74
; %bb.65:
	s_mov_b32 s10, exec_lo
	v_cmpx_ne_u64_e32 1, v[11:12]
	s_xor_b32 s16, exec_lo, s10
	s_cbranch_execz .LBB49_71
; %bb.66:
	v_mov_b32_e32 v10, 0x7fc00000
	s_mov_b32 s17, exec_lo
	v_cmpx_gt_u64_e32 0x81, v[11:12]
	s_cbranch_execz .LBB49_70
; %bb.67:
	v_add_f32_e32 v17, v18, v18
	v_lshlrev_b64 v[11:12], 1, v[11:12]
	v_mov_b32_e32 v49, 1.0
	s_mov_b64 s[10:11], 2
	s_mov_b32 s18, 0
	v_mov_b32_e32 v10, v17
	.p2align	6
.LBB49_68:                              ; =>This Inner Loop Header: Depth=1
	s_clz_i32_u32 s19, s11
	s_delay_alu instid0(SALU_CYCLE_1) | instskip(NEXT) | instid1(SALU_CYCLE_1)
	s_min_u32 s19, s19, 32
	s_lshl_b64 s[20:21], s[10:11], s19
	s_sub_i32 s19, 32, s19
	s_min_u32 s20, s20, 1
	s_delay_alu instid0(SALU_CYCLE_1) | instskip(SKIP_3) | instid1(SALU_CYCLE_1)
	s_or_b32 s20, s21, s20
	s_add_u32 s10, s10, 2
	v_cvt_f32_u32_e32 v51, s20
	s_addc_u32 s11, s11, 0
	v_cmp_ge_u64_e32 vcc_lo, s[10:11], v[11:12]
	s_delay_alu instid0(VALU_DEP_2) | instskip(SKIP_1) | instid1(VALU_DEP_1)
	v_ldexp_f32 v51, v51, s19
	s_or_b32 s18, vcc_lo, s18
	v_mul_f32_e32 v51, v49, v51
	v_mov_b32_e32 v49, v10
	s_delay_alu instid0(VALU_DEP_2)
	v_fma_f32 v10, v17, v10, -v51
	s_and_not1_b32 exec_lo, exec_lo, s18
	s_cbranch_execnz .LBB49_68
; %bb.69:
	s_or_b32 exec_lo, exec_lo, s18
.LBB49_70:
	s_delay_alu instid0(SALU_CYCLE_1)
	s_or_b32 exec_lo, exec_lo, s17
.LBB49_71:
	s_and_not1_saveexec_b32 s10, s16
; %bb.72:
	v_add_f32_e32 v10, v18, v18
; %bb.73:
	s_or_b32 exec_lo, exec_lo, s10
.LBB49_74:
	s_delay_alu instid0(SALU_CYCLE_1)
	s_or_b32 exec_lo, exec_lo, s14
.LBB49_75:
	s_delay_alu instid0(SALU_CYCLE_1) | instskip(SKIP_2) | instid1(VALU_DEP_1)
	s_or_b32 exec_lo, exec_lo, s13
	v_lshlrev_b32_e32 v11, 16, v50
	s_mov_b32 s13, exec_lo
	v_trunc_f32_e32 v12, v11
	s_delay_alu instid0(VALU_DEP_1) | instskip(NEXT) | instid1(VALU_DEP_1)
	v_mul_f32_e64 v17, 0x2f800000, |v12|
	v_floor_f32_e32 v17, v17
	s_delay_alu instid0(VALU_DEP_1) | instskip(SKIP_2) | instid1(VALU_DEP_3)
	v_fma_f32 v18, 0xcf800000, v17, |v12|
	v_ashrrev_i32_e32 v12, 31, v12
	v_cvt_u32_f32_e32 v17, v17
	v_cvt_u32_f32_e32 v18, v18
	s_delay_alu instid0(VALU_DEP_2) | instskip(NEXT) | instid1(VALU_DEP_2)
	v_xor_b32_e32 v17, v17, v12
	v_xor_b32_e32 v18, v18, v12
	s_delay_alu instid0(VALU_DEP_1) | instskip(NEXT) | instid1(VALU_DEP_3)
	v_sub_co_u32 v49, vcc_lo, v18, v12
	v_sub_co_ci_u32_e32 v12, vcc_lo, v17, v12, vcc_lo
	v_cmp_class_f32_e64 vcc_lo, v11, 0x1f8
	s_delay_alu instid0(VALU_DEP_2) | instskip(NEXT) | instid1(VALU_DEP_4)
	v_dual_mov_b32 v11, 0 :: v_dual_cndmask_b32 v18, -1, v12
	v_cndmask_b32_e32 v17, -1, v49, vcc_lo
	s_delay_alu instid0(VALU_DEP_1)
	v_cmpx_lt_i64_e32 -1, v[17:18]
	s_cbranch_execz .LBB49_87
; %bb.76:
	v_mov_b32_e32 v11, 1.0
	s_mov_b32 s14, exec_lo
	v_cmpx_lt_i64_e32 0, v[17:18]
	s_cbranch_execz .LBB49_86
; %bb.77:
	s_mov_b32 s10, exec_lo
	v_cmpx_ne_u64_e32 1, v[17:18]
	s_xor_b32 s16, exec_lo, s10
	s_cbranch_execz .LBB49_83
; %bb.78:
	v_mov_b32_e32 v11, 0x7fc00000
	s_mov_b32 s17, exec_lo
	v_cmpx_gt_u64_e32 0x81, v[17:18]
	s_cbranch_execz .LBB49_82
; %bb.79:
	v_dual_add_f32 v12, v19, v19 :: v_dual_mov_b32 v49, 1.0
	v_lshlrev_b64 v[17:18], 1, v[17:18]
	s_mov_b64 s[10:11], 2
	s_mov_b32 s18, 0
	s_delay_alu instid0(VALU_DEP_2)
	v_mov_b32_e32 v11, v12
	.p2align	6
.LBB49_80:                              ; =>This Inner Loop Header: Depth=1
	s_clz_i32_u32 s19, s11
	s_delay_alu instid0(SALU_CYCLE_1) | instskip(NEXT) | instid1(SALU_CYCLE_1)
	s_min_u32 s19, s19, 32
	s_lshl_b64 s[20:21], s[10:11], s19
	s_sub_i32 s19, 32, s19
	s_min_u32 s20, s20, 1
	s_delay_alu instid0(SALU_CYCLE_1) | instskip(SKIP_3) | instid1(SALU_CYCLE_1)
	s_or_b32 s20, s21, s20
	s_add_u32 s10, s10, 2
	v_cvt_f32_u32_e32 v51, s20
	s_addc_u32 s11, s11, 0
	v_cmp_ge_u64_e32 vcc_lo, s[10:11], v[17:18]
	s_delay_alu instid0(VALU_DEP_2) | instskip(SKIP_1) | instid1(VALU_DEP_1)
	v_ldexp_f32 v51, v51, s19
	s_or_b32 s18, vcc_lo, s18
	v_mul_f32_e32 v51, v49, v51
	v_mov_b32_e32 v49, v11
	s_delay_alu instid0(VALU_DEP_2)
	v_fma_f32 v11, v12, v11, -v51
	s_and_not1_b32 exec_lo, exec_lo, s18
	s_cbranch_execnz .LBB49_80
; %bb.81:
	s_or_b32 exec_lo, exec_lo, s18
.LBB49_82:
	s_delay_alu instid0(SALU_CYCLE_1)
	s_or_b32 exec_lo, exec_lo, s17
.LBB49_83:
	s_and_not1_saveexec_b32 s10, s16
; %bb.84:
	v_add_f32_e32 v11, v19, v19
; %bb.85:
	s_or_b32 exec_lo, exec_lo, s10
.LBB49_86:
	s_delay_alu instid0(SALU_CYCLE_1)
	s_or_b32 exec_lo, exec_lo, s14
.LBB49_87:
	s_delay_alu instid0(SALU_CYCLE_1) | instskip(SKIP_2) | instid1(VALU_DEP_1)
	s_or_b32 exec_lo, exec_lo, s13
	v_and_b32_e32 v12, 0xffff0000, v50
	s_mov_b32 s13, exec_lo
	v_trunc_f32_e32 v17, v12
	s_delay_alu instid0(VALU_DEP_1) | instskip(NEXT) | instid1(VALU_DEP_1)
	v_mul_f32_e64 v18, 0x2f800000, |v17|
	v_floor_f32_e32 v18, v18
	s_delay_alu instid0(VALU_DEP_1) | instskip(SKIP_2) | instid1(VALU_DEP_3)
	v_fma_f32 v19, 0xcf800000, v18, |v17|
	v_ashrrev_i32_e32 v17, 31, v17
	v_cvt_u32_f32_e32 v18, v18
	v_cvt_u32_f32_e32 v19, v19
	s_delay_alu instid0(VALU_DEP_2) | instskip(NEXT) | instid1(VALU_DEP_2)
	v_xor_b32_e32 v18, v18, v17
	v_xor_b32_e32 v19, v19, v17
	s_delay_alu instid0(VALU_DEP_1) | instskip(NEXT) | instid1(VALU_DEP_3)
	v_sub_co_u32 v19, vcc_lo, v19, v17
	v_sub_co_ci_u32_e32 v17, vcc_lo, v18, v17, vcc_lo
	v_cmp_class_f32_e64 vcc_lo, v12, 0x1f8
	v_mov_b32_e32 v12, 0
	s_delay_alu instid0(VALU_DEP_3) | instskip(NEXT) | instid1(VALU_DEP_1)
	v_dual_cndmask_b32 v18, -1, v17 :: v_dual_cndmask_b32 v17, -1, v19
	v_cmpx_lt_i64_e32 -1, v[17:18]
	s_cbranch_execz .LBB49_99
; %bb.88:
	v_mov_b32_e32 v12, 1.0
	s_mov_b32 s14, exec_lo
	v_cmpx_lt_i64_e32 0, v[17:18]
	s_cbranch_execz .LBB49_98
; %bb.89:
	s_mov_b32 s10, exec_lo
	v_cmpx_ne_u64_e32 1, v[17:18]
	s_xor_b32 s16, exec_lo, s10
	s_cbranch_execz .LBB49_95
; %bb.90:
	v_mov_b32_e32 v12, 0x7fc00000
	s_mov_b32 s17, exec_lo
	v_cmpx_gt_u64_e32 0x81, v[17:18]
	s_cbranch_execz .LBB49_94
; %bb.91:
	v_dual_add_f32 v19, v20, v20 :: v_dual_mov_b32 v20, 1.0
	v_lshlrev_b64 v[17:18], 1, v[17:18]
	s_mov_b64 s[10:11], 2
	s_mov_b32 s18, 0
	s_delay_alu instid0(VALU_DEP_2)
	v_mov_b32_e32 v12, v19
	.p2align	6
.LBB49_92:                              ; =>This Inner Loop Header: Depth=1
	s_clz_i32_u32 s19, s11
	s_delay_alu instid0(SALU_CYCLE_1) | instskip(NEXT) | instid1(SALU_CYCLE_1)
	s_min_u32 s19, s19, 32
	s_lshl_b64 s[20:21], s[10:11], s19
	s_sub_i32 s19, 32, s19
	s_min_u32 s20, s20, 1
	s_delay_alu instid0(SALU_CYCLE_1) | instskip(SKIP_3) | instid1(SALU_CYCLE_1)
	s_or_b32 s20, s21, s20
	s_add_u32 s10, s10, 2
	v_cvt_f32_u32_e32 v49, s20
	s_addc_u32 s11, s11, 0
	v_cmp_ge_u64_e32 vcc_lo, s[10:11], v[17:18]
	s_delay_alu instid0(VALU_DEP_2) | instskip(SKIP_1) | instid1(VALU_DEP_1)
	v_ldexp_f32 v49, v49, s19
	s_or_b32 s18, vcc_lo, s18
	v_mul_f32_e32 v49, v20, v49
	v_mov_b32_e32 v20, v12
	s_delay_alu instid0(VALU_DEP_2)
	v_fma_f32 v12, v19, v12, -v49
	s_and_not1_b32 exec_lo, exec_lo, s18
	s_cbranch_execnz .LBB49_92
; %bb.93:
	s_or_b32 exec_lo, exec_lo, s18
.LBB49_94:
	s_delay_alu instid0(SALU_CYCLE_1)
	s_or_b32 exec_lo, exec_lo, s17
                                        ; implicit-def: $vgpr17_vgpr18_vgpr19_vgpr20
.LBB49_95:
	s_and_not1_saveexec_b32 s10, s16
; %bb.96:
	v_add_f32_e32 v12, v20, v20
; %bb.97:
	s_or_b32 exec_lo, exec_lo, s10
.LBB49_98:
	s_delay_alu instid0(SALU_CYCLE_1)
	s_or_b32 exec_lo, exec_lo, s14
.LBB49_99:
	s_delay_alu instid0(SALU_CYCLE_1) | instskip(SKIP_3) | instid1(VALU_DEP_1)
	s_or_b32 exec_lo, exec_lo, s13
	s_waitcnt vmcnt(5)
	v_lshlrev_b32_e32 v17, 16, v47
	s_mov_b32 s13, exec_lo
	v_trunc_f32_e32 v18, v17
	s_delay_alu instid0(VALU_DEP_1) | instskip(NEXT) | instid1(VALU_DEP_1)
	v_mul_f32_e64 v19, 0x2f800000, |v18|
	v_floor_f32_e32 v19, v19
	s_delay_alu instid0(VALU_DEP_1) | instskip(SKIP_2) | instid1(VALU_DEP_3)
	v_fma_f32 v20, 0xcf800000, v19, |v18|
	v_ashrrev_i32_e32 v18, 31, v18
	v_cvt_u32_f32_e32 v19, v19
	v_cvt_u32_f32_e32 v20, v20
	s_delay_alu instid0(VALU_DEP_2) | instskip(NEXT) | instid1(VALU_DEP_2)
	v_xor_b32_e32 v19, v19, v18
	v_xor_b32_e32 v20, v20, v18
	s_delay_alu instid0(VALU_DEP_1) | instskip(NEXT) | instid1(VALU_DEP_3)
	v_sub_co_u32 v20, vcc_lo, v20, v18
	v_sub_co_ci_u32_e32 v18, vcc_lo, v19, v18, vcc_lo
	v_cmp_class_f32_e64 vcc_lo, v17, 0x1f8
	v_mov_b32_e32 v17, 0
	s_delay_alu instid0(VALU_DEP_3) | instskip(NEXT) | instid1(VALU_DEP_1)
	v_dual_cndmask_b32 v19, -1, v18 :: v_dual_cndmask_b32 v18, -1, v20
	v_cmpx_lt_i64_e32 -1, v[18:19]
	s_cbranch_execz .LBB49_111
; %bb.100:
	v_mov_b32_e32 v17, 1.0
	s_mov_b32 s14, exec_lo
	v_cmpx_lt_i64_e32 0, v[18:19]
	s_cbranch_execz .LBB49_110
; %bb.101:
                                        ; implicit-def: $vgpr17
	s_mov_b32 s10, exec_lo
	v_cmpx_ne_u64_e32 1, v[18:19]
	s_xor_b32 s16, exec_lo, s10
	s_cbranch_execz .LBB49_107
; %bb.102:
	v_mov_b32_e32 v17, 0x7fc00000
	s_mov_b32 s17, exec_lo
	v_cmpx_gt_u64_e32 0x81, v[18:19]
	s_cbranch_execz .LBB49_106
; %bb.103:
	v_dual_add_f32 v20, v25, v25 :: v_dual_mov_b32 v49, 1.0
	v_lshlrev_b64 v[18:19], 1, v[18:19]
	s_mov_b64 s[10:11], 2
	s_mov_b32 s18, 0
	s_delay_alu instid0(VALU_DEP_2)
	v_mov_b32_e32 v17, v20
	.p2align	6
.LBB49_104:                             ; =>This Inner Loop Header: Depth=1
	s_clz_i32_u32 s19, s11
	s_delay_alu instid0(SALU_CYCLE_1) | instskip(NEXT) | instid1(SALU_CYCLE_1)
	s_min_u32 s19, s19, 32
	s_lshl_b64 s[20:21], s[10:11], s19
	s_sub_i32 s19, 32, s19
	s_min_u32 s20, s20, 1
	s_delay_alu instid0(SALU_CYCLE_1) | instskip(SKIP_3) | instid1(SALU_CYCLE_1)
	s_or_b32 s20, s21, s20
	s_add_u32 s10, s10, 2
	v_cvt_f32_u32_e32 v50, s20
	s_addc_u32 s11, s11, 0
	v_cmp_ge_u64_e32 vcc_lo, s[10:11], v[18:19]
	s_delay_alu instid0(VALU_DEP_2) | instskip(SKIP_1) | instid1(VALU_DEP_1)
	v_ldexp_f32 v50, v50, s19
	s_or_b32 s18, vcc_lo, s18
	v_mul_f32_e32 v50, v49, v50
	v_mov_b32_e32 v49, v17
	s_delay_alu instid0(VALU_DEP_2)
	v_fma_f32 v17, v20, v17, -v50
	s_and_not1_b32 exec_lo, exec_lo, s18
	s_cbranch_execnz .LBB49_104
; %bb.105:
	s_or_b32 exec_lo, exec_lo, s18
.LBB49_106:
	s_delay_alu instid0(SALU_CYCLE_1)
	s_or_b32 exec_lo, exec_lo, s17
.LBB49_107:
	s_and_not1_saveexec_b32 s10, s16
; %bb.108:
	v_add_f32_e32 v17, v25, v25
; %bb.109:
	s_or_b32 exec_lo, exec_lo, s10
.LBB49_110:
	s_delay_alu instid0(SALU_CYCLE_1)
	s_or_b32 exec_lo, exec_lo, s14
.LBB49_111:
	s_delay_alu instid0(SALU_CYCLE_1) | instskip(SKIP_2) | instid1(VALU_DEP_1)
	s_or_b32 exec_lo, exec_lo, s13
	v_and_b32_e32 v18, 0xffff0000, v47
	s_mov_b32 s13, exec_lo
	v_trunc_f32_e32 v19, v18
	s_delay_alu instid0(VALU_DEP_1) | instskip(NEXT) | instid1(VALU_DEP_1)
	v_mul_f32_e64 v20, 0x2f800000, |v19|
	v_floor_f32_e32 v20, v20
	s_delay_alu instid0(VALU_DEP_1) | instskip(SKIP_2) | instid1(VALU_DEP_3)
	v_fma_f32 v25, 0xcf800000, v20, |v19|
	v_ashrrev_i32_e32 v19, 31, v19
	v_cvt_u32_f32_e32 v20, v20
	v_cvt_u32_f32_e32 v25, v25
	s_delay_alu instid0(VALU_DEP_2) | instskip(NEXT) | instid1(VALU_DEP_2)
	v_xor_b32_e32 v20, v20, v19
	v_xor_b32_e32 v25, v25, v19
	s_delay_alu instid0(VALU_DEP_1) | instskip(NEXT) | instid1(VALU_DEP_3)
	v_sub_co_u32 v25, vcc_lo, v25, v19
	v_sub_co_ci_u32_e32 v19, vcc_lo, v20, v19, vcc_lo
	v_cmp_class_f32_e64 vcc_lo, v18, 0x1f8
	v_mov_b32_e32 v18, 0
	s_delay_alu instid0(VALU_DEP_3) | instskip(NEXT) | instid1(VALU_DEP_1)
	v_dual_cndmask_b32 v20, -1, v19 :: v_dual_cndmask_b32 v19, -1, v25
	v_cmpx_lt_i64_e32 -1, v[19:20]
	s_cbranch_execz .LBB49_123
; %bb.112:
	v_mov_b32_e32 v18, 1.0
	s_mov_b32 s14, exec_lo
	v_cmpx_lt_i64_e32 0, v[19:20]
	s_cbranch_execz .LBB49_122
; %bb.113:
	s_mov_b32 s10, exec_lo
	v_cmpx_ne_u64_e32 1, v[19:20]
	s_xor_b32 s16, exec_lo, s10
	s_cbranch_execz .LBB49_119
; %bb.114:
	v_mov_b32_e32 v18, 0x7fc00000
	s_mov_b32 s17, exec_lo
	v_cmpx_gt_u64_e32 0x81, v[19:20]
	s_cbranch_execz .LBB49_118
; %bb.115:
	v_add_f32_e32 v25, v26, v26
	v_lshlrev_b64 v[19:20], 1, v[19:20]
	v_mov_b32_e32 v47, 1.0
	s_mov_b64 s[10:11], 2
	s_mov_b32 s18, 0
	v_mov_b32_e32 v18, v25
	.p2align	6
.LBB49_116:                             ; =>This Inner Loop Header: Depth=1
	s_clz_i32_u32 s19, s11
	s_delay_alu instid0(SALU_CYCLE_1) | instskip(NEXT) | instid1(SALU_CYCLE_1)
	s_min_u32 s19, s19, 32
	s_lshl_b64 s[20:21], s[10:11], s19
	s_sub_i32 s19, 32, s19
	s_min_u32 s20, s20, 1
	s_delay_alu instid0(SALU_CYCLE_1) | instskip(SKIP_3) | instid1(SALU_CYCLE_1)
	s_or_b32 s20, s21, s20
	s_add_u32 s10, s10, 2
	v_cvt_f32_u32_e32 v49, s20
	s_addc_u32 s11, s11, 0
	v_cmp_ge_u64_e32 vcc_lo, s[10:11], v[19:20]
	s_delay_alu instid0(VALU_DEP_2) | instskip(SKIP_1) | instid1(VALU_DEP_1)
	v_ldexp_f32 v49, v49, s19
	s_or_b32 s18, vcc_lo, s18
	v_mul_f32_e32 v49, v47, v49
	v_mov_b32_e32 v47, v18
	s_delay_alu instid0(VALU_DEP_2)
	v_fma_f32 v18, v25, v18, -v49
	s_and_not1_b32 exec_lo, exec_lo, s18
	s_cbranch_execnz .LBB49_116
; %bb.117:
	s_or_b32 exec_lo, exec_lo, s18
.LBB49_118:
	s_delay_alu instid0(SALU_CYCLE_1)
	s_or_b32 exec_lo, exec_lo, s17
.LBB49_119:
	s_and_not1_saveexec_b32 s10, s16
; %bb.120:
	v_add_f32_e32 v18, v26, v26
; %bb.121:
	s_or_b32 exec_lo, exec_lo, s10
.LBB49_122:
	s_delay_alu instid0(SALU_CYCLE_1)
	s_or_b32 exec_lo, exec_lo, s14
.LBB49_123:
	s_delay_alu instid0(SALU_CYCLE_1) | instskip(SKIP_2) | instid1(VALU_DEP_1)
	s_or_b32 exec_lo, exec_lo, s13
	v_lshlrev_b32_e32 v19, 16, v48
	s_mov_b32 s13, exec_lo
	v_trunc_f32_e32 v20, v19
	s_delay_alu instid0(VALU_DEP_1) | instskip(NEXT) | instid1(VALU_DEP_1)
	v_mul_f32_e64 v25, 0x2f800000, |v20|
	v_floor_f32_e32 v25, v25
	s_delay_alu instid0(VALU_DEP_1) | instskip(SKIP_2) | instid1(VALU_DEP_3)
	v_fma_f32 v26, 0xcf800000, v25, |v20|
	v_ashrrev_i32_e32 v20, 31, v20
	v_cvt_u32_f32_e32 v25, v25
	v_cvt_u32_f32_e32 v26, v26
	s_delay_alu instid0(VALU_DEP_2) | instskip(NEXT) | instid1(VALU_DEP_2)
	v_xor_b32_e32 v25, v25, v20
	v_xor_b32_e32 v26, v26, v20
	s_delay_alu instid0(VALU_DEP_1) | instskip(NEXT) | instid1(VALU_DEP_3)
	v_sub_co_u32 v47, vcc_lo, v26, v20
	v_sub_co_ci_u32_e32 v20, vcc_lo, v25, v20, vcc_lo
	v_cmp_class_f32_e64 vcc_lo, v19, 0x1f8
	s_delay_alu instid0(VALU_DEP_2) | instskip(NEXT) | instid1(VALU_DEP_4)
	v_dual_mov_b32 v19, 0 :: v_dual_cndmask_b32 v26, -1, v20
	v_cndmask_b32_e32 v25, -1, v47, vcc_lo
	s_delay_alu instid0(VALU_DEP_1)
	v_cmpx_lt_i64_e32 -1, v[25:26]
	s_cbranch_execz .LBB49_135
; %bb.124:
	v_mov_b32_e32 v19, 1.0
	s_mov_b32 s14, exec_lo
	v_cmpx_lt_i64_e32 0, v[25:26]
	s_cbranch_execz .LBB49_134
; %bb.125:
	s_mov_b32 s10, exec_lo
	v_cmpx_ne_u64_e32 1, v[25:26]
	s_xor_b32 s16, exec_lo, s10
	s_cbranch_execz .LBB49_131
; %bb.126:
	v_mov_b32_e32 v19, 0x7fc00000
	s_mov_b32 s17, exec_lo
	v_cmpx_gt_u64_e32 0x81, v[25:26]
	s_cbranch_execz .LBB49_130
; %bb.127:
	v_dual_add_f32 v20, v27, v27 :: v_dual_mov_b32 v47, 1.0
	v_lshlrev_b64 v[25:26], 1, v[25:26]
	s_mov_b64 s[10:11], 2
	s_mov_b32 s18, 0
	s_delay_alu instid0(VALU_DEP_2)
	v_mov_b32_e32 v19, v20
	.p2align	6
.LBB49_128:                             ; =>This Inner Loop Header: Depth=1
	s_clz_i32_u32 s19, s11
	s_delay_alu instid0(SALU_CYCLE_1) | instskip(NEXT) | instid1(SALU_CYCLE_1)
	s_min_u32 s19, s19, 32
	s_lshl_b64 s[20:21], s[10:11], s19
	s_sub_i32 s19, 32, s19
	s_min_u32 s20, s20, 1
	s_delay_alu instid0(SALU_CYCLE_1) | instskip(SKIP_3) | instid1(SALU_CYCLE_1)
	s_or_b32 s20, s21, s20
	s_add_u32 s10, s10, 2
	v_cvt_f32_u32_e32 v49, s20
	s_addc_u32 s11, s11, 0
	v_cmp_ge_u64_e32 vcc_lo, s[10:11], v[25:26]
	s_delay_alu instid0(VALU_DEP_2) | instskip(SKIP_1) | instid1(VALU_DEP_1)
	v_ldexp_f32 v49, v49, s19
	s_or_b32 s18, vcc_lo, s18
	v_mul_f32_e32 v49, v47, v49
	v_mov_b32_e32 v47, v19
	s_delay_alu instid0(VALU_DEP_2)
	v_fma_f32 v19, v20, v19, -v49
	s_and_not1_b32 exec_lo, exec_lo, s18
	s_cbranch_execnz .LBB49_128
; %bb.129:
	s_or_b32 exec_lo, exec_lo, s18
.LBB49_130:
	s_delay_alu instid0(SALU_CYCLE_1)
	s_or_b32 exec_lo, exec_lo, s17
.LBB49_131:
	s_and_not1_saveexec_b32 s10, s16
; %bb.132:
	v_add_f32_e32 v19, v27, v27
; %bb.133:
	s_or_b32 exec_lo, exec_lo, s10
.LBB49_134:
	s_delay_alu instid0(SALU_CYCLE_1)
	s_or_b32 exec_lo, exec_lo, s14
.LBB49_135:
	s_delay_alu instid0(SALU_CYCLE_1) | instskip(SKIP_2) | instid1(VALU_DEP_1)
	s_or_b32 exec_lo, exec_lo, s13
	v_and_b32_e32 v20, 0xffff0000, v48
	s_mov_b32 s13, exec_lo
	v_trunc_f32_e32 v25, v20
	s_delay_alu instid0(VALU_DEP_1) | instskip(NEXT) | instid1(VALU_DEP_1)
	v_mul_f32_e64 v26, 0x2f800000, |v25|
	v_floor_f32_e32 v26, v26
	s_delay_alu instid0(VALU_DEP_1) | instskip(SKIP_2) | instid1(VALU_DEP_3)
	v_fma_f32 v27, 0xcf800000, v26, |v25|
	v_ashrrev_i32_e32 v25, 31, v25
	v_cvt_u32_f32_e32 v26, v26
	v_cvt_u32_f32_e32 v27, v27
	s_delay_alu instid0(VALU_DEP_2) | instskip(NEXT) | instid1(VALU_DEP_2)
	v_xor_b32_e32 v26, v26, v25
	v_xor_b32_e32 v27, v27, v25
	s_delay_alu instid0(VALU_DEP_1) | instskip(NEXT) | instid1(VALU_DEP_3)
	v_sub_co_u32 v27, vcc_lo, v27, v25
	v_sub_co_ci_u32_e32 v25, vcc_lo, v26, v25, vcc_lo
	v_cmp_class_f32_e64 vcc_lo, v20, 0x1f8
	v_mov_b32_e32 v20, 0
	s_delay_alu instid0(VALU_DEP_3) | instskip(NEXT) | instid1(VALU_DEP_1)
	v_dual_cndmask_b32 v26, -1, v25 :: v_dual_cndmask_b32 v25, -1, v27
	v_cmpx_lt_i64_e32 -1, v[25:26]
	s_cbranch_execz .LBB49_147
; %bb.136:
	v_mov_b32_e32 v20, 1.0
	s_mov_b32 s14, exec_lo
	v_cmpx_lt_i64_e32 0, v[25:26]
	s_cbranch_execz .LBB49_146
; %bb.137:
	s_mov_b32 s10, exec_lo
	v_cmpx_ne_u64_e32 1, v[25:26]
	s_xor_b32 s16, exec_lo, s10
	s_cbranch_execz .LBB49_143
; %bb.138:
	v_mov_b32_e32 v20, 0x7fc00000
	s_mov_b32 s17, exec_lo
	v_cmpx_gt_u64_e32 0x81, v[25:26]
	s_cbranch_execz .LBB49_142
; %bb.139:
	v_dual_add_f32 v27, v28, v28 :: v_dual_mov_b32 v28, 1.0
	v_lshlrev_b64 v[25:26], 1, v[25:26]
	s_mov_b64 s[10:11], 2
	s_mov_b32 s18, 0
	s_delay_alu instid0(VALU_DEP_2)
	v_mov_b32_e32 v20, v27
	.p2align	6
.LBB49_140:                             ; =>This Inner Loop Header: Depth=1
	s_clz_i32_u32 s19, s11
	s_delay_alu instid0(SALU_CYCLE_1) | instskip(NEXT) | instid1(SALU_CYCLE_1)
	s_min_u32 s19, s19, 32
	s_lshl_b64 s[20:21], s[10:11], s19
	s_sub_i32 s19, 32, s19
	s_min_u32 s20, s20, 1
	s_delay_alu instid0(SALU_CYCLE_1) | instskip(SKIP_3) | instid1(SALU_CYCLE_1)
	s_or_b32 s20, s21, s20
	s_add_u32 s10, s10, 2
	v_cvt_f32_u32_e32 v47, s20
	s_addc_u32 s11, s11, 0
	v_cmp_ge_u64_e32 vcc_lo, s[10:11], v[25:26]
	s_delay_alu instid0(VALU_DEP_2) | instskip(SKIP_1) | instid1(VALU_DEP_1)
	v_ldexp_f32 v47, v47, s19
	s_or_b32 s18, vcc_lo, s18
	v_mul_f32_e32 v47, v28, v47
	v_mov_b32_e32 v28, v20
	s_delay_alu instid0(VALU_DEP_2)
	v_fma_f32 v20, v27, v20, -v47
	s_and_not1_b32 exec_lo, exec_lo, s18
	s_cbranch_execnz .LBB49_140
; %bb.141:
	s_or_b32 exec_lo, exec_lo, s18
.LBB49_142:
	s_delay_alu instid0(SALU_CYCLE_1)
	s_or_b32 exec_lo, exec_lo, s17
                                        ; implicit-def: $vgpr25_vgpr26_vgpr27_vgpr28
.LBB49_143:
	s_and_not1_saveexec_b32 s10, s16
; %bb.144:
	v_add_f32_e32 v20, v28, v28
; %bb.145:
	s_or_b32 exec_lo, exec_lo, s10
.LBB49_146:
	s_delay_alu instid0(SALU_CYCLE_1)
	s_or_b32 exec_lo, exec_lo, s14
.LBB49_147:
	s_delay_alu instid0(SALU_CYCLE_1) | instskip(SKIP_3) | instid1(VALU_DEP_1)
	s_or_b32 exec_lo, exec_lo, s13
	s_waitcnt vmcnt(4)
	v_lshlrev_b32_e32 v25, 16, v45
	s_mov_b32 s13, exec_lo
	v_trunc_f32_e32 v26, v25
	s_delay_alu instid0(VALU_DEP_1) | instskip(NEXT) | instid1(VALU_DEP_1)
	v_mul_f32_e64 v27, 0x2f800000, |v26|
	v_floor_f32_e32 v27, v27
	s_delay_alu instid0(VALU_DEP_1) | instskip(SKIP_2) | instid1(VALU_DEP_3)
	v_fma_f32 v28, 0xcf800000, v27, |v26|
	v_ashrrev_i32_e32 v26, 31, v26
	v_cvt_u32_f32_e32 v27, v27
	v_cvt_u32_f32_e32 v28, v28
	s_delay_alu instid0(VALU_DEP_2) | instskip(NEXT) | instid1(VALU_DEP_2)
	v_xor_b32_e32 v27, v27, v26
	v_xor_b32_e32 v28, v28, v26
	s_delay_alu instid0(VALU_DEP_1) | instskip(NEXT) | instid1(VALU_DEP_3)
	v_sub_co_u32 v28, vcc_lo, v28, v26
	v_sub_co_ci_u32_e32 v26, vcc_lo, v27, v26, vcc_lo
	v_cmp_class_f32_e64 vcc_lo, v25, 0x1f8
	v_mov_b32_e32 v25, 0
	s_delay_alu instid0(VALU_DEP_3) | instskip(NEXT) | instid1(VALU_DEP_1)
	v_dual_cndmask_b32 v27, -1, v26 :: v_dual_cndmask_b32 v26, -1, v28
	v_cmpx_lt_i64_e32 -1, v[26:27]
	s_cbranch_execz .LBB49_159
; %bb.148:
	v_mov_b32_e32 v25, 1.0
	s_mov_b32 s14, exec_lo
	v_cmpx_lt_i64_e32 0, v[26:27]
	s_cbranch_execz .LBB49_158
; %bb.149:
                                        ; implicit-def: $vgpr25
	s_mov_b32 s10, exec_lo
	v_cmpx_ne_u64_e32 1, v[26:27]
	s_xor_b32 s16, exec_lo, s10
	s_cbranch_execz .LBB49_155
; %bb.150:
	v_mov_b32_e32 v25, 0x7fc00000
	s_mov_b32 s17, exec_lo
	v_cmpx_gt_u64_e32 0x81, v[26:27]
	s_cbranch_execz .LBB49_154
; %bb.151:
	v_dual_add_f32 v28, v33, v33 :: v_dual_mov_b32 v47, 1.0
	v_lshlrev_b64 v[26:27], 1, v[26:27]
	s_mov_b64 s[10:11], 2
	s_mov_b32 s18, 0
	s_delay_alu instid0(VALU_DEP_2)
	v_mov_b32_e32 v25, v28
	.p2align	6
.LBB49_152:                             ; =>This Inner Loop Header: Depth=1
	s_clz_i32_u32 s19, s11
	s_delay_alu instid0(SALU_CYCLE_1) | instskip(NEXT) | instid1(SALU_CYCLE_1)
	s_min_u32 s19, s19, 32
	s_lshl_b64 s[20:21], s[10:11], s19
	s_sub_i32 s19, 32, s19
	s_min_u32 s20, s20, 1
	s_delay_alu instid0(SALU_CYCLE_1) | instskip(SKIP_3) | instid1(SALU_CYCLE_1)
	s_or_b32 s20, s21, s20
	s_add_u32 s10, s10, 2
	v_cvt_f32_u32_e32 v48, s20
	s_addc_u32 s11, s11, 0
	v_cmp_ge_u64_e32 vcc_lo, s[10:11], v[26:27]
	s_delay_alu instid0(VALU_DEP_2) | instskip(SKIP_1) | instid1(VALU_DEP_1)
	v_ldexp_f32 v48, v48, s19
	s_or_b32 s18, vcc_lo, s18
	v_dual_mul_f32 v48, v47, v48 :: v_dual_mov_b32 v47, v25
	s_delay_alu instid0(VALU_DEP_1)
	v_fma_f32 v25, v28, v25, -v48
	s_and_not1_b32 exec_lo, exec_lo, s18
	s_cbranch_execnz .LBB49_152
; %bb.153:
	s_or_b32 exec_lo, exec_lo, s18
.LBB49_154:
	s_delay_alu instid0(SALU_CYCLE_1)
	s_or_b32 exec_lo, exec_lo, s17
.LBB49_155:
	s_and_not1_saveexec_b32 s10, s16
; %bb.156:
	v_add_f32_e32 v25, v33, v33
; %bb.157:
	s_or_b32 exec_lo, exec_lo, s10
.LBB49_158:
	s_delay_alu instid0(SALU_CYCLE_1)
	s_or_b32 exec_lo, exec_lo, s14
.LBB49_159:
	s_delay_alu instid0(SALU_CYCLE_1) | instskip(SKIP_2) | instid1(VALU_DEP_1)
	s_or_b32 exec_lo, exec_lo, s13
	v_and_b32_e32 v26, 0xffff0000, v45
	s_mov_b32 s13, exec_lo
	v_trunc_f32_e32 v27, v26
	s_delay_alu instid0(VALU_DEP_1) | instskip(NEXT) | instid1(VALU_DEP_1)
	v_mul_f32_e64 v28, 0x2f800000, |v27|
	v_floor_f32_e32 v28, v28
	s_delay_alu instid0(VALU_DEP_1) | instskip(SKIP_2) | instid1(VALU_DEP_3)
	v_fma_f32 v33, 0xcf800000, v28, |v27|
	v_ashrrev_i32_e32 v27, 31, v27
	v_cvt_u32_f32_e32 v28, v28
	v_cvt_u32_f32_e32 v33, v33
	s_delay_alu instid0(VALU_DEP_2) | instskip(NEXT) | instid1(VALU_DEP_2)
	v_xor_b32_e32 v28, v28, v27
	v_xor_b32_e32 v33, v33, v27
	s_delay_alu instid0(VALU_DEP_1) | instskip(NEXT) | instid1(VALU_DEP_3)
	v_sub_co_u32 v33, vcc_lo, v33, v27
	v_sub_co_ci_u32_e32 v27, vcc_lo, v28, v27, vcc_lo
	v_cmp_class_f32_e64 vcc_lo, v26, 0x1f8
	v_mov_b32_e32 v26, 0
	s_delay_alu instid0(VALU_DEP_3) | instskip(NEXT) | instid1(VALU_DEP_1)
	v_dual_cndmask_b32 v28, -1, v27 :: v_dual_cndmask_b32 v27, -1, v33
	v_cmpx_lt_i64_e32 -1, v[27:28]
	s_cbranch_execz .LBB49_171
; %bb.160:
	v_mov_b32_e32 v26, 1.0
	s_mov_b32 s14, exec_lo
	v_cmpx_lt_i64_e32 0, v[27:28]
	s_cbranch_execz .LBB49_170
; %bb.161:
	s_mov_b32 s10, exec_lo
	v_cmpx_ne_u64_e32 1, v[27:28]
	s_xor_b32 s16, exec_lo, s10
	s_cbranch_execz .LBB49_167
; %bb.162:
	v_mov_b32_e32 v26, 0x7fc00000
	s_mov_b32 s17, exec_lo
	v_cmpx_gt_u64_e32 0x81, v[27:28]
	s_cbranch_execz .LBB49_166
; %bb.163:
	v_add_f32_e32 v33, v34, v34
	v_lshlrev_b64 v[27:28], 1, v[27:28]
	v_mov_b32_e32 v45, 1.0
	s_mov_b64 s[10:11], 2
	s_mov_b32 s18, 0
	v_mov_b32_e32 v26, v33
	.p2align	6
.LBB49_164:                             ; =>This Inner Loop Header: Depth=1
	s_clz_i32_u32 s19, s11
	s_delay_alu instid0(SALU_CYCLE_1) | instskip(NEXT) | instid1(SALU_CYCLE_1)
	s_min_u32 s19, s19, 32
	s_lshl_b64 s[20:21], s[10:11], s19
	s_sub_i32 s19, 32, s19
	s_min_u32 s20, s20, 1
	s_delay_alu instid0(SALU_CYCLE_1) | instskip(SKIP_3) | instid1(SALU_CYCLE_1)
	s_or_b32 s20, s21, s20
	s_add_u32 s10, s10, 2
	v_cvt_f32_u32_e32 v47, s20
	s_addc_u32 s11, s11, 0
	v_cmp_ge_u64_e32 vcc_lo, s[10:11], v[27:28]
	s_delay_alu instid0(VALU_DEP_2) | instskip(SKIP_1) | instid1(VALU_DEP_1)
	v_ldexp_f32 v47, v47, s19
	s_or_b32 s18, vcc_lo, s18
	v_mul_f32_e32 v47, v45, v47
	v_mov_b32_e32 v45, v26
	s_delay_alu instid0(VALU_DEP_2)
	v_fma_f32 v26, v33, v26, -v47
	s_and_not1_b32 exec_lo, exec_lo, s18
	s_cbranch_execnz .LBB49_164
; %bb.165:
	s_or_b32 exec_lo, exec_lo, s18
.LBB49_166:
	s_delay_alu instid0(SALU_CYCLE_1)
	s_or_b32 exec_lo, exec_lo, s17
.LBB49_167:
	s_and_not1_saveexec_b32 s10, s16
; %bb.168:
	v_add_f32_e32 v26, v34, v34
; %bb.169:
	s_or_b32 exec_lo, exec_lo, s10
.LBB49_170:
	s_delay_alu instid0(SALU_CYCLE_1)
	s_or_b32 exec_lo, exec_lo, s14
.LBB49_171:
	s_delay_alu instid0(SALU_CYCLE_1) | instskip(SKIP_2) | instid1(VALU_DEP_1)
	s_or_b32 exec_lo, exec_lo, s13
	v_lshlrev_b32_e32 v27, 16, v46
	s_mov_b32 s13, exec_lo
	v_trunc_f32_e32 v28, v27
	s_delay_alu instid0(VALU_DEP_1) | instskip(NEXT) | instid1(VALU_DEP_1)
	v_mul_f32_e64 v33, 0x2f800000, |v28|
	v_floor_f32_e32 v33, v33
	s_delay_alu instid0(VALU_DEP_1) | instskip(SKIP_2) | instid1(VALU_DEP_3)
	v_fma_f32 v34, 0xcf800000, v33, |v28|
	v_ashrrev_i32_e32 v28, 31, v28
	v_cvt_u32_f32_e32 v33, v33
	v_cvt_u32_f32_e32 v34, v34
	s_delay_alu instid0(VALU_DEP_2) | instskip(NEXT) | instid1(VALU_DEP_2)
	v_xor_b32_e32 v33, v33, v28
	v_xor_b32_e32 v34, v34, v28
	s_delay_alu instid0(VALU_DEP_1) | instskip(NEXT) | instid1(VALU_DEP_3)
	v_sub_co_u32 v45, vcc_lo, v34, v28
	v_sub_co_ci_u32_e32 v28, vcc_lo, v33, v28, vcc_lo
	v_cmp_class_f32_e64 vcc_lo, v27, 0x1f8
	s_delay_alu instid0(VALU_DEP_2) | instskip(NEXT) | instid1(VALU_DEP_4)
	v_dual_mov_b32 v27, 0 :: v_dual_cndmask_b32 v34, -1, v28
	v_cndmask_b32_e32 v33, -1, v45, vcc_lo
	s_delay_alu instid0(VALU_DEP_1)
	v_cmpx_lt_i64_e32 -1, v[33:34]
	s_cbranch_execz .LBB49_183
; %bb.172:
	v_mov_b32_e32 v27, 1.0
	s_mov_b32 s14, exec_lo
	v_cmpx_lt_i64_e32 0, v[33:34]
	s_cbranch_execz .LBB49_182
; %bb.173:
	s_mov_b32 s10, exec_lo
	v_cmpx_ne_u64_e32 1, v[33:34]
	s_xor_b32 s16, exec_lo, s10
	s_cbranch_execz .LBB49_179
; %bb.174:
	v_mov_b32_e32 v27, 0x7fc00000
	s_mov_b32 s17, exec_lo
	v_cmpx_gt_u64_e32 0x81, v[33:34]
	s_cbranch_execz .LBB49_178
; %bb.175:
	v_dual_add_f32 v28, v35, v35 :: v_dual_mov_b32 v45, 1.0
	v_lshlrev_b64 v[33:34], 1, v[33:34]
	s_mov_b64 s[10:11], 2
	s_mov_b32 s18, 0
	s_delay_alu instid0(VALU_DEP_2)
	v_mov_b32_e32 v27, v28
	.p2align	6
.LBB49_176:                             ; =>This Inner Loop Header: Depth=1
	s_clz_i32_u32 s19, s11
	s_delay_alu instid0(SALU_CYCLE_1) | instskip(NEXT) | instid1(SALU_CYCLE_1)
	s_min_u32 s19, s19, 32
	s_lshl_b64 s[20:21], s[10:11], s19
	s_sub_i32 s19, 32, s19
	s_min_u32 s20, s20, 1
	s_delay_alu instid0(SALU_CYCLE_1) | instskip(SKIP_3) | instid1(SALU_CYCLE_1)
	s_or_b32 s20, s21, s20
	s_add_u32 s10, s10, 2
	v_cvt_f32_u32_e32 v47, s20
	s_addc_u32 s11, s11, 0
	v_cmp_ge_u64_e32 vcc_lo, s[10:11], v[33:34]
	s_delay_alu instid0(VALU_DEP_2) | instskip(SKIP_1) | instid1(VALU_DEP_1)
	v_ldexp_f32 v47, v47, s19
	s_or_b32 s18, vcc_lo, s18
	v_mul_f32_e32 v47, v45, v47
	v_mov_b32_e32 v45, v27
	s_delay_alu instid0(VALU_DEP_2)
	v_fma_f32 v27, v28, v27, -v47
	s_and_not1_b32 exec_lo, exec_lo, s18
	s_cbranch_execnz .LBB49_176
; %bb.177:
	s_or_b32 exec_lo, exec_lo, s18
.LBB49_178:
	s_delay_alu instid0(SALU_CYCLE_1)
	s_or_b32 exec_lo, exec_lo, s17
.LBB49_179:
	s_and_not1_saveexec_b32 s10, s16
; %bb.180:
	v_add_f32_e32 v27, v35, v35
; %bb.181:
	s_or_b32 exec_lo, exec_lo, s10
.LBB49_182:
	s_delay_alu instid0(SALU_CYCLE_1)
	s_or_b32 exec_lo, exec_lo, s14
.LBB49_183:
	s_delay_alu instid0(SALU_CYCLE_1) | instskip(SKIP_2) | instid1(VALU_DEP_1)
	s_or_b32 exec_lo, exec_lo, s13
	v_and_b32_e32 v28, 0xffff0000, v46
	s_mov_b32 s13, exec_lo
	v_trunc_f32_e32 v33, v28
	s_delay_alu instid0(VALU_DEP_1) | instskip(NEXT) | instid1(VALU_DEP_1)
	v_mul_f32_e64 v34, 0x2f800000, |v33|
	v_floor_f32_e32 v34, v34
	s_delay_alu instid0(VALU_DEP_1) | instskip(SKIP_2) | instid1(VALU_DEP_3)
	v_fma_f32 v35, 0xcf800000, v34, |v33|
	v_ashrrev_i32_e32 v33, 31, v33
	v_cvt_u32_f32_e32 v34, v34
	v_cvt_u32_f32_e32 v35, v35
	s_delay_alu instid0(VALU_DEP_2) | instskip(NEXT) | instid1(VALU_DEP_2)
	v_xor_b32_e32 v34, v34, v33
	v_xor_b32_e32 v35, v35, v33
	s_delay_alu instid0(VALU_DEP_1) | instskip(NEXT) | instid1(VALU_DEP_3)
	v_sub_co_u32 v35, vcc_lo, v35, v33
	v_sub_co_ci_u32_e32 v33, vcc_lo, v34, v33, vcc_lo
	v_cmp_class_f32_e64 vcc_lo, v28, 0x1f8
	v_mov_b32_e32 v28, 0
	s_delay_alu instid0(VALU_DEP_3) | instskip(NEXT) | instid1(VALU_DEP_1)
	v_dual_cndmask_b32 v34, -1, v33 :: v_dual_cndmask_b32 v33, -1, v35
	v_cmpx_lt_i64_e32 -1, v[33:34]
	s_cbranch_execz .LBB49_195
; %bb.184:
	v_mov_b32_e32 v28, 1.0
	s_mov_b32 s14, exec_lo
	v_cmpx_lt_i64_e32 0, v[33:34]
	s_cbranch_execz .LBB49_194
; %bb.185:
	s_mov_b32 s10, exec_lo
	v_cmpx_ne_u64_e32 1, v[33:34]
	s_xor_b32 s16, exec_lo, s10
	s_cbranch_execz .LBB49_191
; %bb.186:
	v_mov_b32_e32 v28, 0x7fc00000
	s_mov_b32 s17, exec_lo
	v_cmpx_gt_u64_e32 0x81, v[33:34]
	s_cbranch_execz .LBB49_190
; %bb.187:
	v_dual_add_f32 v35, v36, v36 :: v_dual_mov_b32 v36, 1.0
	v_lshlrev_b64 v[33:34], 1, v[33:34]
	s_mov_b64 s[10:11], 2
	s_mov_b32 s18, 0
	s_delay_alu instid0(VALU_DEP_2)
	v_mov_b32_e32 v28, v35
	.p2align	6
.LBB49_188:                             ; =>This Inner Loop Header: Depth=1
	s_clz_i32_u32 s19, s11
	s_delay_alu instid0(SALU_CYCLE_1) | instskip(NEXT) | instid1(SALU_CYCLE_1)
	s_min_u32 s19, s19, 32
	s_lshl_b64 s[20:21], s[10:11], s19
	s_sub_i32 s19, 32, s19
	s_min_u32 s20, s20, 1
	s_delay_alu instid0(SALU_CYCLE_1) | instskip(SKIP_3) | instid1(SALU_CYCLE_1)
	s_or_b32 s20, s21, s20
	s_add_u32 s10, s10, 2
	v_cvt_f32_u32_e32 v45, s20
	s_addc_u32 s11, s11, 0
	v_cmp_ge_u64_e32 vcc_lo, s[10:11], v[33:34]
	s_delay_alu instid0(VALU_DEP_2) | instskip(SKIP_1) | instid1(VALU_DEP_1)
	v_ldexp_f32 v45, v45, s19
	s_or_b32 s18, vcc_lo, s18
	v_mul_f32_e32 v45, v36, v45
	v_mov_b32_e32 v36, v28
	s_delay_alu instid0(VALU_DEP_2)
	v_fma_f32 v28, v35, v28, -v45
	s_and_not1_b32 exec_lo, exec_lo, s18
	s_cbranch_execnz .LBB49_188
; %bb.189:
	s_or_b32 exec_lo, exec_lo, s18
.LBB49_190:
	s_delay_alu instid0(SALU_CYCLE_1)
	s_or_b32 exec_lo, exec_lo, s17
                                        ; implicit-def: $vgpr33_vgpr34_vgpr35_vgpr36
.LBB49_191:
	s_and_not1_saveexec_b32 s10, s16
; %bb.192:
	v_add_f32_e32 v28, v36, v36
; %bb.193:
	s_or_b32 exec_lo, exec_lo, s10
.LBB49_194:
	s_delay_alu instid0(SALU_CYCLE_1)
	s_or_b32 exec_lo, exec_lo, s14
.LBB49_195:
	s_delay_alu instid0(SALU_CYCLE_1) | instskip(SKIP_3) | instid1(VALU_DEP_1)
	s_or_b32 exec_lo, exec_lo, s13
	s_waitcnt vmcnt(3)
	v_lshlrev_b32_e32 v33, 16, v43
	s_mov_b32 s13, exec_lo
	v_trunc_f32_e32 v34, v33
	s_delay_alu instid0(VALU_DEP_1) | instskip(NEXT) | instid1(VALU_DEP_1)
	v_mul_f32_e64 v35, 0x2f800000, |v34|
	v_floor_f32_e32 v35, v35
	s_delay_alu instid0(VALU_DEP_1) | instskip(SKIP_2) | instid1(VALU_DEP_3)
	v_fma_f32 v36, 0xcf800000, v35, |v34|
	v_ashrrev_i32_e32 v34, 31, v34
	v_cvt_u32_f32_e32 v35, v35
	v_cvt_u32_f32_e32 v36, v36
	s_delay_alu instid0(VALU_DEP_2) | instskip(NEXT) | instid1(VALU_DEP_2)
	v_xor_b32_e32 v35, v35, v34
	v_xor_b32_e32 v36, v36, v34
	s_delay_alu instid0(VALU_DEP_1) | instskip(NEXT) | instid1(VALU_DEP_3)
	v_sub_co_u32 v36, vcc_lo, v36, v34
	v_sub_co_ci_u32_e32 v34, vcc_lo, v35, v34, vcc_lo
	v_cmp_class_f32_e64 vcc_lo, v33, 0x1f8
	v_mov_b32_e32 v33, 0
	s_delay_alu instid0(VALU_DEP_3) | instskip(NEXT) | instid1(VALU_DEP_1)
	v_dual_cndmask_b32 v35, -1, v34 :: v_dual_cndmask_b32 v34, -1, v36
	v_cmpx_lt_i64_e32 -1, v[34:35]
	s_cbranch_execz .LBB49_207
; %bb.196:
	v_mov_b32_e32 v33, 1.0
	s_mov_b32 s14, exec_lo
	v_cmpx_lt_i64_e32 0, v[34:35]
	s_cbranch_execz .LBB49_206
; %bb.197:
                                        ; implicit-def: $vgpr33
	s_mov_b32 s10, exec_lo
	v_cmpx_ne_u64_e32 1, v[34:35]
	s_xor_b32 s16, exec_lo, s10
	s_cbranch_execz .LBB49_203
; %bb.198:
	v_mov_b32_e32 v33, 0x7fc00000
	s_mov_b32 s17, exec_lo
	v_cmpx_gt_u64_e32 0x81, v[34:35]
	s_cbranch_execz .LBB49_202
; %bb.199:
	v_dual_add_f32 v36, v29, v29 :: v_dual_mov_b32 v45, 1.0
	v_lshlrev_b64 v[34:35], 1, v[34:35]
	s_mov_b64 s[10:11], 2
	s_mov_b32 s18, 0
	s_delay_alu instid0(VALU_DEP_2)
	v_mov_b32_e32 v33, v36
	.p2align	6
.LBB49_200:                             ; =>This Inner Loop Header: Depth=1
	s_clz_i32_u32 s19, s11
	s_delay_alu instid0(SALU_CYCLE_1) | instskip(NEXT) | instid1(SALU_CYCLE_1)
	s_min_u32 s19, s19, 32
	s_lshl_b64 s[20:21], s[10:11], s19
	s_sub_i32 s19, 32, s19
	s_min_u32 s20, s20, 1
	s_delay_alu instid0(SALU_CYCLE_1) | instskip(SKIP_3) | instid1(SALU_CYCLE_1)
	s_or_b32 s20, s21, s20
	s_add_u32 s10, s10, 2
	v_cvt_f32_u32_e32 v46, s20
	s_addc_u32 s11, s11, 0
	v_cmp_ge_u64_e32 vcc_lo, s[10:11], v[34:35]
	s_delay_alu instid0(VALU_DEP_2) | instskip(SKIP_1) | instid1(VALU_DEP_1)
	v_ldexp_f32 v46, v46, s19
	s_or_b32 s18, vcc_lo, s18
	v_mul_f32_e32 v46, v45, v46
	v_mov_b32_e32 v45, v33
	s_delay_alu instid0(VALU_DEP_2)
	v_fma_f32 v33, v36, v33, -v46
	s_and_not1_b32 exec_lo, exec_lo, s18
	s_cbranch_execnz .LBB49_200
; %bb.201:
	s_or_b32 exec_lo, exec_lo, s18
.LBB49_202:
	s_delay_alu instid0(SALU_CYCLE_1)
	s_or_b32 exec_lo, exec_lo, s17
.LBB49_203:
	s_and_not1_saveexec_b32 s10, s16
; %bb.204:
	v_add_f32_e32 v33, v29, v29
; %bb.205:
	s_or_b32 exec_lo, exec_lo, s10
.LBB49_206:
	s_delay_alu instid0(SALU_CYCLE_1)
	s_or_b32 exec_lo, exec_lo, s14
.LBB49_207:
	s_delay_alu instid0(SALU_CYCLE_1) | instskip(SKIP_2) | instid1(VALU_DEP_1)
	s_or_b32 exec_lo, exec_lo, s13
	v_and_b32_e32 v29, 0xffff0000, v43
	s_mov_b32 s13, exec_lo
	v_trunc_f32_e32 v34, v29
	s_delay_alu instid0(VALU_DEP_1) | instskip(NEXT) | instid1(VALU_DEP_1)
	v_mul_f32_e64 v35, 0x2f800000, |v34|
	v_floor_f32_e32 v35, v35
	s_delay_alu instid0(VALU_DEP_1) | instskip(SKIP_2) | instid1(VALU_DEP_3)
	v_fma_f32 v36, 0xcf800000, v35, |v34|
	v_ashrrev_i32_e32 v34, 31, v34
	v_cvt_u32_f32_e32 v35, v35
	v_cvt_u32_f32_e32 v36, v36
	s_delay_alu instid0(VALU_DEP_2) | instskip(NEXT) | instid1(VALU_DEP_2)
	v_xor_b32_e32 v35, v35, v34
	v_xor_b32_e32 v36, v36, v34
	s_delay_alu instid0(VALU_DEP_1) | instskip(NEXT) | instid1(VALU_DEP_3)
	v_sub_co_u32 v43, vcc_lo, v36, v34
	v_sub_co_ci_u32_e32 v34, vcc_lo, v35, v34, vcc_lo
	v_cmp_class_f32_e64 vcc_lo, v29, 0x1f8
	s_delay_alu instid0(VALU_DEP_2) | instskip(SKIP_1) | instid1(VALU_DEP_2)
	v_dual_cndmask_b32 v36, -1, v34 :: v_dual_cndmask_b32 v35, -1, v43
	v_mov_b32_e32 v34, 0
	v_cmpx_lt_i64_e32 -1, v[35:36]
	s_cbranch_execz .LBB49_219
; %bb.208:
	v_mov_b32_e32 v34, 1.0
	s_mov_b32 s14, exec_lo
	v_cmpx_lt_i64_e32 0, v[35:36]
	s_cbranch_execz .LBB49_218
; %bb.209:
	s_mov_b32 s10, exec_lo
	v_cmpx_ne_u64_e32 1, v[35:36]
	s_xor_b32 s16, exec_lo, s10
	s_cbranch_execz .LBB49_215
; %bb.210:
	v_mov_b32_e32 v34, 0x7fc00000
	s_mov_b32 s17, exec_lo
	v_cmpx_gt_u64_e32 0x81, v[35:36]
	s_cbranch_execz .LBB49_214
; %bb.211:
	v_add_f32_e32 v29, v30, v30
	v_lshlrev_b64 v[35:36], 1, v[35:36]
	v_mov_b32_e32 v43, 1.0
	s_mov_b64 s[10:11], 2
	s_mov_b32 s18, 0
	v_mov_b32_e32 v34, v29
	.p2align	6
.LBB49_212:                             ; =>This Inner Loop Header: Depth=1
	s_clz_i32_u32 s19, s11
	s_delay_alu instid0(SALU_CYCLE_1) | instskip(NEXT) | instid1(SALU_CYCLE_1)
	s_min_u32 s19, s19, 32
	s_lshl_b64 s[20:21], s[10:11], s19
	s_sub_i32 s19, 32, s19
	s_min_u32 s20, s20, 1
	s_delay_alu instid0(SALU_CYCLE_1) | instskip(SKIP_3) | instid1(SALU_CYCLE_1)
	s_or_b32 s20, s21, s20
	s_add_u32 s10, s10, 2
	v_cvt_f32_u32_e32 v45, s20
	s_addc_u32 s11, s11, 0
	v_cmp_ge_u64_e32 vcc_lo, s[10:11], v[35:36]
	s_delay_alu instid0(VALU_DEP_2) | instskip(SKIP_1) | instid1(VALU_DEP_1)
	v_ldexp_f32 v45, v45, s19
	s_or_b32 s18, vcc_lo, s18
	v_mul_f32_e32 v45, v43, v45
	v_mov_b32_e32 v43, v34
	s_delay_alu instid0(VALU_DEP_2)
	v_fma_f32 v34, v29, v34, -v45
	s_and_not1_b32 exec_lo, exec_lo, s18
	s_cbranch_execnz .LBB49_212
; %bb.213:
	s_or_b32 exec_lo, exec_lo, s18
.LBB49_214:
	s_delay_alu instid0(SALU_CYCLE_1)
	s_or_b32 exec_lo, exec_lo, s17
.LBB49_215:
	s_and_not1_saveexec_b32 s10, s16
; %bb.216:
	v_add_f32_e32 v34, v30, v30
; %bb.217:
	s_or_b32 exec_lo, exec_lo, s10
.LBB49_218:
	s_delay_alu instid0(SALU_CYCLE_1)
	s_or_b32 exec_lo, exec_lo, s14
.LBB49_219:
	s_delay_alu instid0(SALU_CYCLE_1) | instskip(SKIP_2) | instid1(VALU_DEP_1)
	s_or_b32 exec_lo, exec_lo, s13
	v_lshlrev_b32_e32 v29, 16, v44
	s_mov_b32 s13, exec_lo
	v_trunc_f32_e32 v30, v29
	s_delay_alu instid0(VALU_DEP_1) | instskip(NEXT) | instid1(VALU_DEP_1)
	v_mul_f32_e64 v35, 0x2f800000, |v30|
	v_floor_f32_e32 v35, v35
	s_delay_alu instid0(VALU_DEP_1) | instskip(SKIP_2) | instid1(VALU_DEP_3)
	v_fma_f32 v36, 0xcf800000, v35, |v30|
	v_ashrrev_i32_e32 v30, 31, v30
	v_cvt_u32_f32_e32 v35, v35
	v_cvt_u32_f32_e32 v36, v36
	s_delay_alu instid0(VALU_DEP_2) | instskip(NEXT) | instid1(VALU_DEP_2)
	v_xor_b32_e32 v35, v35, v30
	v_xor_b32_e32 v36, v36, v30
	s_delay_alu instid0(VALU_DEP_1) | instskip(NEXT) | instid1(VALU_DEP_3)
	v_sub_co_u32 v36, vcc_lo, v36, v30
	v_sub_co_ci_u32_e32 v30, vcc_lo, v35, v30, vcc_lo
	v_cmp_class_f32_e64 vcc_lo, v29, 0x1f8
	s_delay_alu instid0(VALU_DEP_2) | instskip(NEXT) | instid1(VALU_DEP_4)
	v_dual_mov_b32 v35, 0 :: v_dual_cndmask_b32 v30, -1, v30
	v_cndmask_b32_e32 v29, -1, v36, vcc_lo
	s_delay_alu instid0(VALU_DEP_1)
	v_cmpx_lt_i64_e32 -1, v[29:30]
	s_cbranch_execz .LBB49_231
; %bb.220:
	v_mov_b32_e32 v35, 1.0
	s_mov_b32 s14, exec_lo
	v_cmpx_lt_i64_e32 0, v[29:30]
	s_cbranch_execz .LBB49_230
; %bb.221:
	s_mov_b32 s10, exec_lo
	v_cmpx_ne_u64_e32 1, v[29:30]
	s_xor_b32 s16, exec_lo, s10
	s_cbranch_execz .LBB49_227
; %bb.222:
	v_mov_b32_e32 v35, 0x7fc00000
	s_mov_b32 s17, exec_lo
	v_cmpx_gt_u64_e32 0x81, v[29:30]
	s_cbranch_execz .LBB49_226
; %bb.223:
	v_dual_add_f32 v36, v31, v31 :: v_dual_mov_b32 v43, 1.0
	v_lshlrev_b64 v[29:30], 1, v[29:30]
	s_mov_b64 s[10:11], 2
	s_mov_b32 s18, 0
	s_delay_alu instid0(VALU_DEP_2)
	v_mov_b32_e32 v35, v36
	.p2align	6
.LBB49_224:                             ; =>This Inner Loop Header: Depth=1
	s_clz_i32_u32 s19, s11
	s_delay_alu instid0(SALU_CYCLE_1) | instskip(NEXT) | instid1(SALU_CYCLE_1)
	s_min_u32 s19, s19, 32
	s_lshl_b64 s[20:21], s[10:11], s19
	s_sub_i32 s19, 32, s19
	s_min_u32 s20, s20, 1
	s_delay_alu instid0(SALU_CYCLE_1) | instskip(SKIP_3) | instid1(SALU_CYCLE_1)
	s_or_b32 s20, s21, s20
	s_add_u32 s10, s10, 2
	v_cvt_f32_u32_e32 v45, s20
	s_addc_u32 s11, s11, 0
	v_cmp_ge_u64_e32 vcc_lo, s[10:11], v[29:30]
	s_delay_alu instid0(VALU_DEP_2) | instskip(SKIP_1) | instid1(VALU_DEP_1)
	v_ldexp_f32 v45, v45, s19
	s_or_b32 s18, vcc_lo, s18
	v_mul_f32_e32 v45, v43, v45
	v_mov_b32_e32 v43, v35
	s_delay_alu instid0(VALU_DEP_2)
	v_fma_f32 v35, v36, v35, -v45
	s_and_not1_b32 exec_lo, exec_lo, s18
	s_cbranch_execnz .LBB49_224
; %bb.225:
	s_or_b32 exec_lo, exec_lo, s18
.LBB49_226:
	s_delay_alu instid0(SALU_CYCLE_1)
	s_or_b32 exec_lo, exec_lo, s17
.LBB49_227:
	s_and_not1_saveexec_b32 s10, s16
; %bb.228:
	v_add_f32_e32 v35, v31, v31
; %bb.229:
	s_or_b32 exec_lo, exec_lo, s10
.LBB49_230:
	s_delay_alu instid0(SALU_CYCLE_1)
	s_or_b32 exec_lo, exec_lo, s14
.LBB49_231:
	s_delay_alu instid0(SALU_CYCLE_1) | instskip(SKIP_2) | instid1(VALU_DEP_1)
	s_or_b32 exec_lo, exec_lo, s13
	v_and_b32_e32 v29, 0xffff0000, v44
	s_mov_b32 s13, exec_lo
	v_trunc_f32_e32 v30, v29
	s_delay_alu instid0(VALU_DEP_1) | instskip(NEXT) | instid1(VALU_DEP_1)
	v_mul_f32_e64 v31, 0x2f800000, |v30|
	v_floor_f32_e32 v31, v31
	s_delay_alu instid0(VALU_DEP_1) | instskip(SKIP_2) | instid1(VALU_DEP_3)
	v_fma_f32 v36, 0xcf800000, v31, |v30|
	v_ashrrev_i32_e32 v30, 31, v30
	v_cvt_u32_f32_e32 v31, v31
	v_cvt_u32_f32_e32 v36, v36
	s_delay_alu instid0(VALU_DEP_2) | instskip(NEXT) | instid1(VALU_DEP_2)
	v_xor_b32_e32 v31, v31, v30
	v_xor_b32_e32 v36, v36, v30
	s_delay_alu instid0(VALU_DEP_1) | instskip(NEXT) | instid1(VALU_DEP_3)
	v_sub_co_u32 v36, vcc_lo, v36, v30
	v_sub_co_ci_u32_e32 v30, vcc_lo, v31, v30, vcc_lo
	v_cmp_class_f32_e64 vcc_lo, v29, 0x1f8
	s_delay_alu instid0(VALU_DEP_2) | instskip(SKIP_1) | instid1(VALU_DEP_2)
	v_dual_cndmask_b32 v30, -1, v30 :: v_dual_cndmask_b32 v29, -1, v36
	v_mov_b32_e32 v36, 0
	v_cmpx_lt_i64_e32 -1, v[29:30]
	s_cbranch_execz .LBB49_243
; %bb.232:
	v_mov_b32_e32 v36, 1.0
	s_mov_b32 s14, exec_lo
	v_cmpx_lt_i64_e32 0, v[29:30]
	s_cbranch_execz .LBB49_242
; %bb.233:
	s_mov_b32 s10, exec_lo
	v_cmpx_ne_u64_e32 1, v[29:30]
	s_xor_b32 s16, exec_lo, s10
	s_cbranch_execz .LBB49_239
; %bb.234:
	v_mov_b32_e32 v36, 0x7fc00000
	s_mov_b32 s17, exec_lo
	v_cmpx_gt_u64_e32 0x81, v[29:30]
	s_cbranch_execz .LBB49_238
; %bb.235:
	v_dual_add_f32 v31, v32, v32 :: v_dual_mov_b32 v32, 1.0
	v_lshlrev_b64 v[29:30], 1, v[29:30]
	s_mov_b64 s[10:11], 2
	s_mov_b32 s18, 0
	s_delay_alu instid0(VALU_DEP_2)
	v_mov_b32_e32 v36, v31
	.p2align	6
.LBB49_236:                             ; =>This Inner Loop Header: Depth=1
	s_clz_i32_u32 s19, s11
	s_delay_alu instid0(SALU_CYCLE_1) | instskip(NEXT) | instid1(SALU_CYCLE_1)
	s_min_u32 s19, s19, 32
	s_lshl_b64 s[20:21], s[10:11], s19
	s_sub_i32 s19, 32, s19
	s_min_u32 s20, s20, 1
	s_delay_alu instid0(SALU_CYCLE_1) | instskip(SKIP_3) | instid1(SALU_CYCLE_1)
	s_or_b32 s20, s21, s20
	s_add_u32 s10, s10, 2
	v_cvt_f32_u32_e32 v43, s20
	s_addc_u32 s11, s11, 0
	v_cmp_ge_u64_e32 vcc_lo, s[10:11], v[29:30]
	s_delay_alu instid0(VALU_DEP_2) | instskip(SKIP_1) | instid1(VALU_DEP_1)
	v_ldexp_f32 v43, v43, s19
	s_or_b32 s18, vcc_lo, s18
	v_mul_f32_e32 v43, v32, v43
	v_mov_b32_e32 v32, v36
	s_delay_alu instid0(VALU_DEP_2)
	v_fma_f32 v36, v31, v36, -v43
	s_and_not1_b32 exec_lo, exec_lo, s18
	s_cbranch_execnz .LBB49_236
; %bb.237:
	s_or_b32 exec_lo, exec_lo, s18
.LBB49_238:
	s_delay_alu instid0(SALU_CYCLE_1)
	s_or_b32 exec_lo, exec_lo, s17
                                        ; implicit-def: $vgpr29_vgpr30_vgpr31_vgpr32
.LBB49_239:
	s_and_not1_saveexec_b32 s10, s16
; %bb.240:
	v_add_f32_e32 v36, v32, v32
; %bb.241:
	s_or_b32 exec_lo, exec_lo, s10
.LBB49_242:
	s_delay_alu instid0(SALU_CYCLE_1)
	s_or_b32 exec_lo, exec_lo, s14
.LBB49_243:
	s_delay_alu instid0(SALU_CYCLE_1) | instskip(SKIP_3) | instid1(VALU_DEP_1)
	s_or_b32 exec_lo, exec_lo, s13
	s_waitcnt vmcnt(2)
	v_lshlrev_b32_e32 v29, 16, v41
	s_mov_b32 s13, exec_lo
	v_trunc_f32_e32 v30, v29
	s_delay_alu instid0(VALU_DEP_1) | instskip(NEXT) | instid1(VALU_DEP_1)
	v_mul_f32_e64 v31, 0x2f800000, |v30|
	v_floor_f32_e32 v31, v31
	s_delay_alu instid0(VALU_DEP_1) | instskip(SKIP_2) | instid1(VALU_DEP_3)
	v_fma_f32 v32, 0xcf800000, v31, |v30|
	v_ashrrev_i32_e32 v30, 31, v30
	v_cvt_u32_f32_e32 v31, v31
	v_cvt_u32_f32_e32 v32, v32
	s_delay_alu instid0(VALU_DEP_2) | instskip(NEXT) | instid1(VALU_DEP_2)
	v_xor_b32_e32 v31, v31, v30
	v_xor_b32_e32 v32, v32, v30
	s_delay_alu instid0(VALU_DEP_1) | instskip(NEXT) | instid1(VALU_DEP_3)
	v_sub_co_u32 v32, vcc_lo, v32, v30
	v_sub_co_ci_u32_e32 v30, vcc_lo, v31, v30, vcc_lo
	v_cmp_class_f32_e64 vcc_lo, v29, 0x1f8
	v_mov_b32_e32 v29, 0
	s_delay_alu instid0(VALU_DEP_3) | instskip(NEXT) | instid1(VALU_DEP_1)
	v_dual_cndmask_b32 v31, -1, v30 :: v_dual_cndmask_b32 v30, -1, v32
	v_cmpx_lt_i64_e32 -1, v[30:31]
	s_cbranch_execz .LBB49_255
; %bb.244:
	v_mov_b32_e32 v29, 1.0
	s_mov_b32 s14, exec_lo
	v_cmpx_lt_i64_e32 0, v[30:31]
	s_cbranch_execz .LBB49_254
; %bb.245:
                                        ; implicit-def: $vgpr29
	s_mov_b32 s10, exec_lo
	v_cmpx_ne_u64_e32 1, v[30:31]
	s_xor_b32 s16, exec_lo, s10
	s_cbranch_execz .LBB49_251
; %bb.246:
	v_mov_b32_e32 v29, 0x7fc00000
	s_mov_b32 s17, exec_lo
	v_cmpx_gt_u64_e32 0x81, v[30:31]
	s_cbranch_execz .LBB49_250
; %bb.247:
	v_dual_add_f32 v32, v21, v21 :: v_dual_mov_b32 v43, 1.0
	v_lshlrev_b64 v[30:31], 1, v[30:31]
	s_mov_b64 s[10:11], 2
	s_mov_b32 s18, 0
	s_delay_alu instid0(VALU_DEP_2)
	v_mov_b32_e32 v29, v32
	.p2align	6
.LBB49_248:                             ; =>This Inner Loop Header: Depth=1
	s_clz_i32_u32 s19, s11
	s_delay_alu instid0(SALU_CYCLE_1) | instskip(NEXT) | instid1(SALU_CYCLE_1)
	s_min_u32 s19, s19, 32
	s_lshl_b64 s[20:21], s[10:11], s19
	s_sub_i32 s19, 32, s19
	s_min_u32 s20, s20, 1
	s_delay_alu instid0(SALU_CYCLE_1) | instskip(SKIP_3) | instid1(SALU_CYCLE_1)
	s_or_b32 s20, s21, s20
	s_add_u32 s10, s10, 2
	v_cvt_f32_u32_e32 v44, s20
	s_addc_u32 s11, s11, 0
	v_cmp_ge_u64_e32 vcc_lo, s[10:11], v[30:31]
	s_delay_alu instid0(VALU_DEP_2) | instskip(SKIP_1) | instid1(VALU_DEP_1)
	v_ldexp_f32 v44, v44, s19
	s_or_b32 s18, vcc_lo, s18
	v_dual_mul_f32 v44, v43, v44 :: v_dual_mov_b32 v43, v29
	s_delay_alu instid0(VALU_DEP_1)
	v_fma_f32 v29, v32, v29, -v44
	s_and_not1_b32 exec_lo, exec_lo, s18
	s_cbranch_execnz .LBB49_248
; %bb.249:
	s_or_b32 exec_lo, exec_lo, s18
.LBB49_250:
	s_delay_alu instid0(SALU_CYCLE_1)
	s_or_b32 exec_lo, exec_lo, s17
.LBB49_251:
	s_and_not1_saveexec_b32 s10, s16
; %bb.252:
	v_add_f32_e32 v29, v21, v21
; %bb.253:
	s_or_b32 exec_lo, exec_lo, s10
.LBB49_254:
	s_delay_alu instid0(SALU_CYCLE_1)
	s_or_b32 exec_lo, exec_lo, s14
.LBB49_255:
	s_delay_alu instid0(SALU_CYCLE_1) | instskip(SKIP_2) | instid1(VALU_DEP_1)
	s_or_b32 exec_lo, exec_lo, s13
	v_and_b32_e32 v21, 0xffff0000, v41
	s_mov_b32 s13, exec_lo
	v_trunc_f32_e32 v30, v21
	s_delay_alu instid0(VALU_DEP_1) | instskip(NEXT) | instid1(VALU_DEP_1)
	v_mul_f32_e64 v31, 0x2f800000, |v30|
	v_floor_f32_e32 v31, v31
	s_delay_alu instid0(VALU_DEP_1) | instskip(SKIP_2) | instid1(VALU_DEP_3)
	v_fma_f32 v32, 0xcf800000, v31, |v30|
	v_ashrrev_i32_e32 v30, 31, v30
	v_cvt_u32_f32_e32 v31, v31
	v_cvt_u32_f32_e32 v32, v32
	s_delay_alu instid0(VALU_DEP_2) | instskip(NEXT) | instid1(VALU_DEP_2)
	v_xor_b32_e32 v31, v31, v30
	v_xor_b32_e32 v32, v32, v30
	s_delay_alu instid0(VALU_DEP_1) | instskip(NEXT) | instid1(VALU_DEP_3)
	v_sub_co_u32 v41, vcc_lo, v32, v30
	v_sub_co_ci_u32_e32 v30, vcc_lo, v31, v30, vcc_lo
	v_cmp_class_f32_e64 vcc_lo, v21, 0x1f8
	s_delay_alu instid0(VALU_DEP_2) | instskip(SKIP_1) | instid1(VALU_DEP_2)
	v_dual_cndmask_b32 v32, -1, v30 :: v_dual_cndmask_b32 v31, -1, v41
	v_mov_b32_e32 v30, 0
	v_cmpx_lt_i64_e32 -1, v[31:32]
	s_cbranch_execz .LBB49_267
; %bb.256:
	v_mov_b32_e32 v30, 1.0
	s_mov_b32 s14, exec_lo
	v_cmpx_lt_i64_e32 0, v[31:32]
	s_cbranch_execz .LBB49_266
; %bb.257:
	s_mov_b32 s10, exec_lo
	v_cmpx_ne_u64_e32 1, v[31:32]
	s_xor_b32 s16, exec_lo, s10
	s_cbranch_execz .LBB49_263
; %bb.258:
	v_mov_b32_e32 v30, 0x7fc00000
	s_mov_b32 s17, exec_lo
	v_cmpx_gt_u64_e32 0x81, v[31:32]
	s_cbranch_execz .LBB49_262
; %bb.259:
	v_add_f32_e32 v21, v22, v22
	v_lshlrev_b64 v[31:32], 1, v[31:32]
	v_mov_b32_e32 v41, 1.0
	s_mov_b64 s[10:11], 2
	s_mov_b32 s18, 0
	v_mov_b32_e32 v30, v21
	.p2align	6
.LBB49_260:                             ; =>This Inner Loop Header: Depth=1
	s_clz_i32_u32 s19, s11
	s_delay_alu instid0(SALU_CYCLE_1) | instskip(NEXT) | instid1(SALU_CYCLE_1)
	s_min_u32 s19, s19, 32
	s_lshl_b64 s[20:21], s[10:11], s19
	s_sub_i32 s19, 32, s19
	s_min_u32 s20, s20, 1
	s_delay_alu instid0(SALU_CYCLE_1) | instskip(SKIP_3) | instid1(SALU_CYCLE_1)
	s_or_b32 s20, s21, s20
	s_add_u32 s10, s10, 2
	v_cvt_f32_u32_e32 v43, s20
	s_addc_u32 s11, s11, 0
	v_cmp_ge_u64_e32 vcc_lo, s[10:11], v[31:32]
	s_delay_alu instid0(VALU_DEP_2) | instskip(SKIP_1) | instid1(VALU_DEP_1)
	v_ldexp_f32 v43, v43, s19
	s_or_b32 s18, vcc_lo, s18
	v_mul_f32_e32 v43, v41, v43
	v_mov_b32_e32 v41, v30
	s_delay_alu instid0(VALU_DEP_2)
	v_fma_f32 v30, v21, v30, -v43
	s_and_not1_b32 exec_lo, exec_lo, s18
	s_cbranch_execnz .LBB49_260
; %bb.261:
	s_or_b32 exec_lo, exec_lo, s18
.LBB49_262:
	s_delay_alu instid0(SALU_CYCLE_1)
	s_or_b32 exec_lo, exec_lo, s17
.LBB49_263:
	s_and_not1_saveexec_b32 s10, s16
; %bb.264:
	v_add_f32_e32 v30, v22, v22
; %bb.265:
	s_or_b32 exec_lo, exec_lo, s10
.LBB49_266:
	s_delay_alu instid0(SALU_CYCLE_1)
	s_or_b32 exec_lo, exec_lo, s14
.LBB49_267:
	s_delay_alu instid0(SALU_CYCLE_1) | instskip(SKIP_2) | instid1(VALU_DEP_1)
	s_or_b32 exec_lo, exec_lo, s13
	v_lshlrev_b32_e32 v21, 16, v42
	s_mov_b32 s13, exec_lo
	v_trunc_f32_e32 v22, v21
	s_delay_alu instid0(VALU_DEP_1) | instskip(NEXT) | instid1(VALU_DEP_1)
	v_mul_f32_e64 v31, 0x2f800000, |v22|
	v_floor_f32_e32 v31, v31
	s_delay_alu instid0(VALU_DEP_1) | instskip(SKIP_2) | instid1(VALU_DEP_3)
	v_fma_f32 v32, 0xcf800000, v31, |v22|
	v_ashrrev_i32_e32 v22, 31, v22
	v_cvt_u32_f32_e32 v31, v31
	v_cvt_u32_f32_e32 v32, v32
	s_delay_alu instid0(VALU_DEP_2) | instskip(NEXT) | instid1(VALU_DEP_2)
	v_xor_b32_e32 v31, v31, v22
	v_xor_b32_e32 v32, v32, v22
	s_delay_alu instid0(VALU_DEP_1) | instskip(NEXT) | instid1(VALU_DEP_3)
	v_sub_co_u32 v32, vcc_lo, v32, v22
	v_sub_co_ci_u32_e32 v22, vcc_lo, v31, v22, vcc_lo
	v_cmp_class_f32_e64 vcc_lo, v21, 0x1f8
	s_delay_alu instid0(VALU_DEP_2) | instskip(NEXT) | instid1(VALU_DEP_4)
	v_dual_mov_b32 v31, 0 :: v_dual_cndmask_b32 v22, -1, v22
	v_cndmask_b32_e32 v21, -1, v32, vcc_lo
	s_delay_alu instid0(VALU_DEP_1)
	v_cmpx_lt_i64_e32 -1, v[21:22]
	s_cbranch_execz .LBB49_279
; %bb.268:
	v_mov_b32_e32 v31, 1.0
	s_mov_b32 s14, exec_lo
	v_cmpx_lt_i64_e32 0, v[21:22]
	s_cbranch_execz .LBB49_278
; %bb.269:
	s_mov_b32 s10, exec_lo
	v_cmpx_ne_u64_e32 1, v[21:22]
	s_xor_b32 s16, exec_lo, s10
	s_cbranch_execz .LBB49_275
; %bb.270:
	v_mov_b32_e32 v31, 0x7fc00000
	s_mov_b32 s17, exec_lo
	v_cmpx_gt_u64_e32 0x81, v[21:22]
	s_cbranch_execz .LBB49_274
; %bb.271:
	v_dual_add_f32 v32, v23, v23 :: v_dual_mov_b32 v41, 1.0
	v_lshlrev_b64 v[21:22], 1, v[21:22]
	s_mov_b64 s[10:11], 2
	s_mov_b32 s18, 0
	s_delay_alu instid0(VALU_DEP_2)
	v_mov_b32_e32 v31, v32
	.p2align	6
.LBB49_272:                             ; =>This Inner Loop Header: Depth=1
	s_clz_i32_u32 s19, s11
	s_delay_alu instid0(SALU_CYCLE_1) | instskip(NEXT) | instid1(SALU_CYCLE_1)
	s_min_u32 s19, s19, 32
	s_lshl_b64 s[20:21], s[10:11], s19
	s_sub_i32 s19, 32, s19
	s_min_u32 s20, s20, 1
	s_delay_alu instid0(SALU_CYCLE_1) | instskip(SKIP_3) | instid1(SALU_CYCLE_1)
	s_or_b32 s20, s21, s20
	s_add_u32 s10, s10, 2
	v_cvt_f32_u32_e32 v43, s20
	s_addc_u32 s11, s11, 0
	v_cmp_ge_u64_e32 vcc_lo, s[10:11], v[21:22]
	s_delay_alu instid0(VALU_DEP_2) | instskip(SKIP_1) | instid1(VALU_DEP_1)
	v_ldexp_f32 v43, v43, s19
	s_or_b32 s18, vcc_lo, s18
	v_mul_f32_e32 v43, v41, v43
	v_mov_b32_e32 v41, v31
	s_delay_alu instid0(VALU_DEP_2)
	v_fma_f32 v31, v32, v31, -v43
	s_and_not1_b32 exec_lo, exec_lo, s18
	s_cbranch_execnz .LBB49_272
; %bb.273:
	s_or_b32 exec_lo, exec_lo, s18
.LBB49_274:
	s_delay_alu instid0(SALU_CYCLE_1)
	s_or_b32 exec_lo, exec_lo, s17
.LBB49_275:
	s_and_not1_saveexec_b32 s10, s16
; %bb.276:
	v_add_f32_e32 v31, v23, v23
; %bb.277:
	s_or_b32 exec_lo, exec_lo, s10
.LBB49_278:
	s_delay_alu instid0(SALU_CYCLE_1)
	s_or_b32 exec_lo, exec_lo, s14
.LBB49_279:
	s_delay_alu instid0(SALU_CYCLE_1) | instskip(SKIP_2) | instid1(VALU_DEP_1)
	s_or_b32 exec_lo, exec_lo, s13
	v_and_b32_e32 v21, 0xffff0000, v42
	s_mov_b32 s13, exec_lo
	v_trunc_f32_e32 v22, v21
	s_delay_alu instid0(VALU_DEP_1) | instskip(NEXT) | instid1(VALU_DEP_1)
	v_mul_f32_e64 v23, 0x2f800000, |v22|
	v_floor_f32_e32 v23, v23
	s_delay_alu instid0(VALU_DEP_1) | instskip(SKIP_2) | instid1(VALU_DEP_3)
	v_fma_f32 v32, 0xcf800000, v23, |v22|
	v_ashrrev_i32_e32 v22, 31, v22
	v_cvt_u32_f32_e32 v23, v23
	v_cvt_u32_f32_e32 v32, v32
	s_delay_alu instid0(VALU_DEP_2) | instskip(NEXT) | instid1(VALU_DEP_2)
	v_xor_b32_e32 v23, v23, v22
	v_xor_b32_e32 v32, v32, v22
	s_delay_alu instid0(VALU_DEP_1) | instskip(NEXT) | instid1(VALU_DEP_3)
	v_sub_co_u32 v32, vcc_lo, v32, v22
	v_sub_co_ci_u32_e32 v22, vcc_lo, v23, v22, vcc_lo
	v_cmp_class_f32_e64 vcc_lo, v21, 0x1f8
	s_delay_alu instid0(VALU_DEP_2) | instskip(SKIP_1) | instid1(VALU_DEP_2)
	v_dual_cndmask_b32 v22, -1, v22 :: v_dual_cndmask_b32 v21, -1, v32
	v_mov_b32_e32 v32, 0
	v_cmpx_lt_i64_e32 -1, v[21:22]
	s_cbranch_execz .LBB49_291
; %bb.280:
	v_mov_b32_e32 v32, 1.0
	s_mov_b32 s14, exec_lo
	v_cmpx_lt_i64_e32 0, v[21:22]
	s_cbranch_execz .LBB49_290
; %bb.281:
	s_mov_b32 s10, exec_lo
	v_cmpx_ne_u64_e32 1, v[21:22]
	s_xor_b32 s16, exec_lo, s10
	s_cbranch_execz .LBB49_287
; %bb.282:
	v_mov_b32_e32 v32, 0x7fc00000
	s_mov_b32 s17, exec_lo
	v_cmpx_gt_u64_e32 0x81, v[21:22]
	s_cbranch_execz .LBB49_286
; %bb.283:
	v_dual_add_f32 v23, v24, v24 :: v_dual_mov_b32 v24, 1.0
	v_lshlrev_b64 v[21:22], 1, v[21:22]
	s_mov_b64 s[10:11], 2
	s_mov_b32 s18, 0
	s_delay_alu instid0(VALU_DEP_2)
	v_mov_b32_e32 v32, v23
	.p2align	6
.LBB49_284:                             ; =>This Inner Loop Header: Depth=1
	s_clz_i32_u32 s19, s11
	s_delay_alu instid0(SALU_CYCLE_1) | instskip(NEXT) | instid1(SALU_CYCLE_1)
	s_min_u32 s19, s19, 32
	s_lshl_b64 s[20:21], s[10:11], s19
	s_sub_i32 s19, 32, s19
	s_min_u32 s20, s20, 1
	s_delay_alu instid0(SALU_CYCLE_1) | instskip(SKIP_3) | instid1(SALU_CYCLE_1)
	s_or_b32 s20, s21, s20
	s_add_u32 s10, s10, 2
	v_cvt_f32_u32_e32 v41, s20
	s_addc_u32 s11, s11, 0
	v_cmp_ge_u64_e32 vcc_lo, s[10:11], v[21:22]
	s_delay_alu instid0(VALU_DEP_2) | instskip(SKIP_1) | instid1(VALU_DEP_1)
	v_ldexp_f32 v41, v41, s19
	s_or_b32 s18, vcc_lo, s18
	v_mul_f32_e32 v41, v24, v41
	v_mov_b32_e32 v24, v32
	s_delay_alu instid0(VALU_DEP_2)
	v_fma_f32 v32, v23, v32, -v41
	s_and_not1_b32 exec_lo, exec_lo, s18
	s_cbranch_execnz .LBB49_284
; %bb.285:
	s_or_b32 exec_lo, exec_lo, s18
.LBB49_286:
	s_delay_alu instid0(SALU_CYCLE_1)
	s_or_b32 exec_lo, exec_lo, s17
                                        ; implicit-def: $vgpr21_vgpr22_vgpr23_vgpr24
.LBB49_287:
	s_and_not1_saveexec_b32 s10, s16
; %bb.288:
	v_add_f32_e32 v32, v24, v24
; %bb.289:
	s_or_b32 exec_lo, exec_lo, s10
.LBB49_290:
	s_delay_alu instid0(SALU_CYCLE_1)
	s_or_b32 exec_lo, exec_lo, s14
.LBB49_291:
	s_delay_alu instid0(SALU_CYCLE_1) | instskip(SKIP_3) | instid1(VALU_DEP_1)
	s_or_b32 exec_lo, exec_lo, s13
	s_waitcnt vmcnt(1)
	v_lshlrev_b32_e32 v21, 16, v39
	s_mov_b32 s13, exec_lo
	v_trunc_f32_e32 v22, v21
	s_delay_alu instid0(VALU_DEP_1) | instskip(NEXT) | instid1(VALU_DEP_1)
	v_mul_f32_e64 v23, 0x2f800000, |v22|
	v_floor_f32_e32 v23, v23
	s_delay_alu instid0(VALU_DEP_1) | instskip(SKIP_2) | instid1(VALU_DEP_3)
	v_fma_f32 v24, 0xcf800000, v23, |v22|
	v_ashrrev_i32_e32 v22, 31, v22
	v_cvt_u32_f32_e32 v23, v23
	v_cvt_u32_f32_e32 v24, v24
	s_delay_alu instid0(VALU_DEP_2) | instskip(NEXT) | instid1(VALU_DEP_2)
	v_xor_b32_e32 v23, v23, v22
	v_xor_b32_e32 v24, v24, v22
	s_delay_alu instid0(VALU_DEP_1) | instskip(NEXT) | instid1(VALU_DEP_3)
	v_sub_co_u32 v24, vcc_lo, v24, v22
	v_sub_co_ci_u32_e32 v22, vcc_lo, v23, v22, vcc_lo
	v_cmp_class_f32_e64 vcc_lo, v21, 0x1f8
	v_mov_b32_e32 v21, 0
	s_delay_alu instid0(VALU_DEP_3) | instskip(NEXT) | instid1(VALU_DEP_1)
	v_dual_cndmask_b32 v23, -1, v22 :: v_dual_cndmask_b32 v22, -1, v24
	v_cmpx_lt_i64_e32 -1, v[22:23]
	s_cbranch_execz .LBB49_303
; %bb.292:
	v_mov_b32_e32 v21, 1.0
	s_mov_b32 s14, exec_lo
	v_cmpx_lt_i64_e32 0, v[22:23]
	s_cbranch_execz .LBB49_302
; %bb.293:
                                        ; implicit-def: $vgpr21
	s_mov_b32 s10, exec_lo
	v_cmpx_ne_u64_e32 1, v[22:23]
	s_xor_b32 s16, exec_lo, s10
	s_cbranch_execz .LBB49_299
; %bb.294:
	v_mov_b32_e32 v21, 0x7fc00000
	s_mov_b32 s17, exec_lo
	v_cmpx_gt_u64_e32 0x81, v[22:23]
	s_cbranch_execz .LBB49_298
; %bb.295:
	v_dual_add_f32 v24, v13, v13 :: v_dual_mov_b32 v41, 1.0
	v_lshlrev_b64 v[22:23], 1, v[22:23]
	s_mov_b64 s[10:11], 2
	s_mov_b32 s18, 0
	s_delay_alu instid0(VALU_DEP_2)
	v_mov_b32_e32 v21, v24
	.p2align	6
.LBB49_296:                             ; =>This Inner Loop Header: Depth=1
	s_clz_i32_u32 s19, s11
	s_delay_alu instid0(SALU_CYCLE_1) | instskip(NEXT) | instid1(SALU_CYCLE_1)
	s_min_u32 s19, s19, 32
	s_lshl_b64 s[20:21], s[10:11], s19
	s_sub_i32 s19, 32, s19
	s_min_u32 s20, s20, 1
	s_delay_alu instid0(SALU_CYCLE_1) | instskip(SKIP_3) | instid1(SALU_CYCLE_1)
	s_or_b32 s20, s21, s20
	s_add_u32 s10, s10, 2
	v_cvt_f32_u32_e32 v42, s20
	s_addc_u32 s11, s11, 0
	v_cmp_ge_u64_e32 vcc_lo, s[10:11], v[22:23]
	s_delay_alu instid0(VALU_DEP_2) | instskip(SKIP_1) | instid1(VALU_DEP_1)
	v_ldexp_f32 v42, v42, s19
	s_or_b32 s18, vcc_lo, s18
	v_mul_f32_e32 v42, v41, v42
	v_mov_b32_e32 v41, v21
	s_delay_alu instid0(VALU_DEP_2)
	v_fma_f32 v21, v24, v21, -v42
	s_and_not1_b32 exec_lo, exec_lo, s18
	s_cbranch_execnz .LBB49_296
; %bb.297:
	s_or_b32 exec_lo, exec_lo, s18
.LBB49_298:
	s_delay_alu instid0(SALU_CYCLE_1)
	s_or_b32 exec_lo, exec_lo, s17
.LBB49_299:
	s_and_not1_saveexec_b32 s10, s16
; %bb.300:
	v_add_f32_e32 v21, v13, v13
; %bb.301:
	s_or_b32 exec_lo, exec_lo, s10
.LBB49_302:
	s_delay_alu instid0(SALU_CYCLE_1)
	s_or_b32 exec_lo, exec_lo, s14
.LBB49_303:
	s_delay_alu instid0(SALU_CYCLE_1) | instskip(SKIP_2) | instid1(VALU_DEP_1)
	s_or_b32 exec_lo, exec_lo, s13
	v_and_b32_e32 v13, 0xffff0000, v39
	s_mov_b32 s13, exec_lo
	v_trunc_f32_e32 v22, v13
	s_delay_alu instid0(VALU_DEP_1) | instskip(NEXT) | instid1(VALU_DEP_1)
	v_mul_f32_e64 v23, 0x2f800000, |v22|
	v_floor_f32_e32 v23, v23
	s_delay_alu instid0(VALU_DEP_1) | instskip(SKIP_2) | instid1(VALU_DEP_3)
	v_fma_f32 v24, 0xcf800000, v23, |v22|
	v_ashrrev_i32_e32 v22, 31, v22
	v_cvt_u32_f32_e32 v23, v23
	v_cvt_u32_f32_e32 v24, v24
	s_delay_alu instid0(VALU_DEP_2) | instskip(NEXT) | instid1(VALU_DEP_2)
	v_xor_b32_e32 v23, v23, v22
	v_xor_b32_e32 v24, v24, v22
	s_delay_alu instid0(VALU_DEP_1) | instskip(NEXT) | instid1(VALU_DEP_3)
	v_sub_co_u32 v39, vcc_lo, v24, v22
	v_sub_co_ci_u32_e32 v22, vcc_lo, v23, v22, vcc_lo
	v_cmp_class_f32_e64 vcc_lo, v13, 0x1f8
	s_delay_alu instid0(VALU_DEP_2) | instskip(SKIP_1) | instid1(VALU_DEP_2)
	v_dual_cndmask_b32 v24, -1, v22 :: v_dual_cndmask_b32 v23, -1, v39
	v_mov_b32_e32 v22, 0
	v_cmpx_lt_i64_e32 -1, v[23:24]
	s_cbranch_execz .LBB49_315
; %bb.304:
	v_mov_b32_e32 v22, 1.0
	s_mov_b32 s14, exec_lo
	v_cmpx_lt_i64_e32 0, v[23:24]
	s_cbranch_execz .LBB49_314
; %bb.305:
	s_mov_b32 s10, exec_lo
	v_cmpx_ne_u64_e32 1, v[23:24]
	s_xor_b32 s16, exec_lo, s10
	s_cbranch_execz .LBB49_311
; %bb.306:
	v_mov_b32_e32 v22, 0x7fc00000
	s_mov_b32 s17, exec_lo
	v_cmpx_gt_u64_e32 0x81, v[23:24]
	s_cbranch_execz .LBB49_310
; %bb.307:
	v_add_f32_e32 v13, v14, v14
	v_lshlrev_b64 v[23:24], 1, v[23:24]
	v_mov_b32_e32 v39, 1.0
	s_mov_b64 s[10:11], 2
	s_mov_b32 s18, 0
	v_mov_b32_e32 v22, v13
	.p2align	6
.LBB49_308:                             ; =>This Inner Loop Header: Depth=1
	s_clz_i32_u32 s19, s11
	s_delay_alu instid0(SALU_CYCLE_1) | instskip(NEXT) | instid1(SALU_CYCLE_1)
	s_min_u32 s19, s19, 32
	s_lshl_b64 s[20:21], s[10:11], s19
	s_sub_i32 s19, 32, s19
	s_min_u32 s20, s20, 1
	s_delay_alu instid0(SALU_CYCLE_1) | instskip(SKIP_3) | instid1(SALU_CYCLE_1)
	s_or_b32 s20, s21, s20
	s_add_u32 s10, s10, 2
	v_cvt_f32_u32_e32 v41, s20
	s_addc_u32 s11, s11, 0
	v_cmp_ge_u64_e32 vcc_lo, s[10:11], v[23:24]
	s_delay_alu instid0(VALU_DEP_2) | instskip(SKIP_1) | instid1(VALU_DEP_1)
	v_ldexp_f32 v41, v41, s19
	s_or_b32 s18, vcc_lo, s18
	v_mul_f32_e32 v41, v39, v41
	v_mov_b32_e32 v39, v22
	s_delay_alu instid0(VALU_DEP_2)
	v_fma_f32 v22, v13, v22, -v41
	s_and_not1_b32 exec_lo, exec_lo, s18
	s_cbranch_execnz .LBB49_308
; %bb.309:
	s_or_b32 exec_lo, exec_lo, s18
.LBB49_310:
	s_delay_alu instid0(SALU_CYCLE_1)
	s_or_b32 exec_lo, exec_lo, s17
.LBB49_311:
	s_and_not1_saveexec_b32 s10, s16
; %bb.312:
	v_add_f32_e32 v22, v14, v14
; %bb.313:
	s_or_b32 exec_lo, exec_lo, s10
.LBB49_314:
	s_delay_alu instid0(SALU_CYCLE_1)
	s_or_b32 exec_lo, exec_lo, s14
.LBB49_315:
	s_delay_alu instid0(SALU_CYCLE_1) | instskip(SKIP_2) | instid1(VALU_DEP_1)
	s_or_b32 exec_lo, exec_lo, s13
	v_lshlrev_b32_e32 v13, 16, v40
	s_mov_b32 s13, exec_lo
	v_trunc_f32_e32 v14, v13
	s_delay_alu instid0(VALU_DEP_1) | instskip(NEXT) | instid1(VALU_DEP_1)
	v_mul_f32_e64 v23, 0x2f800000, |v14|
	v_floor_f32_e32 v23, v23
	s_delay_alu instid0(VALU_DEP_1) | instskip(SKIP_2) | instid1(VALU_DEP_3)
	v_fma_f32 v24, 0xcf800000, v23, |v14|
	v_ashrrev_i32_e32 v14, 31, v14
	v_cvt_u32_f32_e32 v23, v23
	v_cvt_u32_f32_e32 v24, v24
	s_delay_alu instid0(VALU_DEP_2) | instskip(NEXT) | instid1(VALU_DEP_2)
	v_xor_b32_e32 v23, v23, v14
	v_xor_b32_e32 v24, v24, v14
	s_delay_alu instid0(VALU_DEP_1) | instskip(NEXT) | instid1(VALU_DEP_3)
	v_sub_co_u32 v24, vcc_lo, v24, v14
	v_sub_co_ci_u32_e32 v14, vcc_lo, v23, v14, vcc_lo
	v_cmp_class_f32_e64 vcc_lo, v13, 0x1f8
	s_delay_alu instid0(VALU_DEP_2) | instskip(NEXT) | instid1(VALU_DEP_4)
	v_dual_mov_b32 v23, 0 :: v_dual_cndmask_b32 v14, -1, v14
	v_cndmask_b32_e32 v13, -1, v24, vcc_lo
	s_delay_alu instid0(VALU_DEP_1)
	v_cmpx_lt_i64_e32 -1, v[13:14]
	s_cbranch_execz .LBB49_327
; %bb.316:
	v_mov_b32_e32 v23, 1.0
	s_mov_b32 s14, exec_lo
	v_cmpx_lt_i64_e32 0, v[13:14]
	s_cbranch_execz .LBB49_326
; %bb.317:
	s_mov_b32 s10, exec_lo
	v_cmpx_ne_u64_e32 1, v[13:14]
	s_xor_b32 s16, exec_lo, s10
	s_cbranch_execz .LBB49_323
; %bb.318:
	v_mov_b32_e32 v23, 0x7fc00000
	s_mov_b32 s17, exec_lo
	v_cmpx_gt_u64_e32 0x81, v[13:14]
	s_cbranch_execz .LBB49_322
; %bb.319:
	v_dual_add_f32 v24, v15, v15 :: v_dual_mov_b32 v39, 1.0
	v_lshlrev_b64 v[13:14], 1, v[13:14]
	s_mov_b64 s[10:11], 2
	s_mov_b32 s18, 0
	s_delay_alu instid0(VALU_DEP_2)
	v_mov_b32_e32 v23, v24
	.p2align	6
.LBB49_320:                             ; =>This Inner Loop Header: Depth=1
	s_clz_i32_u32 s19, s11
	s_delay_alu instid0(SALU_CYCLE_1) | instskip(NEXT) | instid1(SALU_CYCLE_1)
	s_min_u32 s19, s19, 32
	s_lshl_b64 s[20:21], s[10:11], s19
	s_sub_i32 s19, 32, s19
	s_min_u32 s20, s20, 1
	s_delay_alu instid0(SALU_CYCLE_1) | instskip(SKIP_3) | instid1(SALU_CYCLE_1)
	s_or_b32 s20, s21, s20
	s_add_u32 s10, s10, 2
	v_cvt_f32_u32_e32 v41, s20
	s_addc_u32 s11, s11, 0
	v_cmp_ge_u64_e32 vcc_lo, s[10:11], v[13:14]
	s_delay_alu instid0(VALU_DEP_2) | instskip(SKIP_1) | instid1(VALU_DEP_1)
	v_ldexp_f32 v41, v41, s19
	s_or_b32 s18, vcc_lo, s18
	v_mul_f32_e32 v41, v39, v41
	v_mov_b32_e32 v39, v23
	s_delay_alu instid0(VALU_DEP_2)
	v_fma_f32 v23, v24, v23, -v41
	s_and_not1_b32 exec_lo, exec_lo, s18
	s_cbranch_execnz .LBB49_320
; %bb.321:
	s_or_b32 exec_lo, exec_lo, s18
.LBB49_322:
	s_delay_alu instid0(SALU_CYCLE_1)
	s_or_b32 exec_lo, exec_lo, s17
.LBB49_323:
	s_and_not1_saveexec_b32 s10, s16
; %bb.324:
	v_add_f32_e32 v23, v15, v15
; %bb.325:
	s_or_b32 exec_lo, exec_lo, s10
.LBB49_326:
	s_delay_alu instid0(SALU_CYCLE_1)
	s_or_b32 exec_lo, exec_lo, s14
.LBB49_327:
	s_delay_alu instid0(SALU_CYCLE_1) | instskip(SKIP_2) | instid1(VALU_DEP_1)
	s_or_b32 exec_lo, exec_lo, s13
	v_and_b32_e32 v13, 0xffff0000, v40
	s_mov_b32 s13, exec_lo
	v_trunc_f32_e32 v14, v13
	s_delay_alu instid0(VALU_DEP_1) | instskip(NEXT) | instid1(VALU_DEP_1)
	v_mul_f32_e64 v15, 0x2f800000, |v14|
	v_floor_f32_e32 v15, v15
	s_delay_alu instid0(VALU_DEP_1) | instskip(SKIP_2) | instid1(VALU_DEP_3)
	v_fma_f32 v24, 0xcf800000, v15, |v14|
	v_ashrrev_i32_e32 v14, 31, v14
	v_cvt_u32_f32_e32 v15, v15
	v_cvt_u32_f32_e32 v24, v24
	s_delay_alu instid0(VALU_DEP_2) | instskip(NEXT) | instid1(VALU_DEP_2)
	v_xor_b32_e32 v15, v15, v14
	v_xor_b32_e32 v24, v24, v14
	s_delay_alu instid0(VALU_DEP_1) | instskip(NEXT) | instid1(VALU_DEP_3)
	v_sub_co_u32 v24, vcc_lo, v24, v14
	v_sub_co_ci_u32_e32 v14, vcc_lo, v15, v14, vcc_lo
	v_cmp_class_f32_e64 vcc_lo, v13, 0x1f8
	s_delay_alu instid0(VALU_DEP_2) | instskip(SKIP_1) | instid1(VALU_DEP_2)
	v_dual_cndmask_b32 v14, -1, v14 :: v_dual_cndmask_b32 v13, -1, v24
	v_mov_b32_e32 v24, 0
	v_cmpx_lt_i64_e32 -1, v[13:14]
	s_cbranch_execz .LBB49_339
; %bb.328:
	v_mov_b32_e32 v24, 1.0
	s_mov_b32 s14, exec_lo
	v_cmpx_lt_i64_e32 0, v[13:14]
	s_cbranch_execz .LBB49_338
; %bb.329:
	s_mov_b32 s10, exec_lo
	v_cmpx_ne_u64_e32 1, v[13:14]
	s_xor_b32 s16, exec_lo, s10
	s_cbranch_execz .LBB49_335
; %bb.330:
	v_mov_b32_e32 v24, 0x7fc00000
	s_mov_b32 s17, exec_lo
	v_cmpx_gt_u64_e32 0x81, v[13:14]
	s_cbranch_execz .LBB49_334
; %bb.331:
	v_dual_add_f32 v15, v16, v16 :: v_dual_mov_b32 v16, 1.0
	v_lshlrev_b64 v[13:14], 1, v[13:14]
	s_mov_b64 s[10:11], 2
	s_mov_b32 s18, 0
	s_delay_alu instid0(VALU_DEP_2)
	v_mov_b32_e32 v24, v15
	.p2align	6
.LBB49_332:                             ; =>This Inner Loop Header: Depth=1
	s_clz_i32_u32 s19, s11
	s_delay_alu instid0(SALU_CYCLE_1) | instskip(NEXT) | instid1(SALU_CYCLE_1)
	s_min_u32 s19, s19, 32
	s_lshl_b64 s[20:21], s[10:11], s19
	s_sub_i32 s19, 32, s19
	s_min_u32 s20, s20, 1
	s_delay_alu instid0(SALU_CYCLE_1) | instskip(SKIP_3) | instid1(SALU_CYCLE_1)
	s_or_b32 s20, s21, s20
	s_add_u32 s10, s10, 2
	v_cvt_f32_u32_e32 v39, s20
	s_addc_u32 s11, s11, 0
	v_cmp_ge_u64_e32 vcc_lo, s[10:11], v[13:14]
	s_delay_alu instid0(VALU_DEP_2) | instskip(SKIP_1) | instid1(VALU_DEP_1)
	v_ldexp_f32 v39, v39, s19
	s_or_b32 s18, vcc_lo, s18
	v_mul_f32_e32 v39, v16, v39
	v_mov_b32_e32 v16, v24
	s_delay_alu instid0(VALU_DEP_2)
	v_fma_f32 v24, v15, v24, -v39
	s_and_not1_b32 exec_lo, exec_lo, s18
	s_cbranch_execnz .LBB49_332
; %bb.333:
	s_or_b32 exec_lo, exec_lo, s18
.LBB49_334:
	s_delay_alu instid0(SALU_CYCLE_1)
	s_or_b32 exec_lo, exec_lo, s17
                                        ; implicit-def: $vgpr13_vgpr14_vgpr15_vgpr16
.LBB49_335:
	s_and_not1_saveexec_b32 s10, s16
; %bb.336:
	v_add_f32_e32 v24, v16, v16
; %bb.337:
	s_or_b32 exec_lo, exec_lo, s10
.LBB49_338:
	s_delay_alu instid0(SALU_CYCLE_1)
	s_or_b32 exec_lo, exec_lo, s14
.LBB49_339:
	s_delay_alu instid0(SALU_CYCLE_1) | instskip(SKIP_3) | instid1(VALU_DEP_1)
	s_or_b32 exec_lo, exec_lo, s13
	s_waitcnt vmcnt(0)
	v_lshlrev_b32_e32 v13, 16, v37
	s_mov_b32 s13, exec_lo
	v_trunc_f32_e32 v14, v13
	s_delay_alu instid0(VALU_DEP_1) | instskip(NEXT) | instid1(VALU_DEP_1)
	v_mul_f32_e64 v15, 0x2f800000, |v14|
	v_floor_f32_e32 v15, v15
	s_delay_alu instid0(VALU_DEP_1) | instskip(SKIP_2) | instid1(VALU_DEP_3)
	v_fma_f32 v16, 0xcf800000, v15, |v14|
	v_ashrrev_i32_e32 v14, 31, v14
	v_cvt_u32_f32_e32 v15, v15
	v_cvt_u32_f32_e32 v16, v16
	s_delay_alu instid0(VALU_DEP_2) | instskip(NEXT) | instid1(VALU_DEP_2)
	v_xor_b32_e32 v15, v15, v14
	v_xor_b32_e32 v16, v16, v14
	s_delay_alu instid0(VALU_DEP_1) | instskip(NEXT) | instid1(VALU_DEP_3)
	v_sub_co_u32 v16, vcc_lo, v16, v14
	v_sub_co_ci_u32_e32 v14, vcc_lo, v15, v14, vcc_lo
	v_cmp_class_f32_e64 vcc_lo, v13, 0x1f8
	v_mov_b32_e32 v13, 0
	s_delay_alu instid0(VALU_DEP_3) | instskip(NEXT) | instid1(VALU_DEP_1)
	v_dual_cndmask_b32 v15, -1, v14 :: v_dual_cndmask_b32 v14, -1, v16
	v_cmpx_lt_i64_e32 -1, v[14:15]
	s_cbranch_execz .LBB49_351
; %bb.340:
	v_mov_b32_e32 v13, 1.0
	s_mov_b32 s14, exec_lo
	v_cmpx_lt_i64_e32 0, v[14:15]
	s_cbranch_execz .LBB49_350
; %bb.341:
                                        ; implicit-def: $vgpr13
	s_mov_b32 s10, exec_lo
	v_cmpx_ne_u64_e32 1, v[14:15]
	s_xor_b32 s16, exec_lo, s10
	s_cbranch_execz .LBB49_347
; %bb.342:
	v_mov_b32_e32 v13, 0x7fc00000
	s_mov_b32 s17, exec_lo
	v_cmpx_gt_u64_e32 0x81, v[14:15]
	s_cbranch_execz .LBB49_346
; %bb.343:
	v_dual_add_f32 v16, v5, v5 :: v_dual_mov_b32 v39, 1.0
	v_lshlrev_b64 v[14:15], 1, v[14:15]
	s_mov_b64 s[10:11], 2
	s_mov_b32 s18, 0
	s_delay_alu instid0(VALU_DEP_2)
	v_mov_b32_e32 v13, v16
	.p2align	6
.LBB49_344:                             ; =>This Inner Loop Header: Depth=1
	s_clz_i32_u32 s19, s11
	s_delay_alu instid0(SALU_CYCLE_1) | instskip(NEXT) | instid1(SALU_CYCLE_1)
	s_min_u32 s19, s19, 32
	s_lshl_b64 s[20:21], s[10:11], s19
	s_sub_i32 s19, 32, s19
	s_min_u32 s20, s20, 1
	s_delay_alu instid0(SALU_CYCLE_1) | instskip(SKIP_3) | instid1(SALU_CYCLE_1)
	s_or_b32 s20, s21, s20
	s_add_u32 s10, s10, 2
	v_cvt_f32_u32_e32 v40, s20
	s_addc_u32 s11, s11, 0
	v_cmp_ge_u64_e32 vcc_lo, s[10:11], v[14:15]
	s_delay_alu instid0(VALU_DEP_2) | instskip(SKIP_1) | instid1(VALU_DEP_1)
	v_ldexp_f32 v40, v40, s19
	s_or_b32 s18, vcc_lo, s18
	v_dual_mul_f32 v40, v39, v40 :: v_dual_mov_b32 v39, v13
	s_delay_alu instid0(VALU_DEP_1)
	v_fma_f32 v13, v16, v13, -v40
	s_and_not1_b32 exec_lo, exec_lo, s18
	s_cbranch_execnz .LBB49_344
; %bb.345:
	s_or_b32 exec_lo, exec_lo, s18
.LBB49_346:
	s_delay_alu instid0(SALU_CYCLE_1)
	s_or_b32 exec_lo, exec_lo, s17
.LBB49_347:
	s_and_not1_saveexec_b32 s10, s16
; %bb.348:
	v_add_f32_e32 v13, v5, v5
; %bb.349:
	s_or_b32 exec_lo, exec_lo, s10
.LBB49_350:
	s_delay_alu instid0(SALU_CYCLE_1)
	s_or_b32 exec_lo, exec_lo, s14
.LBB49_351:
	s_delay_alu instid0(SALU_CYCLE_1) | instskip(SKIP_2) | instid1(VALU_DEP_1)
	s_or_b32 exec_lo, exec_lo, s13
	v_and_b32_e32 v5, 0xffff0000, v37
	s_mov_b32 s13, exec_lo
	v_trunc_f32_e32 v14, v5
	s_delay_alu instid0(VALU_DEP_1) | instskip(NEXT) | instid1(VALU_DEP_1)
	v_mul_f32_e64 v15, 0x2f800000, |v14|
	v_floor_f32_e32 v15, v15
	s_delay_alu instid0(VALU_DEP_1) | instskip(SKIP_2) | instid1(VALU_DEP_3)
	v_fma_f32 v16, 0xcf800000, v15, |v14|
	v_ashrrev_i32_e32 v14, 31, v14
	v_cvt_u32_f32_e32 v15, v15
	v_cvt_u32_f32_e32 v16, v16
	s_delay_alu instid0(VALU_DEP_2) | instskip(NEXT) | instid1(VALU_DEP_2)
	v_xor_b32_e32 v15, v15, v14
	v_xor_b32_e32 v16, v16, v14
	s_delay_alu instid0(VALU_DEP_1) | instskip(NEXT) | instid1(VALU_DEP_3)
	v_sub_co_u32 v37, vcc_lo, v16, v14
	v_sub_co_ci_u32_e32 v14, vcc_lo, v15, v14, vcc_lo
	v_cmp_class_f32_e64 vcc_lo, v5, 0x1f8
	s_delay_alu instid0(VALU_DEP_2) | instskip(SKIP_1) | instid1(VALU_DEP_2)
	v_dual_cndmask_b32 v16, -1, v14 :: v_dual_cndmask_b32 v15, -1, v37
	v_mov_b32_e32 v14, 0
	v_cmpx_lt_i64_e32 -1, v[15:16]
	s_cbranch_execz .LBB49_363
; %bb.352:
	v_mov_b32_e32 v14, 1.0
	s_mov_b32 s14, exec_lo
	v_cmpx_lt_i64_e32 0, v[15:16]
	s_cbranch_execz .LBB49_362
; %bb.353:
	s_mov_b32 s10, exec_lo
	v_cmpx_ne_u64_e32 1, v[15:16]
	s_xor_b32 s16, exec_lo, s10
	s_cbranch_execz .LBB49_359
; %bb.354:
	v_mov_b32_e32 v14, 0x7fc00000
	s_mov_b32 s17, exec_lo
	v_cmpx_gt_u64_e32 0x81, v[15:16]
	s_cbranch_execz .LBB49_358
; %bb.355:
	v_add_f32_e32 v5, v6, v6
	v_lshlrev_b64 v[15:16], 1, v[15:16]
	v_mov_b32_e32 v37, 1.0
	s_mov_b64 s[10:11], 2
	s_mov_b32 s18, 0
	v_mov_b32_e32 v14, v5
	.p2align	6
.LBB49_356:                             ; =>This Inner Loop Header: Depth=1
	s_clz_i32_u32 s19, s11
	s_delay_alu instid0(SALU_CYCLE_1) | instskip(NEXT) | instid1(SALU_CYCLE_1)
	s_min_u32 s19, s19, 32
	s_lshl_b64 s[20:21], s[10:11], s19
	s_sub_i32 s19, 32, s19
	s_min_u32 s20, s20, 1
	s_delay_alu instid0(SALU_CYCLE_1) | instskip(SKIP_3) | instid1(SALU_CYCLE_1)
	s_or_b32 s20, s21, s20
	s_add_u32 s10, s10, 2
	v_cvt_f32_u32_e32 v39, s20
	s_addc_u32 s11, s11, 0
	v_cmp_ge_u64_e32 vcc_lo, s[10:11], v[15:16]
	s_delay_alu instid0(VALU_DEP_2) | instskip(SKIP_1) | instid1(VALU_DEP_1)
	v_ldexp_f32 v39, v39, s19
	s_or_b32 s18, vcc_lo, s18
	v_mul_f32_e32 v39, v37, v39
	v_mov_b32_e32 v37, v14
	s_delay_alu instid0(VALU_DEP_2)
	v_fma_f32 v14, v5, v14, -v39
	s_and_not1_b32 exec_lo, exec_lo, s18
	s_cbranch_execnz .LBB49_356
; %bb.357:
	s_or_b32 exec_lo, exec_lo, s18
.LBB49_358:
	s_delay_alu instid0(SALU_CYCLE_1)
	s_or_b32 exec_lo, exec_lo, s17
.LBB49_359:
	s_and_not1_saveexec_b32 s10, s16
; %bb.360:
	v_add_f32_e32 v14, v6, v6
; %bb.361:
	s_or_b32 exec_lo, exec_lo, s10
.LBB49_362:
	s_delay_alu instid0(SALU_CYCLE_1)
	s_or_b32 exec_lo, exec_lo, s14
.LBB49_363:
	s_delay_alu instid0(SALU_CYCLE_1) | instskip(SKIP_2) | instid1(VALU_DEP_1)
	s_or_b32 exec_lo, exec_lo, s13
	v_lshlrev_b32_e32 v5, 16, v38
	s_mov_b32 s13, exec_lo
	v_trunc_f32_e32 v6, v5
	s_delay_alu instid0(VALU_DEP_1) | instskip(NEXT) | instid1(VALU_DEP_1)
	v_mul_f32_e64 v15, 0x2f800000, |v6|
	v_floor_f32_e32 v15, v15
	s_delay_alu instid0(VALU_DEP_1) | instskip(SKIP_2) | instid1(VALU_DEP_3)
	v_fma_f32 v16, 0xcf800000, v15, |v6|
	v_ashrrev_i32_e32 v6, 31, v6
	v_cvt_u32_f32_e32 v15, v15
	v_cvt_u32_f32_e32 v16, v16
	s_delay_alu instid0(VALU_DEP_2) | instskip(NEXT) | instid1(VALU_DEP_2)
	v_xor_b32_e32 v15, v15, v6
	v_xor_b32_e32 v16, v16, v6
	s_delay_alu instid0(VALU_DEP_1) | instskip(NEXT) | instid1(VALU_DEP_3)
	v_sub_co_u32 v16, vcc_lo, v16, v6
	v_sub_co_ci_u32_e32 v6, vcc_lo, v15, v6, vcc_lo
	v_cmp_class_f32_e64 vcc_lo, v5, 0x1f8
	s_delay_alu instid0(VALU_DEP_2) | instskip(NEXT) | instid1(VALU_DEP_4)
	v_dual_mov_b32 v15, 0 :: v_dual_cndmask_b32 v6, -1, v6
	v_cndmask_b32_e32 v5, -1, v16, vcc_lo
	s_delay_alu instid0(VALU_DEP_1)
	v_cmpx_lt_i64_e32 -1, v[5:6]
	s_cbranch_execz .LBB49_375
; %bb.364:
	v_mov_b32_e32 v15, 1.0
	s_mov_b32 s14, exec_lo
	v_cmpx_lt_i64_e32 0, v[5:6]
	s_cbranch_execz .LBB49_374
; %bb.365:
	s_mov_b32 s10, exec_lo
	v_cmpx_ne_u64_e32 1, v[5:6]
	s_xor_b32 s16, exec_lo, s10
	s_cbranch_execz .LBB49_371
; %bb.366:
	v_mov_b32_e32 v15, 0x7fc00000
	s_mov_b32 s17, exec_lo
	v_cmpx_gt_u64_e32 0x81, v[5:6]
	s_cbranch_execz .LBB49_370
; %bb.367:
	v_dual_add_f32 v16, v7, v7 :: v_dual_mov_b32 v37, 1.0
	v_lshlrev_b64 v[5:6], 1, v[5:6]
	s_mov_b64 s[10:11], 2
	s_mov_b32 s18, 0
	s_delay_alu instid0(VALU_DEP_2)
	v_mov_b32_e32 v15, v16
	.p2align	6
.LBB49_368:                             ; =>This Inner Loop Header: Depth=1
	s_clz_i32_u32 s19, s11
	s_delay_alu instid0(SALU_CYCLE_1) | instskip(NEXT) | instid1(SALU_CYCLE_1)
	s_min_u32 s19, s19, 32
	s_lshl_b64 s[20:21], s[10:11], s19
	s_sub_i32 s19, 32, s19
	s_min_u32 s20, s20, 1
	s_delay_alu instid0(SALU_CYCLE_1) | instskip(SKIP_3) | instid1(SALU_CYCLE_1)
	s_or_b32 s20, s21, s20
	s_add_u32 s10, s10, 2
	v_cvt_f32_u32_e32 v39, s20
	s_addc_u32 s11, s11, 0
	v_cmp_ge_u64_e32 vcc_lo, s[10:11], v[5:6]
	s_delay_alu instid0(VALU_DEP_2) | instskip(SKIP_1) | instid1(VALU_DEP_1)
	v_ldexp_f32 v39, v39, s19
	s_or_b32 s18, vcc_lo, s18
	v_mul_f32_e32 v39, v37, v39
	v_mov_b32_e32 v37, v15
	s_delay_alu instid0(VALU_DEP_2)
	v_fma_f32 v15, v16, v15, -v39
	s_and_not1_b32 exec_lo, exec_lo, s18
	s_cbranch_execnz .LBB49_368
; %bb.369:
	s_or_b32 exec_lo, exec_lo, s18
.LBB49_370:
	s_delay_alu instid0(SALU_CYCLE_1)
	s_or_b32 exec_lo, exec_lo, s17
.LBB49_371:
	s_and_not1_saveexec_b32 s10, s16
; %bb.372:
	v_add_f32_e32 v15, v7, v7
; %bb.373:
	s_or_b32 exec_lo, exec_lo, s10
.LBB49_374:
	s_delay_alu instid0(SALU_CYCLE_1)
	s_or_b32 exec_lo, exec_lo, s14
.LBB49_375:
	s_delay_alu instid0(SALU_CYCLE_1) | instskip(SKIP_2) | instid1(VALU_DEP_1)
	s_or_b32 exec_lo, exec_lo, s13
	v_and_b32_e32 v5, 0xffff0000, v38
	s_mov_b32 s13, exec_lo
	v_trunc_f32_e32 v6, v5
	s_delay_alu instid0(VALU_DEP_1) | instskip(NEXT) | instid1(VALU_DEP_1)
	v_mul_f32_e64 v7, 0x2f800000, |v6|
	v_floor_f32_e32 v7, v7
	s_delay_alu instid0(VALU_DEP_1) | instskip(SKIP_2) | instid1(VALU_DEP_3)
	v_fma_f32 v16, 0xcf800000, v7, |v6|
	v_ashrrev_i32_e32 v6, 31, v6
	v_cvt_u32_f32_e32 v7, v7
	v_cvt_u32_f32_e32 v16, v16
	s_delay_alu instid0(VALU_DEP_2) | instskip(NEXT) | instid1(VALU_DEP_2)
	v_xor_b32_e32 v7, v7, v6
	v_xor_b32_e32 v16, v16, v6
	s_delay_alu instid0(VALU_DEP_1) | instskip(NEXT) | instid1(VALU_DEP_3)
	v_sub_co_u32 v16, vcc_lo, v16, v6
	v_sub_co_ci_u32_e32 v6, vcc_lo, v7, v6, vcc_lo
	v_cmp_class_f32_e64 vcc_lo, v5, 0x1f8
	s_delay_alu instid0(VALU_DEP_2) | instskip(SKIP_1) | instid1(VALU_DEP_2)
	v_dual_cndmask_b32 v6, -1, v6 :: v_dual_cndmask_b32 v5, -1, v16
	v_mov_b32_e32 v16, 0
	v_cmpx_lt_i64_e32 -1, v[5:6]
	s_cbranch_execz .LBB49_387
; %bb.376:
	v_mov_b32_e32 v16, 1.0
	s_mov_b32 s14, exec_lo
	v_cmpx_lt_i64_e32 0, v[5:6]
	s_cbranch_execz .LBB49_386
; %bb.377:
	s_mov_b32 s10, exec_lo
	v_cmpx_ne_u64_e32 1, v[5:6]
	s_xor_b32 s16, exec_lo, s10
	s_cbranch_execz .LBB49_383
; %bb.378:
	v_mov_b32_e32 v16, 0x7fc00000
	s_mov_b32 s17, exec_lo
	v_cmpx_gt_u64_e32 0x81, v[5:6]
	s_cbranch_execz .LBB49_382
; %bb.379:
	v_dual_add_f32 v7, v8, v8 :: v_dual_mov_b32 v8, 1.0
	v_lshlrev_b64 v[5:6], 1, v[5:6]
	s_mov_b64 s[10:11], 2
	s_mov_b32 s18, 0
	s_delay_alu instid0(VALU_DEP_2)
	v_mov_b32_e32 v16, v7
	.p2align	6
.LBB49_380:                             ; =>This Inner Loop Header: Depth=1
	s_clz_i32_u32 s19, s11
	s_delay_alu instid0(SALU_CYCLE_1) | instskip(NEXT) | instid1(SALU_CYCLE_1)
	s_min_u32 s19, s19, 32
	s_lshl_b64 s[20:21], s[10:11], s19
	s_sub_i32 s19, 32, s19
	s_min_u32 s20, s20, 1
	s_delay_alu instid0(SALU_CYCLE_1) | instskip(SKIP_3) | instid1(SALU_CYCLE_1)
	s_or_b32 s20, s21, s20
	s_add_u32 s10, s10, 2
	v_cvt_f32_u32_e32 v37, s20
	s_addc_u32 s11, s11, 0
	v_cmp_ge_u64_e32 vcc_lo, s[10:11], v[5:6]
	s_delay_alu instid0(VALU_DEP_2) | instskip(SKIP_1) | instid1(VALU_DEP_1)
	v_ldexp_f32 v37, v37, s19
	s_or_b32 s18, vcc_lo, s18
	v_mul_f32_e32 v37, v8, v37
	v_mov_b32_e32 v8, v16
	s_delay_alu instid0(VALU_DEP_2)
	v_fma_f32 v16, v7, v16, -v37
	s_and_not1_b32 exec_lo, exec_lo, s18
	s_cbranch_execnz .LBB49_380
; %bb.381:
	s_or_b32 exec_lo, exec_lo, s18
.LBB49_382:
	s_delay_alu instid0(SALU_CYCLE_1)
	s_or_b32 exec_lo, exec_lo, s17
                                        ; implicit-def: $vgpr5_vgpr6_vgpr7_vgpr8
.LBB49_383:
	s_and_not1_saveexec_b32 s10, s16
; %bb.384:
	v_add_f32_e32 v16, v8, v8
; %bb.385:
	s_or_b32 exec_lo, exec_lo, s10
.LBB49_386:
	s_delay_alu instid0(SALU_CYCLE_1)
	s_or_b32 exec_lo, exec_lo, s14
.LBB49_387:
	s_delay_alu instid0(SALU_CYCLE_1) | instskip(SKIP_3) | instid1(VALU_DEP_1)
	s_or_b32 exec_lo, exec_lo, s13
	s_add_u32 s10, s4, s8
	s_addc_u32 s11, s5, s9
	v_add_co_u32 v7, s8, s10, v53
	v_add_co_ci_u32_e64 v8, null, s11, 0, s8
	s_clause 0x1
	global_store_b128 v53, v[1:4], s[10:11]
	global_store_b128 v56, v[17:20], s[10:11]
	v_add_co_u32 v5, vcc_lo, 0x2000, v7
	v_add_co_ci_u32_e32 v6, vcc_lo, 0, v8, vcc_lo
	v_add_co_u32 v1, vcc_lo, 0x6000, v7
	v_add_co_ci_u32_e32 v2, vcc_lo, 0, v8, vcc_lo
	;; [unrolled: 2-line block ×4, first 2 shown]
	s_clause 0x5
	global_store_b128 v[5:6], v[9:12], off
	global_store_b128 v[1:2], v[25:28], off
	global_store_b128 v54, v[33:36], s[10:11]
	global_store_b128 v55, v[21:24], s[10:11]
	global_store_b128 v[3:4], v[29:32], off
	global_store_b128 v[7:8], v[13:16], off
	s_branch .LBB49_2
.LBB49_388:
	s_clause 0x1
	s_load_b32 s10, s[0:1], 0x24
	s_load_b128 s[16:19], s[0:1], 0x28
	v_dual_mov_b32 v31, v0 :: v_dual_mov_b32 v0, s4
	v_dual_mov_b32 v1, s5 :: v_dual_mov_b32 v2, s6
	;; [unrolled: 1-line block ×4, first 2 shown]
	s_add_u32 s8, s0, 56
	s_addc_u32 s9, s1, 0
	s_mov_b32 s12, s15
	s_getpc_b64 s[0:1]
	s_add_u32 s0, s0, _ZN2at6native25elementwise_kernel_helperILb1ENS0_13BinaryFunctorIfffZZZNS0_12_GLOBAL__N_132hermite_polynomial_h_kernel_cudaERNS_18TensorIteratorBaseEENKUlvE_clEvENKUlvE0_clEvEUlffE_EENS0_6memory8policies11unroll_baseILi512ESt5arrayIPcLm3EE23TrivialOffsetCalculatorILi2EjESG_ILi1EjENSA_12LoadWithCastILi2EEENSA_13StoreWithCastILi1EEELi32ELi1EEEEEvT0_T1_@rel32@lo+4
	s_addc_u32 s1, s1, _ZN2at6native25elementwise_kernel_helperILb1ENS0_13BinaryFunctorIfffZZZNS0_12_GLOBAL__N_132hermite_polynomial_h_kernel_cudaERNS_18TensorIteratorBaseEENKUlvE_clEvENKUlvE0_clEvEUlffE_EENS0_6memory8policies11unroll_baseILi512ESt5arrayIPcLm3EE23TrivialOffsetCalculatorILi2EjESG_ILi1EjENSA_12LoadWithCastILi2EEENSA_13StoreWithCastILi1EEELi32ELi1EEEEEvT0_T1_@rel32@hi+12
	s_waitcnt lgkmcnt(0)
	v_lshrrev_b16 v8, 8, s10
	v_dual_mov_b32 v7, s10 :: v_dual_mov_b32 v10, s17
	v_dual_mov_b32 v9, s16 :: v_dual_mov_b32 v12, s19
	v_mov_b32_e32 v11, s18
	s_swappc_b64 s[30:31], s[0:1]
	s_endpgm
	.section	.rodata,"a",@progbits
	.p2align	6, 0x0
	.amdhsa_kernel _ZN2at6native39vectorized_templated_elementwise_kernelILi4ENS0_13BinaryFunctorIfffZZZNS0_12_GLOBAL__N_132hermite_polynomial_h_kernel_cudaERNS_18TensorIteratorBaseEENKUlvE_clEvENKUlvE0_clEvEUlffE_EESt5arrayIPcLm3EE23TrivialOffsetCalculatorILi2EjESD_ILi1EjENS0_6memory12LoadWithCastILi2EEENSG_13StoreWithCastILi1EEEfJfN3c108BFloat16EEEEviT0_T1_T2_T3_T4_T5_
		.amdhsa_group_segment_fixed_size 0
		.amdhsa_private_segment_fixed_size 272
		.amdhsa_kernarg_size 312
		.amdhsa_user_sgpr_count 15
		.amdhsa_user_sgpr_dispatch_ptr 0
		.amdhsa_user_sgpr_queue_ptr 0
		.amdhsa_user_sgpr_kernarg_segment_ptr 1
		.amdhsa_user_sgpr_dispatch_id 0
		.amdhsa_user_sgpr_private_segment_size 0
		.amdhsa_wavefront_size32 1
		.amdhsa_uses_dynamic_stack 0
		.amdhsa_enable_private_segment 1
		.amdhsa_system_sgpr_workgroup_id_x 1
		.amdhsa_system_sgpr_workgroup_id_y 0
		.amdhsa_system_sgpr_workgroup_id_z 0
		.amdhsa_system_sgpr_workgroup_info 0
		.amdhsa_system_vgpr_workitem_id 0
		.amdhsa_next_free_vgpr 68
		.amdhsa_next_free_sgpr 77
		.amdhsa_reserve_vcc 1
		.amdhsa_float_round_mode_32 0
		.amdhsa_float_round_mode_16_64 0
		.amdhsa_float_denorm_mode_32 3
		.amdhsa_float_denorm_mode_16_64 3
		.amdhsa_dx10_clamp 1
		.amdhsa_ieee_mode 1
		.amdhsa_fp16_overflow 0
		.amdhsa_workgroup_processor_mode 1
		.amdhsa_memory_ordered 1
		.amdhsa_forward_progress 0
		.amdhsa_shared_vgpr_count 0
		.amdhsa_exception_fp_ieee_invalid_op 0
		.amdhsa_exception_fp_denorm_src 0
		.amdhsa_exception_fp_ieee_div_zero 0
		.amdhsa_exception_fp_ieee_overflow 0
		.amdhsa_exception_fp_ieee_underflow 0
		.amdhsa_exception_fp_ieee_inexact 0
		.amdhsa_exception_int_div_zero 0
	.end_amdhsa_kernel
	.section	.text._ZN2at6native39vectorized_templated_elementwise_kernelILi4ENS0_13BinaryFunctorIfffZZZNS0_12_GLOBAL__N_132hermite_polynomial_h_kernel_cudaERNS_18TensorIteratorBaseEENKUlvE_clEvENKUlvE0_clEvEUlffE_EESt5arrayIPcLm3EE23TrivialOffsetCalculatorILi2EjESD_ILi1EjENS0_6memory12LoadWithCastILi2EEENSG_13StoreWithCastILi1EEEfJfN3c108BFloat16EEEEviT0_T1_T2_T3_T4_T5_,"axG",@progbits,_ZN2at6native39vectorized_templated_elementwise_kernelILi4ENS0_13BinaryFunctorIfffZZZNS0_12_GLOBAL__N_132hermite_polynomial_h_kernel_cudaERNS_18TensorIteratorBaseEENKUlvE_clEvENKUlvE0_clEvEUlffE_EESt5arrayIPcLm3EE23TrivialOffsetCalculatorILi2EjESD_ILi1EjENS0_6memory12LoadWithCastILi2EEENSG_13StoreWithCastILi1EEEfJfN3c108BFloat16EEEEviT0_T1_T2_T3_T4_T5_,comdat
.Lfunc_end49:
	.size	_ZN2at6native39vectorized_templated_elementwise_kernelILi4ENS0_13BinaryFunctorIfffZZZNS0_12_GLOBAL__N_132hermite_polynomial_h_kernel_cudaERNS_18TensorIteratorBaseEENKUlvE_clEvENKUlvE0_clEvEUlffE_EESt5arrayIPcLm3EE23TrivialOffsetCalculatorILi2EjESD_ILi1EjENS0_6memory12LoadWithCastILi2EEENSG_13StoreWithCastILi1EEEfJfN3c108BFloat16EEEEviT0_T1_T2_T3_T4_T5_, .Lfunc_end49-_ZN2at6native39vectorized_templated_elementwise_kernelILi4ENS0_13BinaryFunctorIfffZZZNS0_12_GLOBAL__N_132hermite_polynomial_h_kernel_cudaERNS_18TensorIteratorBaseEENKUlvE_clEvENKUlvE0_clEvEUlffE_EESt5arrayIPcLm3EE23TrivialOffsetCalculatorILi2EjESD_ILi1EjENS0_6memory12LoadWithCastILi2EEENSG_13StoreWithCastILi1EEEfJfN3c108BFloat16EEEEviT0_T1_T2_T3_T4_T5_
                                        ; -- End function
	.section	.AMDGPU.csdata,"",@progbits
; Kernel info:
; codeLenInByte = 11908
; NumSgprs: 79
; NumVgprs: 68
; ScratchSize: 272
; MemoryBound: 0
; FloatMode: 240
; IeeeMode: 1
; LDSByteSize: 0 bytes/workgroup (compile time only)
; SGPRBlocks: 9
; VGPRBlocks: 8
; NumSGPRsForWavesPerEU: 79
; NumVGPRsForWavesPerEU: 68
; Occupancy: 16
; WaveLimiterHint : 0
; COMPUTE_PGM_RSRC2:SCRATCH_EN: 1
; COMPUTE_PGM_RSRC2:USER_SGPR: 15
; COMPUTE_PGM_RSRC2:TRAP_HANDLER: 0
; COMPUTE_PGM_RSRC2:TGID_X_EN: 1
; COMPUTE_PGM_RSRC2:TGID_Y_EN: 0
; COMPUTE_PGM_RSRC2:TGID_Z_EN: 0
; COMPUTE_PGM_RSRC2:TIDIG_COMP_CNT: 0
	.section	.text._ZN2at6native39vectorized_templated_elementwise_kernelILi2ENS0_13BinaryFunctorIfffZZZNS0_12_GLOBAL__N_132hermite_polynomial_h_kernel_cudaERNS_18TensorIteratorBaseEENKUlvE_clEvENKUlvE0_clEvEUlffE_EESt5arrayIPcLm3EE23TrivialOffsetCalculatorILi2EjESD_ILi1EjENS0_6memory12LoadWithCastILi2EEENSG_13StoreWithCastILi1EEEfJfN3c108BFloat16EEEEviT0_T1_T2_T3_T4_T5_,"axG",@progbits,_ZN2at6native39vectorized_templated_elementwise_kernelILi2ENS0_13BinaryFunctorIfffZZZNS0_12_GLOBAL__N_132hermite_polynomial_h_kernel_cudaERNS_18TensorIteratorBaseEENKUlvE_clEvENKUlvE0_clEvEUlffE_EESt5arrayIPcLm3EE23TrivialOffsetCalculatorILi2EjESD_ILi1EjENS0_6memory12LoadWithCastILi2EEENSG_13StoreWithCastILi1EEEfJfN3c108BFloat16EEEEviT0_T1_T2_T3_T4_T5_,comdat
	.globl	_ZN2at6native39vectorized_templated_elementwise_kernelILi2ENS0_13BinaryFunctorIfffZZZNS0_12_GLOBAL__N_132hermite_polynomial_h_kernel_cudaERNS_18TensorIteratorBaseEENKUlvE_clEvENKUlvE0_clEvEUlffE_EESt5arrayIPcLm3EE23TrivialOffsetCalculatorILi2EjESD_ILi1EjENS0_6memory12LoadWithCastILi2EEENSG_13StoreWithCastILi1EEEfJfN3c108BFloat16EEEEviT0_T1_T2_T3_T4_T5_ ; -- Begin function _ZN2at6native39vectorized_templated_elementwise_kernelILi2ENS0_13BinaryFunctorIfffZZZNS0_12_GLOBAL__N_132hermite_polynomial_h_kernel_cudaERNS_18TensorIteratorBaseEENKUlvE_clEvENKUlvE0_clEvEUlffE_EESt5arrayIPcLm3EE23TrivialOffsetCalculatorILi2EjESD_ILi1EjENS0_6memory12LoadWithCastILi2EEENSG_13StoreWithCastILi1EEEfJfN3c108BFloat16EEEEviT0_T1_T2_T3_T4_T5_
	.p2align	8
	.type	_ZN2at6native39vectorized_templated_elementwise_kernelILi2ENS0_13BinaryFunctorIfffZZZNS0_12_GLOBAL__N_132hermite_polynomial_h_kernel_cudaERNS_18TensorIteratorBaseEENKUlvE_clEvENKUlvE0_clEvEUlffE_EESt5arrayIPcLm3EE23TrivialOffsetCalculatorILi2EjESD_ILi1EjENS0_6memory12LoadWithCastILi2EEENSG_13StoreWithCastILi1EEEfJfN3c108BFloat16EEEEviT0_T1_T2_T3_T4_T5_,@function
_ZN2at6native39vectorized_templated_elementwise_kernelILi2ENS0_13BinaryFunctorIfffZZZNS0_12_GLOBAL__N_132hermite_polynomial_h_kernel_cudaERNS_18TensorIteratorBaseEENKUlvE_clEvENKUlvE0_clEvEUlffE_EESt5arrayIPcLm3EE23TrivialOffsetCalculatorILi2EjESD_ILi1EjENS0_6memory12LoadWithCastILi2EEENSG_13StoreWithCastILi1EEEfJfN3c108BFloat16EEEEviT0_T1_T2_T3_T4_T5_: ; @_ZN2at6native39vectorized_templated_elementwise_kernelILi2ENS0_13BinaryFunctorIfffZZZNS0_12_GLOBAL__N_132hermite_polynomial_h_kernel_cudaERNS_18TensorIteratorBaseEENKUlvE_clEvENKUlvE0_clEvEUlffE_EESt5arrayIPcLm3EE23TrivialOffsetCalculatorILi2EjESD_ILi1EjENS0_6memory12LoadWithCastILi2EEENSG_13StoreWithCastILi1EEEfJfN3c108BFloat16EEEEviT0_T1_T2_T3_T4_T5_
; %bb.0:
	s_clause 0x3
	s_load_b32 s8, s[0:1], 0x38
	s_load_b32 s9, s[0:1], 0x0
	s_load_b64 s[2:3], s[0:1], 0x18
	s_load_b128 s[4:7], s[0:1], 0x8
	s_not_b32 s10, s15
	s_mov_b32 s32, 0
	s_waitcnt lgkmcnt(0)
	s_add_i32 s8, s8, s10
	s_delay_alu instid0(SALU_CYCLE_1) | instskip(SKIP_2) | instid1(SALU_CYCLE_1)
	s_lshl_b32 s10, s8, 14
	s_mov_b32 s8, -1
	s_sub_i32 s12, s9, s10
	s_cmpk_gt_i32 s12, 0x3fff
	s_cbranch_scc1 .LBB50_3
; %bb.1:
	s_and_b32 vcc_lo, exec_lo, s8
	s_cbranch_vccnz .LBB50_388
.LBB50_2:
	s_nop 0
	s_sendmsg sendmsg(MSG_DEALLOC_VGPRS)
	s_endpgm
.LBB50_3:
	s_ashr_i32 s11, s10, 31
	v_lshlrev_b32_e32 v37, 3, v0
	s_lshl_b64 s[8:9], s[10:11], 2
	v_or_b32_e32 v35, 0x400, v0
	s_add_u32 s16, s6, s8
	s_addc_u32 s17, s7, s9
	v_add_co_u32 v5, s13, s16, v37
	s_delay_alu instid0(VALU_DEP_1) | instskip(SKIP_1) | instid1(VALU_DEP_3)
	v_add_co_ci_u32_e64 v6, null, s17, 0, s13
	v_lshlrev_b32_e32 v40, 3, v35
	v_add_co_u32 v1, vcc_lo, 0x1000, v5
	s_delay_alu instid0(VALU_DEP_3)
	v_add_co_ci_u32_e32 v2, vcc_lo, 0, v6, vcc_lo
	v_add_co_u32 v3, vcc_lo, 0x3000, v5
	v_or_b32_e32 v45, 0x800, v0
	v_add_co_ci_u32_e32 v4, vcc_lo, 0, v6, vcc_lo
	v_or_b32_e32 v47, 0xc00, v0
	s_clause 0x3
	global_load_b64 v[7:8], v37, s[16:17]
	global_load_b64 v[11:12], v[1:2], off
	global_load_b64 v[15:16], v40, s[16:17]
	global_load_b64 v[19:20], v[3:4], off
	v_add_co_u32 v1, vcc_lo, 0x5000, v5
	v_lshlrev_b32_e32 v42, 3, v45
	v_add_co_ci_u32_e32 v2, vcc_lo, 0, v6, vcc_lo
	v_add_co_u32 v3, vcc_lo, 0x7000, v5
	v_lshlrev_b32_e32 v44, 3, v47
	v_or_b32_e32 v49, 0x1000, v0
	v_add_co_ci_u32_e32 v4, vcc_lo, 0, v6, vcc_lo
	v_or_b32_e32 v50, 0x1400, v0
	s_clause 0x3
	global_load_b64 v[23:24], v42, s[16:17]
	global_load_b64 v[27:28], v[1:2], off
	global_load_b64 v[31:32], v44, s[16:17]
	global_load_b64 v[33:34], v[3:4], off
	v_add_co_u32 v1, vcc_lo, 0x9000, v5
	v_lshlrev_b32_e32 v38, 3, v49
	v_add_co_ci_u32_e32 v2, vcc_lo, 0, v6, vcc_lo
	v_add_co_u32 v3, vcc_lo, 0xb000, v5
	v_lshlrev_b32_e32 v39, 3, v50
	;; [unrolled: 13-line block ×3, first 2 shown]
	s_lshl_b64 s[10:11], s[10:11], 1
	v_add_co_ci_u32_e32 v4, vcc_lo, 0, v6, vcc_lo
	s_add_u32 s10, s2, s10
	v_lshlrev_b32_e32 v53, 2, v0
	s_addc_u32 s11, s3, s11
	s_clause 0x3
	global_load_b64 v[13:14], v41, s[16:17]
	global_load_b64 v[9:10], v[1:2], off
	global_load_b64 v[5:6], v43, s[16:17]
	global_load_b64 v[1:2], v[3:4], off
	global_load_b32 v4, v53, s[10:11]
	v_lshlrev_b32_e32 v54, 2, v35
	v_lshlrev_b32_e32 v55, 2, v45
	v_add_co_u32 v3, s13, s10, v53
	s_delay_alu instid0(VALU_DEP_1) | instskip(SKIP_1) | instid1(VALU_DEP_3)
	v_add_co_ci_u32_e64 v63, null, s11, 0, s13
	v_lshlrev_b32_e32 v60, 2, v47
	v_add_co_u32 v35, vcc_lo, 0x1000, v3
	s_delay_alu instid0(VALU_DEP_3)
	v_add_co_ci_u32_e32 v36, vcc_lo, 0, v63, vcc_lo
	v_add_co_u32 v45, vcc_lo, 0x2000, v3
	v_add_co_ci_u32_e32 v46, vcc_lo, 0, v63, vcc_lo
	v_add_co_u32 v47, vcc_lo, 0x3000, v3
	v_add_co_ci_u32_e32 v48, vcc_lo, 0, v63, vcc_lo
	s_clause 0x6
	global_load_b32 v59, v53, s[10:11] offset:2048
	global_load_b32 v58, v54, s[10:11]
	global_load_b32 v57, v[35:36], off offset:2048
	global_load_b32 v56, v55, s[10:11]
	global_load_b32 v55, v[45:46], off offset:2048
	;; [unrolled: 2-line block ×3, first 2 shown]
	v_add_co_u32 v35, vcc_lo, 0x4000, v3
	v_add_co_ci_u32_e32 v36, vcc_lo, 0, v63, vcc_lo
	v_add_co_u32 v45, vcc_lo, 0x5000, v3
	v_add_co_ci_u32_e32 v46, vcc_lo, 0, v63, vcc_lo
	v_lshlrev_b32_e32 v47, 2, v49
	v_add_co_u32 v60, vcc_lo, 0x6000, v3
	v_lshlrev_b32_e32 v48, 2, v50
	v_add_co_ci_u32_e32 v61, vcc_lo, 0, v63, vcc_lo
	v_add_co_u32 v62, vcc_lo, 0x7000, v3
	v_lshlrev_b32_e32 v64, 2, v51
	v_lshlrev_b32_e32 v65, 2, v52
	v_add_co_ci_u32_e32 v63, vcc_lo, 0, v63, vcc_lo
	s_clause 0x7
	global_load_b32 v52, v47, s[10:11]
	global_load_b32 v51, v[35:36], off offset:2048
	global_load_b32 v50, v48, s[10:11]
	global_load_b32 v49, v[45:46], off offset:2048
	;; [unrolled: 2-line block ×4, first 2 shown]
	s_mov_b32 s13, exec_lo
	s_waitcnt vmcnt(15)
	v_lshlrev_b32_e32 v3, 16, v4
	s_delay_alu instid0(VALU_DEP_1) | instskip(NEXT) | instid1(VALU_DEP_1)
	v_trunc_f32_e32 v35, v3
	v_mul_f32_e64 v36, 0x2f800000, |v35|
	s_delay_alu instid0(VALU_DEP_1) | instskip(NEXT) | instid1(VALU_DEP_1)
	v_floor_f32_e32 v36, v36
	v_fma_f32 v60, 0xcf800000, v36, |v35|
	v_ashrrev_i32_e32 v35, 31, v35
	v_cvt_u32_f32_e32 v36, v36
	s_delay_alu instid0(VALU_DEP_3) | instskip(NEXT) | instid1(VALU_DEP_2)
	v_cvt_u32_f32_e32 v60, v60
	v_xor_b32_e32 v36, v36, v35
	s_delay_alu instid0(VALU_DEP_2) | instskip(NEXT) | instid1(VALU_DEP_1)
	v_xor_b32_e32 v60, v60, v35
	v_sub_co_u32 v60, vcc_lo, v60, v35
	s_delay_alu instid0(VALU_DEP_3) | instskip(SKIP_1) | instid1(VALU_DEP_2)
	v_sub_co_ci_u32_e32 v35, vcc_lo, v36, v35, vcc_lo
	v_cmp_class_f32_e64 vcc_lo, v3, 0x1f8
	v_dual_mov_b32 v3, 0 :: v_dual_cndmask_b32 v36, -1, v35
	s_delay_alu instid0(VALU_DEP_4) | instskip(NEXT) | instid1(VALU_DEP_1)
	v_cndmask_b32_e32 v35, -1, v60, vcc_lo
	v_cmpx_lt_i64_e32 -1, v[35:36]
	s_cbranch_execz .LBB50_15
; %bb.4:
	v_mov_b32_e32 v3, 1.0
	s_mov_b32 s14, exec_lo
	v_cmpx_lt_i64_e32 0, v[35:36]
	s_cbranch_execz .LBB50_14
; %bb.5:
                                        ; implicit-def: $vgpr3
	s_mov_b32 s10, exec_lo
	v_cmpx_ne_u64_e32 1, v[35:36]
	s_xor_b32 s16, exec_lo, s10
	s_cbranch_execz .LBB50_11
; %bb.6:
	v_mov_b32_e32 v3, 0x7fc00000
	s_mov_b32 s17, exec_lo
	v_cmpx_gt_u64_e32 0x81, v[35:36]
	s_cbranch_execz .LBB50_10
; %bb.7:
	v_dual_add_f32 v60, v7, v7 :: v_dual_mov_b32 v61, 1.0
	v_lshlrev_b64 v[35:36], 1, v[35:36]
	s_mov_b64 s[10:11], 2
	s_mov_b32 s18, 0
	s_delay_alu instid0(VALU_DEP_2)
	v_mov_b32_e32 v3, v60
	.p2align	6
.LBB50_8:                               ; =>This Inner Loop Header: Depth=1
	s_clz_i32_u32 s19, s11
	s_delay_alu instid0(SALU_CYCLE_1) | instskip(NEXT) | instid1(SALU_CYCLE_1)
	s_min_u32 s19, s19, 32
	s_lshl_b64 s[20:21], s[10:11], s19
	s_sub_i32 s19, 32, s19
	s_min_u32 s20, s20, 1
	s_delay_alu instid0(SALU_CYCLE_1) | instskip(SKIP_3) | instid1(SALU_CYCLE_1)
	s_or_b32 s20, s21, s20
	s_add_u32 s10, s10, 2
	v_cvt_f32_u32_e32 v62, s20
	s_addc_u32 s11, s11, 0
	v_cmp_ge_u64_e32 vcc_lo, s[10:11], v[35:36]
	s_delay_alu instid0(VALU_DEP_2) | instskip(SKIP_1) | instid1(VALU_DEP_1)
	v_ldexp_f32 v62, v62, s19
	s_or_b32 s18, vcc_lo, s18
	v_dual_mul_f32 v62, v61, v62 :: v_dual_mov_b32 v61, v3
	s_delay_alu instid0(VALU_DEP_1)
	v_fma_f32 v3, v60, v3, -v62
	s_and_not1_b32 exec_lo, exec_lo, s18
	s_cbranch_execnz .LBB50_8
; %bb.9:
	s_or_b32 exec_lo, exec_lo, s18
.LBB50_10:
	s_delay_alu instid0(SALU_CYCLE_1)
	s_or_b32 exec_lo, exec_lo, s17
.LBB50_11:
	s_and_not1_saveexec_b32 s10, s16
; %bb.12:
	v_add_f32_e32 v3, v7, v7
; %bb.13:
	s_or_b32 exec_lo, exec_lo, s10
.LBB50_14:
	s_delay_alu instid0(SALU_CYCLE_1)
	s_or_b32 exec_lo, exec_lo, s14
.LBB50_15:
	s_delay_alu instid0(SALU_CYCLE_1) | instskip(SKIP_2) | instid1(VALU_DEP_1)
	s_or_b32 exec_lo, exec_lo, s13
	v_and_b32_e32 v4, 0xffff0000, v4
	s_mov_b32 s13, exec_lo
	v_trunc_f32_e32 v7, v4
	s_delay_alu instid0(VALU_DEP_1) | instskip(NEXT) | instid1(VALU_DEP_1)
	v_mul_f32_e64 v35, 0x2f800000, |v7|
	v_floor_f32_e32 v35, v35
	s_delay_alu instid0(VALU_DEP_1) | instskip(SKIP_2) | instid1(VALU_DEP_3)
	v_fma_f32 v36, 0xcf800000, v35, |v7|
	v_ashrrev_i32_e32 v7, 31, v7
	v_cvt_u32_f32_e32 v35, v35
	v_cvt_u32_f32_e32 v36, v36
	s_delay_alu instid0(VALU_DEP_2) | instskip(NEXT) | instid1(VALU_DEP_2)
	v_xor_b32_e32 v35, v35, v7
	v_xor_b32_e32 v36, v36, v7
	s_delay_alu instid0(VALU_DEP_1) | instskip(NEXT) | instid1(VALU_DEP_3)
	v_sub_co_u32 v60, vcc_lo, v36, v7
	v_sub_co_ci_u32_e32 v7, vcc_lo, v35, v7, vcc_lo
	v_cmp_class_f32_e64 vcc_lo, v4, 0x1f8
	v_mov_b32_e32 v4, 0
	s_delay_alu instid0(VALU_DEP_3) | instskip(NEXT) | instid1(VALU_DEP_1)
	v_dual_cndmask_b32 v36, -1, v7 :: v_dual_cndmask_b32 v35, -1, v60
	v_cmpx_lt_i64_e32 -1, v[35:36]
	s_cbranch_execz .LBB50_27
; %bb.16:
	v_mov_b32_e32 v4, 1.0
	s_mov_b32 s14, exec_lo
	v_cmpx_lt_i64_e32 0, v[35:36]
	s_cbranch_execz .LBB50_26
; %bb.17:
	s_mov_b32 s10, exec_lo
	v_cmpx_ne_u64_e32 1, v[35:36]
	s_xor_b32 s16, exec_lo, s10
	s_cbranch_execz .LBB50_23
; %bb.18:
	v_mov_b32_e32 v4, 0x7fc00000
	s_mov_b32 s17, exec_lo
	v_cmpx_gt_u64_e32 0x81, v[35:36]
	s_cbranch_execz .LBB50_22
; %bb.19:
	v_add_f32_e32 v60, v8, v8
	v_lshlrev_b64 v[7:8], 1, v[35:36]
	v_mov_b32_e32 v35, 1.0
	s_mov_b64 s[10:11], 2
	s_mov_b32 s18, 0
	v_mov_b32_e32 v4, v60
	.p2align	6
.LBB50_20:                              ; =>This Inner Loop Header: Depth=1
	s_clz_i32_u32 s19, s11
	s_delay_alu instid0(SALU_CYCLE_1) | instskip(NEXT) | instid1(SALU_CYCLE_1)
	s_min_u32 s19, s19, 32
	s_lshl_b64 s[20:21], s[10:11], s19
	s_sub_i32 s19, 32, s19
	s_min_u32 s20, s20, 1
	s_delay_alu instid0(SALU_CYCLE_1) | instskip(SKIP_3) | instid1(SALU_CYCLE_1)
	s_or_b32 s20, s21, s20
	s_add_u32 s10, s10, 2
	v_cvt_f32_u32_e32 v36, s20
	s_addc_u32 s11, s11, 0
	v_cmp_ge_u64_e32 vcc_lo, s[10:11], v[7:8]
	s_delay_alu instid0(VALU_DEP_2) | instskip(SKIP_1) | instid1(VALU_DEP_1)
	v_ldexp_f32 v36, v36, s19
	s_or_b32 s18, vcc_lo, s18
	v_dual_mul_f32 v36, v35, v36 :: v_dual_mov_b32 v35, v4
	s_delay_alu instid0(VALU_DEP_1)
	v_fma_f32 v4, v60, v4, -v36
	s_and_not1_b32 exec_lo, exec_lo, s18
	s_cbranch_execnz .LBB50_20
; %bb.21:
	s_or_b32 exec_lo, exec_lo, s18
.LBB50_22:
	s_delay_alu instid0(SALU_CYCLE_1)
	s_or_b32 exec_lo, exec_lo, s17
                                        ; implicit-def: $vgpr7_vgpr8
.LBB50_23:
	s_and_not1_saveexec_b32 s10, s16
; %bb.24:
	v_add_f32_e32 v4, v8, v8
; %bb.25:
	s_or_b32 exec_lo, exec_lo, s10
.LBB50_26:
	s_delay_alu instid0(SALU_CYCLE_1)
	s_or_b32 exec_lo, exec_lo, s14
.LBB50_27:
	s_delay_alu instid0(SALU_CYCLE_1) | instskip(SKIP_3) | instid1(VALU_DEP_1)
	s_or_b32 exec_lo, exec_lo, s13
	s_waitcnt vmcnt(14)
	v_lshlrev_b32_e32 v7, 16, v59
	s_mov_b32 s13, exec_lo
	v_trunc_f32_e32 v8, v7
	s_delay_alu instid0(VALU_DEP_1) | instskip(NEXT) | instid1(VALU_DEP_1)
	v_mul_f32_e64 v35, 0x2f800000, |v8|
	v_floor_f32_e32 v35, v35
	s_delay_alu instid0(VALU_DEP_1) | instskip(SKIP_2) | instid1(VALU_DEP_3)
	v_fma_f32 v36, 0xcf800000, v35, |v8|
	v_ashrrev_i32_e32 v8, 31, v8
	v_cvt_u32_f32_e32 v35, v35
	v_cvt_u32_f32_e32 v36, v36
	s_delay_alu instid0(VALU_DEP_2) | instskip(NEXT) | instid1(VALU_DEP_2)
	v_xor_b32_e32 v35, v35, v8
	v_xor_b32_e32 v36, v36, v8
	s_delay_alu instid0(VALU_DEP_1) | instskip(NEXT) | instid1(VALU_DEP_3)
	v_sub_co_u32 v60, vcc_lo, v36, v8
	v_sub_co_ci_u32_e32 v8, vcc_lo, v35, v8, vcc_lo
	v_cmp_class_f32_e64 vcc_lo, v7, 0x1f8
	s_delay_alu instid0(VALU_DEP_2) | instskip(NEXT) | instid1(VALU_DEP_4)
	v_dual_mov_b32 v7, 0 :: v_dual_cndmask_b32 v36, -1, v8
	v_cndmask_b32_e32 v35, -1, v60, vcc_lo
	s_delay_alu instid0(VALU_DEP_1)
	v_cmpx_lt_i64_e32 -1, v[35:36]
	s_cbranch_execz .LBB50_39
; %bb.28:
	v_mov_b32_e32 v7, 1.0
	s_mov_b32 s14, exec_lo
	v_cmpx_lt_i64_e32 0, v[35:36]
	s_cbranch_execz .LBB50_38
; %bb.29:
                                        ; implicit-def: $vgpr7
	s_mov_b32 s10, exec_lo
	v_cmpx_ne_u64_e32 1, v[35:36]
	s_xor_b32 s16, exec_lo, s10
	s_cbranch_execz .LBB50_35
; %bb.30:
	v_mov_b32_e32 v7, 0x7fc00000
	s_mov_b32 s17, exec_lo
	v_cmpx_gt_u64_e32 0x81, v[35:36]
	s_cbranch_execz .LBB50_34
; %bb.31:
	v_add_f32_e32 v8, v11, v11
	v_lshlrev_b64 v[35:36], 1, v[35:36]
	v_mov_b32_e32 v60, 1.0
	s_mov_b64 s[10:11], 2
	s_mov_b32 s18, 0
	v_mov_b32_e32 v7, v8
	.p2align	6
.LBB50_32:                              ; =>This Inner Loop Header: Depth=1
	s_clz_i32_u32 s19, s11
	s_delay_alu instid0(SALU_CYCLE_1) | instskip(NEXT) | instid1(SALU_CYCLE_1)
	s_min_u32 s19, s19, 32
	s_lshl_b64 s[20:21], s[10:11], s19
	s_sub_i32 s19, 32, s19
	s_min_u32 s20, s20, 1
	s_delay_alu instid0(SALU_CYCLE_1) | instskip(SKIP_3) | instid1(SALU_CYCLE_1)
	s_or_b32 s20, s21, s20
	s_add_u32 s10, s10, 2
	v_cvt_f32_u32_e32 v61, s20
	s_addc_u32 s11, s11, 0
	v_cmp_ge_u64_e32 vcc_lo, s[10:11], v[35:36]
	s_delay_alu instid0(VALU_DEP_2) | instskip(SKIP_1) | instid1(VALU_DEP_1)
	v_ldexp_f32 v61, v61, s19
	s_or_b32 s18, vcc_lo, s18
	v_dual_mul_f32 v61, v60, v61 :: v_dual_mov_b32 v60, v7
	s_delay_alu instid0(VALU_DEP_1)
	v_fma_f32 v7, v8, v7, -v61
	s_and_not1_b32 exec_lo, exec_lo, s18
	s_cbranch_execnz .LBB50_32
; %bb.33:
	s_or_b32 exec_lo, exec_lo, s18
.LBB50_34:
	s_delay_alu instid0(SALU_CYCLE_1)
	s_or_b32 exec_lo, exec_lo, s17
.LBB50_35:
	s_and_not1_saveexec_b32 s10, s16
; %bb.36:
	v_add_f32_e32 v7, v11, v11
; %bb.37:
	s_or_b32 exec_lo, exec_lo, s10
.LBB50_38:
	s_delay_alu instid0(SALU_CYCLE_1)
	s_or_b32 exec_lo, exec_lo, s14
.LBB50_39:
	s_delay_alu instid0(SALU_CYCLE_1) | instskip(SKIP_2) | instid1(VALU_DEP_1)
	s_or_b32 exec_lo, exec_lo, s13
	v_and_b32_e32 v8, 0xffff0000, v59
	s_mov_b32 s13, exec_lo
	v_trunc_f32_e32 v11, v8
	s_delay_alu instid0(VALU_DEP_1) | instskip(NEXT) | instid1(VALU_DEP_1)
	v_mul_f32_e64 v35, 0x2f800000, |v11|
	v_floor_f32_e32 v35, v35
	s_delay_alu instid0(VALU_DEP_1) | instskip(SKIP_2) | instid1(VALU_DEP_3)
	v_fma_f32 v36, 0xcf800000, v35, |v11|
	v_ashrrev_i32_e32 v11, 31, v11
	v_cvt_u32_f32_e32 v35, v35
	v_cvt_u32_f32_e32 v36, v36
	s_delay_alu instid0(VALU_DEP_2) | instskip(NEXT) | instid1(VALU_DEP_2)
	v_xor_b32_e32 v35, v35, v11
	v_xor_b32_e32 v36, v36, v11
	s_delay_alu instid0(VALU_DEP_1) | instskip(NEXT) | instid1(VALU_DEP_3)
	v_sub_co_u32 v59, vcc_lo, v36, v11
	v_sub_co_ci_u32_e32 v11, vcc_lo, v35, v11, vcc_lo
	v_cmp_class_f32_e64 vcc_lo, v8, 0x1f8
	v_mov_b32_e32 v8, 0
	s_delay_alu instid0(VALU_DEP_3) | instskip(SKIP_1) | instid1(VALU_DEP_1)
	v_cndmask_b32_e32 v36, -1, v11, vcc_lo
	v_cndmask_b32_e32 v35, -1, v59, vcc_lo
	v_cmpx_lt_i64_e32 -1, v[35:36]
	s_cbranch_execz .LBB50_51
; %bb.40:
	v_mov_b32_e32 v8, 1.0
	s_mov_b32 s14, exec_lo
	v_cmpx_lt_i64_e32 0, v[35:36]
	s_cbranch_execz .LBB50_50
; %bb.41:
	s_mov_b32 s10, exec_lo
	v_cmpx_ne_u64_e32 1, v[35:36]
	s_xor_b32 s16, exec_lo, s10
	s_cbranch_execz .LBB50_47
; %bb.42:
	v_mov_b32_e32 v8, 0x7fc00000
	s_mov_b32 s17, exec_lo
	v_cmpx_gt_u64_e32 0x81, v[35:36]
	s_cbranch_execz .LBB50_46
; %bb.43:
	v_add_f32_e32 v59, v12, v12
	v_lshlrev_b64 v[11:12], 1, v[35:36]
	v_mov_b32_e32 v35, 1.0
	s_mov_b64 s[10:11], 2
	s_mov_b32 s18, 0
	v_mov_b32_e32 v8, v59
	.p2align	6
.LBB50_44:                              ; =>This Inner Loop Header: Depth=1
	s_clz_i32_u32 s19, s11
	s_delay_alu instid0(SALU_CYCLE_1) | instskip(NEXT) | instid1(SALU_CYCLE_1)
	s_min_u32 s19, s19, 32
	s_lshl_b64 s[20:21], s[10:11], s19
	s_sub_i32 s19, 32, s19
	s_min_u32 s20, s20, 1
	s_delay_alu instid0(SALU_CYCLE_1) | instskip(SKIP_3) | instid1(SALU_CYCLE_1)
	s_or_b32 s20, s21, s20
	s_add_u32 s10, s10, 2
	v_cvt_f32_u32_e32 v36, s20
	s_addc_u32 s11, s11, 0
	v_cmp_ge_u64_e32 vcc_lo, s[10:11], v[11:12]
	s_delay_alu instid0(VALU_DEP_2) | instskip(SKIP_1) | instid1(VALU_DEP_1)
	v_ldexp_f32 v36, v36, s19
	s_or_b32 s18, vcc_lo, s18
	v_dual_mul_f32 v36, v35, v36 :: v_dual_mov_b32 v35, v8
	s_delay_alu instid0(VALU_DEP_1)
	v_fma_f32 v8, v59, v8, -v36
	s_and_not1_b32 exec_lo, exec_lo, s18
	s_cbranch_execnz .LBB50_44
; %bb.45:
	s_or_b32 exec_lo, exec_lo, s18
.LBB50_46:
	s_delay_alu instid0(SALU_CYCLE_1)
	s_or_b32 exec_lo, exec_lo, s17
                                        ; implicit-def: $vgpr11_vgpr12
.LBB50_47:
	s_and_not1_saveexec_b32 s10, s16
; %bb.48:
	v_add_f32_e32 v8, v12, v12
; %bb.49:
	s_or_b32 exec_lo, exec_lo, s10
.LBB50_50:
	s_delay_alu instid0(SALU_CYCLE_1)
	s_or_b32 exec_lo, exec_lo, s14
.LBB50_51:
	s_delay_alu instid0(SALU_CYCLE_1) | instskip(SKIP_3) | instid1(VALU_DEP_1)
	s_or_b32 exec_lo, exec_lo, s13
	s_waitcnt vmcnt(13)
	v_lshlrev_b32_e32 v11, 16, v58
	s_mov_b32 s13, exec_lo
	v_trunc_f32_e32 v12, v11
	s_delay_alu instid0(VALU_DEP_1) | instskip(NEXT) | instid1(VALU_DEP_1)
	v_mul_f32_e64 v35, 0x2f800000, |v12|
	v_floor_f32_e32 v35, v35
	s_delay_alu instid0(VALU_DEP_1) | instskip(SKIP_2) | instid1(VALU_DEP_3)
	v_fma_f32 v36, 0xcf800000, v35, |v12|
	v_ashrrev_i32_e32 v12, 31, v12
	v_cvt_u32_f32_e32 v35, v35
	v_cvt_u32_f32_e32 v36, v36
	s_delay_alu instid0(VALU_DEP_2) | instskip(NEXT) | instid1(VALU_DEP_2)
	v_xor_b32_e32 v35, v35, v12
	v_xor_b32_e32 v36, v36, v12
	s_delay_alu instid0(VALU_DEP_1) | instskip(NEXT) | instid1(VALU_DEP_3)
	v_sub_co_u32 v59, vcc_lo, v36, v12
	v_sub_co_ci_u32_e32 v12, vcc_lo, v35, v12, vcc_lo
	v_cmp_class_f32_e64 vcc_lo, v11, 0x1f8
	s_delay_alu instid0(VALU_DEP_2) | instskip(NEXT) | instid1(VALU_DEP_4)
	v_dual_mov_b32 v11, 0 :: v_dual_cndmask_b32 v36, -1, v12
	v_cndmask_b32_e32 v35, -1, v59, vcc_lo
	s_delay_alu instid0(VALU_DEP_1)
	v_cmpx_lt_i64_e32 -1, v[35:36]
	s_cbranch_execz .LBB50_63
; %bb.52:
	v_mov_b32_e32 v11, 1.0
	s_mov_b32 s14, exec_lo
	v_cmpx_lt_i64_e32 0, v[35:36]
	s_cbranch_execz .LBB50_62
; %bb.53:
                                        ; implicit-def: $vgpr11
	s_mov_b32 s10, exec_lo
	v_cmpx_ne_u64_e32 1, v[35:36]
	s_xor_b32 s16, exec_lo, s10
	s_cbranch_execz .LBB50_59
; %bb.54:
	v_mov_b32_e32 v11, 0x7fc00000
	s_mov_b32 s17, exec_lo
	v_cmpx_gt_u64_e32 0x81, v[35:36]
	s_cbranch_execz .LBB50_58
; %bb.55:
	v_dual_add_f32 v12, v15, v15 :: v_dual_mov_b32 v59, 1.0
	v_lshlrev_b64 v[35:36], 1, v[35:36]
	s_mov_b64 s[10:11], 2
	s_mov_b32 s18, 0
	s_delay_alu instid0(VALU_DEP_2)
	v_mov_b32_e32 v11, v12
	.p2align	6
.LBB50_56:                              ; =>This Inner Loop Header: Depth=1
	s_clz_i32_u32 s19, s11
	s_delay_alu instid0(SALU_CYCLE_1) | instskip(NEXT) | instid1(SALU_CYCLE_1)
	s_min_u32 s19, s19, 32
	s_lshl_b64 s[20:21], s[10:11], s19
	s_sub_i32 s19, 32, s19
	s_min_u32 s20, s20, 1
	s_delay_alu instid0(SALU_CYCLE_1) | instskip(SKIP_3) | instid1(SALU_CYCLE_1)
	s_or_b32 s20, s21, s20
	s_add_u32 s10, s10, 2
	v_cvt_f32_u32_e32 v60, s20
	s_addc_u32 s11, s11, 0
	v_cmp_ge_u64_e32 vcc_lo, s[10:11], v[35:36]
	s_delay_alu instid0(VALU_DEP_2) | instskip(SKIP_1) | instid1(VALU_DEP_1)
	v_ldexp_f32 v60, v60, s19
	s_or_b32 s18, vcc_lo, s18
	v_mul_f32_e32 v60, v59, v60
	v_mov_b32_e32 v59, v11
	s_delay_alu instid0(VALU_DEP_2)
	v_fma_f32 v11, v12, v11, -v60
	s_and_not1_b32 exec_lo, exec_lo, s18
	s_cbranch_execnz .LBB50_56
; %bb.57:
	s_or_b32 exec_lo, exec_lo, s18
.LBB50_58:
	s_delay_alu instid0(SALU_CYCLE_1)
	s_or_b32 exec_lo, exec_lo, s17
.LBB50_59:
	s_and_not1_saveexec_b32 s10, s16
; %bb.60:
	v_add_f32_e32 v11, v15, v15
; %bb.61:
	s_or_b32 exec_lo, exec_lo, s10
.LBB50_62:
	s_delay_alu instid0(SALU_CYCLE_1)
	s_or_b32 exec_lo, exec_lo, s14
.LBB50_63:
	s_delay_alu instid0(SALU_CYCLE_1) | instskip(SKIP_2) | instid1(VALU_DEP_1)
	s_or_b32 exec_lo, exec_lo, s13
	v_and_b32_e32 v12, 0xffff0000, v58
	s_mov_b32 s13, exec_lo
	v_trunc_f32_e32 v15, v12
	s_delay_alu instid0(VALU_DEP_1) | instskip(NEXT) | instid1(VALU_DEP_1)
	v_mul_f32_e64 v35, 0x2f800000, |v15|
	v_floor_f32_e32 v35, v35
	s_delay_alu instid0(VALU_DEP_1) | instskip(SKIP_2) | instid1(VALU_DEP_3)
	v_fma_f32 v36, 0xcf800000, v35, |v15|
	v_ashrrev_i32_e32 v15, 31, v15
	v_cvt_u32_f32_e32 v35, v35
	v_cvt_u32_f32_e32 v36, v36
	s_delay_alu instid0(VALU_DEP_2) | instskip(NEXT) | instid1(VALU_DEP_2)
	v_xor_b32_e32 v35, v35, v15
	v_xor_b32_e32 v36, v36, v15
	s_delay_alu instid0(VALU_DEP_1) | instskip(NEXT) | instid1(VALU_DEP_3)
	v_sub_co_u32 v58, vcc_lo, v36, v15
	v_sub_co_ci_u32_e32 v15, vcc_lo, v35, v15, vcc_lo
	v_cmp_class_f32_e64 vcc_lo, v12, 0x1f8
	v_mov_b32_e32 v12, 0
	s_delay_alu instid0(VALU_DEP_3) | instskip(NEXT) | instid1(VALU_DEP_1)
	v_dual_cndmask_b32 v36, -1, v15 :: v_dual_cndmask_b32 v35, -1, v58
	v_cmpx_lt_i64_e32 -1, v[35:36]
	s_cbranch_execz .LBB50_75
; %bb.64:
	v_mov_b32_e32 v12, 1.0
	s_mov_b32 s14, exec_lo
	v_cmpx_lt_i64_e32 0, v[35:36]
	s_cbranch_execz .LBB50_74
; %bb.65:
	s_mov_b32 s10, exec_lo
	v_cmpx_ne_u64_e32 1, v[35:36]
	s_xor_b32 s16, exec_lo, s10
	s_cbranch_execz .LBB50_71
; %bb.66:
	v_mov_b32_e32 v12, 0x7fc00000
	s_mov_b32 s17, exec_lo
	v_cmpx_gt_u64_e32 0x81, v[35:36]
	s_cbranch_execz .LBB50_70
; %bb.67:
	v_add_f32_e32 v58, v16, v16
	v_lshlrev_b64 v[15:16], 1, v[35:36]
	v_mov_b32_e32 v35, 1.0
	s_mov_b64 s[10:11], 2
	s_mov_b32 s18, 0
	v_mov_b32_e32 v12, v58
	.p2align	6
.LBB50_68:                              ; =>This Inner Loop Header: Depth=1
	s_clz_i32_u32 s19, s11
	s_delay_alu instid0(SALU_CYCLE_1) | instskip(NEXT) | instid1(SALU_CYCLE_1)
	s_min_u32 s19, s19, 32
	s_lshl_b64 s[20:21], s[10:11], s19
	s_sub_i32 s19, 32, s19
	s_min_u32 s20, s20, 1
	s_delay_alu instid0(SALU_CYCLE_1) | instskip(SKIP_3) | instid1(SALU_CYCLE_1)
	s_or_b32 s20, s21, s20
	s_add_u32 s10, s10, 2
	v_cvt_f32_u32_e32 v36, s20
	s_addc_u32 s11, s11, 0
	v_cmp_ge_u64_e32 vcc_lo, s[10:11], v[15:16]
	s_delay_alu instid0(VALU_DEP_2) | instskip(SKIP_1) | instid1(VALU_DEP_1)
	v_ldexp_f32 v36, v36, s19
	s_or_b32 s18, vcc_lo, s18
	v_dual_mul_f32 v36, v35, v36 :: v_dual_mov_b32 v35, v12
	s_delay_alu instid0(VALU_DEP_1)
	v_fma_f32 v12, v58, v12, -v36
	s_and_not1_b32 exec_lo, exec_lo, s18
	s_cbranch_execnz .LBB50_68
; %bb.69:
	s_or_b32 exec_lo, exec_lo, s18
.LBB50_70:
	s_delay_alu instid0(SALU_CYCLE_1)
	s_or_b32 exec_lo, exec_lo, s17
                                        ; implicit-def: $vgpr15_vgpr16
.LBB50_71:
	s_and_not1_saveexec_b32 s10, s16
; %bb.72:
	v_add_f32_e32 v12, v16, v16
; %bb.73:
	s_or_b32 exec_lo, exec_lo, s10
.LBB50_74:
	s_delay_alu instid0(SALU_CYCLE_1)
	s_or_b32 exec_lo, exec_lo, s14
.LBB50_75:
	s_delay_alu instid0(SALU_CYCLE_1) | instskip(SKIP_3) | instid1(VALU_DEP_1)
	s_or_b32 exec_lo, exec_lo, s13
	s_waitcnt vmcnt(12)
	v_lshlrev_b32_e32 v15, 16, v57
	s_mov_b32 s13, exec_lo
	v_trunc_f32_e32 v16, v15
	s_delay_alu instid0(VALU_DEP_1) | instskip(NEXT) | instid1(VALU_DEP_1)
	v_mul_f32_e64 v35, 0x2f800000, |v16|
	v_floor_f32_e32 v35, v35
	s_delay_alu instid0(VALU_DEP_1) | instskip(SKIP_2) | instid1(VALU_DEP_3)
	v_fma_f32 v36, 0xcf800000, v35, |v16|
	v_ashrrev_i32_e32 v16, 31, v16
	v_cvt_u32_f32_e32 v35, v35
	v_cvt_u32_f32_e32 v36, v36
	s_delay_alu instid0(VALU_DEP_2) | instskip(NEXT) | instid1(VALU_DEP_2)
	v_xor_b32_e32 v35, v35, v16
	v_xor_b32_e32 v36, v36, v16
	s_delay_alu instid0(VALU_DEP_1) | instskip(NEXT) | instid1(VALU_DEP_3)
	v_sub_co_u32 v58, vcc_lo, v36, v16
	v_sub_co_ci_u32_e32 v16, vcc_lo, v35, v16, vcc_lo
	v_cmp_class_f32_e64 vcc_lo, v15, 0x1f8
	s_delay_alu instid0(VALU_DEP_2) | instskip(NEXT) | instid1(VALU_DEP_4)
	v_dual_mov_b32 v15, 0 :: v_dual_cndmask_b32 v36, -1, v16
	v_cndmask_b32_e32 v35, -1, v58, vcc_lo
	s_delay_alu instid0(VALU_DEP_1)
	v_cmpx_lt_i64_e32 -1, v[35:36]
	s_cbranch_execz .LBB50_87
; %bb.76:
	v_mov_b32_e32 v15, 1.0
	s_mov_b32 s14, exec_lo
	v_cmpx_lt_i64_e32 0, v[35:36]
	s_cbranch_execz .LBB50_86
; %bb.77:
                                        ; implicit-def: $vgpr15
	s_mov_b32 s10, exec_lo
	v_cmpx_ne_u64_e32 1, v[35:36]
	s_xor_b32 s16, exec_lo, s10
	s_cbranch_execz .LBB50_83
; %bb.78:
	v_mov_b32_e32 v15, 0x7fc00000
	s_mov_b32 s17, exec_lo
	v_cmpx_gt_u64_e32 0x81, v[35:36]
	s_cbranch_execz .LBB50_82
; %bb.79:
	v_add_f32_e32 v16, v19, v19
	v_lshlrev_b64 v[35:36], 1, v[35:36]
	v_mov_b32_e32 v58, 1.0
	s_mov_b64 s[10:11], 2
	s_mov_b32 s18, 0
	v_mov_b32_e32 v15, v16
	.p2align	6
.LBB50_80:                              ; =>This Inner Loop Header: Depth=1
	s_clz_i32_u32 s19, s11
	s_delay_alu instid0(SALU_CYCLE_1) | instskip(NEXT) | instid1(SALU_CYCLE_1)
	s_min_u32 s19, s19, 32
	s_lshl_b64 s[20:21], s[10:11], s19
	s_sub_i32 s19, 32, s19
	s_min_u32 s20, s20, 1
	s_delay_alu instid0(SALU_CYCLE_1) | instskip(SKIP_3) | instid1(SALU_CYCLE_1)
	s_or_b32 s20, s21, s20
	s_add_u32 s10, s10, 2
	v_cvt_f32_u32_e32 v59, s20
	s_addc_u32 s11, s11, 0
	v_cmp_ge_u64_e32 vcc_lo, s[10:11], v[35:36]
	s_delay_alu instid0(VALU_DEP_2) | instskip(SKIP_1) | instid1(VALU_DEP_1)
	v_ldexp_f32 v59, v59, s19
	s_or_b32 s18, vcc_lo, s18
	v_dual_mul_f32 v59, v58, v59 :: v_dual_mov_b32 v58, v15
	s_delay_alu instid0(VALU_DEP_1)
	v_fma_f32 v15, v16, v15, -v59
	s_and_not1_b32 exec_lo, exec_lo, s18
	s_cbranch_execnz .LBB50_80
; %bb.81:
	s_or_b32 exec_lo, exec_lo, s18
.LBB50_82:
	s_delay_alu instid0(SALU_CYCLE_1)
	s_or_b32 exec_lo, exec_lo, s17
.LBB50_83:
	s_and_not1_saveexec_b32 s10, s16
; %bb.84:
	v_add_f32_e32 v15, v19, v19
; %bb.85:
	s_or_b32 exec_lo, exec_lo, s10
.LBB50_86:
	s_delay_alu instid0(SALU_CYCLE_1)
	s_or_b32 exec_lo, exec_lo, s14
.LBB50_87:
	s_delay_alu instid0(SALU_CYCLE_1) | instskip(SKIP_2) | instid1(VALU_DEP_1)
	s_or_b32 exec_lo, exec_lo, s13
	v_and_b32_e32 v16, 0xffff0000, v57
	s_mov_b32 s13, exec_lo
	v_trunc_f32_e32 v19, v16
	s_delay_alu instid0(VALU_DEP_1) | instskip(NEXT) | instid1(VALU_DEP_1)
	v_mul_f32_e64 v35, 0x2f800000, |v19|
	v_floor_f32_e32 v35, v35
	s_delay_alu instid0(VALU_DEP_1) | instskip(SKIP_2) | instid1(VALU_DEP_3)
	v_fma_f32 v36, 0xcf800000, v35, |v19|
	v_ashrrev_i32_e32 v19, 31, v19
	v_cvt_u32_f32_e32 v35, v35
	v_cvt_u32_f32_e32 v36, v36
	s_delay_alu instid0(VALU_DEP_2) | instskip(NEXT) | instid1(VALU_DEP_2)
	v_xor_b32_e32 v35, v35, v19
	v_xor_b32_e32 v36, v36, v19
	s_delay_alu instid0(VALU_DEP_1) | instskip(NEXT) | instid1(VALU_DEP_3)
	v_sub_co_u32 v57, vcc_lo, v36, v19
	v_sub_co_ci_u32_e32 v19, vcc_lo, v35, v19, vcc_lo
	v_cmp_class_f32_e64 vcc_lo, v16, 0x1f8
	v_mov_b32_e32 v16, 0
	s_delay_alu instid0(VALU_DEP_3) | instskip(NEXT) | instid1(VALU_DEP_1)
	v_dual_cndmask_b32 v36, -1, v19 :: v_dual_cndmask_b32 v35, -1, v57
	v_cmpx_lt_i64_e32 -1, v[35:36]
	s_cbranch_execz .LBB50_99
; %bb.88:
	v_mov_b32_e32 v16, 1.0
	s_mov_b32 s14, exec_lo
	v_cmpx_lt_i64_e32 0, v[35:36]
	s_cbranch_execz .LBB50_98
; %bb.89:
	s_mov_b32 s10, exec_lo
	v_cmpx_ne_u64_e32 1, v[35:36]
	s_xor_b32 s16, exec_lo, s10
	s_cbranch_execz .LBB50_95
; %bb.90:
	v_mov_b32_e32 v16, 0x7fc00000
	s_mov_b32 s17, exec_lo
	v_cmpx_gt_u64_e32 0x81, v[35:36]
	s_cbranch_execz .LBB50_94
; %bb.91:
	v_add_f32_e32 v57, v20, v20
	v_lshlrev_b64 v[19:20], 1, v[35:36]
	v_mov_b32_e32 v35, 1.0
	s_mov_b64 s[10:11], 2
	s_mov_b32 s18, 0
	v_mov_b32_e32 v16, v57
	.p2align	6
.LBB50_92:                              ; =>This Inner Loop Header: Depth=1
	s_clz_i32_u32 s19, s11
	s_delay_alu instid0(SALU_CYCLE_1) | instskip(NEXT) | instid1(SALU_CYCLE_1)
	s_min_u32 s19, s19, 32
	s_lshl_b64 s[20:21], s[10:11], s19
	s_sub_i32 s19, 32, s19
	s_min_u32 s20, s20, 1
	s_delay_alu instid0(SALU_CYCLE_1) | instskip(SKIP_3) | instid1(SALU_CYCLE_1)
	s_or_b32 s20, s21, s20
	s_add_u32 s10, s10, 2
	v_cvt_f32_u32_e32 v36, s20
	s_addc_u32 s11, s11, 0
	v_cmp_ge_u64_e32 vcc_lo, s[10:11], v[19:20]
	s_delay_alu instid0(VALU_DEP_2) | instskip(SKIP_1) | instid1(VALU_DEP_1)
	v_ldexp_f32 v36, v36, s19
	s_or_b32 s18, vcc_lo, s18
	v_dual_mul_f32 v36, v35, v36 :: v_dual_mov_b32 v35, v16
	s_delay_alu instid0(VALU_DEP_1)
	v_fma_f32 v16, v57, v16, -v36
	s_and_not1_b32 exec_lo, exec_lo, s18
	s_cbranch_execnz .LBB50_92
; %bb.93:
	s_or_b32 exec_lo, exec_lo, s18
.LBB50_94:
	s_delay_alu instid0(SALU_CYCLE_1)
	s_or_b32 exec_lo, exec_lo, s17
                                        ; implicit-def: $vgpr19_vgpr20
.LBB50_95:
	s_and_not1_saveexec_b32 s10, s16
; %bb.96:
	v_add_f32_e32 v16, v20, v20
; %bb.97:
	s_or_b32 exec_lo, exec_lo, s10
.LBB50_98:
	s_delay_alu instid0(SALU_CYCLE_1)
	s_or_b32 exec_lo, exec_lo, s14
.LBB50_99:
	s_delay_alu instid0(SALU_CYCLE_1) | instskip(SKIP_3) | instid1(VALU_DEP_1)
	s_or_b32 exec_lo, exec_lo, s13
	s_waitcnt vmcnt(11)
	v_lshlrev_b32_e32 v19, 16, v56
	s_mov_b32 s13, exec_lo
	v_trunc_f32_e32 v20, v19
	s_delay_alu instid0(VALU_DEP_1) | instskip(NEXT) | instid1(VALU_DEP_1)
	v_mul_f32_e64 v35, 0x2f800000, |v20|
	v_floor_f32_e32 v35, v35
	s_delay_alu instid0(VALU_DEP_1) | instskip(SKIP_2) | instid1(VALU_DEP_3)
	v_fma_f32 v36, 0xcf800000, v35, |v20|
	v_ashrrev_i32_e32 v20, 31, v20
	v_cvt_u32_f32_e32 v35, v35
	v_cvt_u32_f32_e32 v36, v36
	s_delay_alu instid0(VALU_DEP_2) | instskip(NEXT) | instid1(VALU_DEP_2)
	v_xor_b32_e32 v35, v35, v20
	v_xor_b32_e32 v36, v36, v20
	s_delay_alu instid0(VALU_DEP_1) | instskip(NEXT) | instid1(VALU_DEP_3)
	v_sub_co_u32 v57, vcc_lo, v36, v20
	v_sub_co_ci_u32_e32 v20, vcc_lo, v35, v20, vcc_lo
	v_cmp_class_f32_e64 vcc_lo, v19, 0x1f8
	s_delay_alu instid0(VALU_DEP_2) | instskip(NEXT) | instid1(VALU_DEP_4)
	v_dual_mov_b32 v19, 0 :: v_dual_cndmask_b32 v36, -1, v20
	v_cndmask_b32_e32 v35, -1, v57, vcc_lo
	s_delay_alu instid0(VALU_DEP_1)
	v_cmpx_lt_i64_e32 -1, v[35:36]
	s_cbranch_execz .LBB50_111
; %bb.100:
	v_mov_b32_e32 v19, 1.0
	s_mov_b32 s14, exec_lo
	v_cmpx_lt_i64_e32 0, v[35:36]
	s_cbranch_execz .LBB50_110
; %bb.101:
                                        ; implicit-def: $vgpr19
	s_mov_b32 s10, exec_lo
	v_cmpx_ne_u64_e32 1, v[35:36]
	s_xor_b32 s16, exec_lo, s10
	s_cbranch_execz .LBB50_107
; %bb.102:
	v_mov_b32_e32 v19, 0x7fc00000
	s_mov_b32 s17, exec_lo
	v_cmpx_gt_u64_e32 0x81, v[35:36]
	s_cbranch_execz .LBB50_106
; %bb.103:
	v_dual_add_f32 v20, v23, v23 :: v_dual_mov_b32 v57, 1.0
	v_lshlrev_b64 v[35:36], 1, v[35:36]
	s_mov_b64 s[10:11], 2
	s_mov_b32 s18, 0
	s_delay_alu instid0(VALU_DEP_2)
	v_mov_b32_e32 v19, v20
	.p2align	6
.LBB50_104:                             ; =>This Inner Loop Header: Depth=1
	s_clz_i32_u32 s19, s11
	s_delay_alu instid0(SALU_CYCLE_1) | instskip(NEXT) | instid1(SALU_CYCLE_1)
	s_min_u32 s19, s19, 32
	s_lshl_b64 s[20:21], s[10:11], s19
	s_sub_i32 s19, 32, s19
	s_min_u32 s20, s20, 1
	s_delay_alu instid0(SALU_CYCLE_1) | instskip(SKIP_3) | instid1(SALU_CYCLE_1)
	s_or_b32 s20, s21, s20
	s_add_u32 s10, s10, 2
	v_cvt_f32_u32_e32 v58, s20
	s_addc_u32 s11, s11, 0
	v_cmp_ge_u64_e32 vcc_lo, s[10:11], v[35:36]
	s_delay_alu instid0(VALU_DEP_2) | instskip(SKIP_1) | instid1(VALU_DEP_1)
	v_ldexp_f32 v58, v58, s19
	s_or_b32 s18, vcc_lo, s18
	v_dual_mul_f32 v58, v57, v58 :: v_dual_mov_b32 v57, v19
	s_delay_alu instid0(VALU_DEP_1)
	v_fma_f32 v19, v20, v19, -v58
	s_and_not1_b32 exec_lo, exec_lo, s18
	s_cbranch_execnz .LBB50_104
; %bb.105:
	s_or_b32 exec_lo, exec_lo, s18
.LBB50_106:
	s_delay_alu instid0(SALU_CYCLE_1)
	s_or_b32 exec_lo, exec_lo, s17
.LBB50_107:
	s_and_not1_saveexec_b32 s10, s16
; %bb.108:
	v_add_f32_e32 v19, v23, v23
; %bb.109:
	s_or_b32 exec_lo, exec_lo, s10
.LBB50_110:
	s_delay_alu instid0(SALU_CYCLE_1)
	s_or_b32 exec_lo, exec_lo, s14
.LBB50_111:
	s_delay_alu instid0(SALU_CYCLE_1) | instskip(SKIP_2) | instid1(VALU_DEP_1)
	s_or_b32 exec_lo, exec_lo, s13
	v_and_b32_e32 v20, 0xffff0000, v56
	s_mov_b32 s13, exec_lo
	v_trunc_f32_e32 v23, v20
	s_delay_alu instid0(VALU_DEP_1) | instskip(NEXT) | instid1(VALU_DEP_1)
	v_mul_f32_e64 v35, 0x2f800000, |v23|
	v_floor_f32_e32 v35, v35
	s_delay_alu instid0(VALU_DEP_1) | instskip(SKIP_2) | instid1(VALU_DEP_3)
	v_fma_f32 v36, 0xcf800000, v35, |v23|
	v_ashrrev_i32_e32 v23, 31, v23
	v_cvt_u32_f32_e32 v35, v35
	v_cvt_u32_f32_e32 v36, v36
	s_delay_alu instid0(VALU_DEP_2) | instskip(NEXT) | instid1(VALU_DEP_2)
	v_xor_b32_e32 v35, v35, v23
	v_xor_b32_e32 v36, v36, v23
	s_delay_alu instid0(VALU_DEP_1) | instskip(NEXT) | instid1(VALU_DEP_3)
	v_sub_co_u32 v56, vcc_lo, v36, v23
	v_sub_co_ci_u32_e32 v23, vcc_lo, v35, v23, vcc_lo
	v_cmp_class_f32_e64 vcc_lo, v20, 0x1f8
	v_mov_b32_e32 v20, 0
	s_delay_alu instid0(VALU_DEP_3) | instskip(NEXT) | instid1(VALU_DEP_1)
	v_dual_cndmask_b32 v36, -1, v23 :: v_dual_cndmask_b32 v35, -1, v56
	v_cmpx_lt_i64_e32 -1, v[35:36]
	s_cbranch_execz .LBB50_123
; %bb.112:
	v_mov_b32_e32 v20, 1.0
	s_mov_b32 s14, exec_lo
	v_cmpx_lt_i64_e32 0, v[35:36]
	s_cbranch_execz .LBB50_122
; %bb.113:
	s_mov_b32 s10, exec_lo
	v_cmpx_ne_u64_e32 1, v[35:36]
	s_xor_b32 s16, exec_lo, s10
	s_cbranch_execz .LBB50_119
; %bb.114:
	v_mov_b32_e32 v20, 0x7fc00000
	s_mov_b32 s17, exec_lo
	v_cmpx_gt_u64_e32 0x81, v[35:36]
	s_cbranch_execz .LBB50_118
; %bb.115:
	v_add_f32_e32 v56, v24, v24
	v_lshlrev_b64 v[23:24], 1, v[35:36]
	v_mov_b32_e32 v35, 1.0
	s_mov_b64 s[10:11], 2
	s_mov_b32 s18, 0
	v_mov_b32_e32 v20, v56
	.p2align	6
.LBB50_116:                             ; =>This Inner Loop Header: Depth=1
	s_clz_i32_u32 s19, s11
	s_delay_alu instid0(SALU_CYCLE_1) | instskip(NEXT) | instid1(SALU_CYCLE_1)
	s_min_u32 s19, s19, 32
	s_lshl_b64 s[20:21], s[10:11], s19
	s_sub_i32 s19, 32, s19
	s_min_u32 s20, s20, 1
	s_delay_alu instid0(SALU_CYCLE_1) | instskip(SKIP_3) | instid1(SALU_CYCLE_1)
	s_or_b32 s20, s21, s20
	s_add_u32 s10, s10, 2
	v_cvt_f32_u32_e32 v36, s20
	s_addc_u32 s11, s11, 0
	v_cmp_ge_u64_e32 vcc_lo, s[10:11], v[23:24]
	s_delay_alu instid0(VALU_DEP_2) | instskip(SKIP_1) | instid1(VALU_DEP_1)
	v_ldexp_f32 v36, v36, s19
	s_or_b32 s18, vcc_lo, s18
	v_dual_mul_f32 v36, v35, v36 :: v_dual_mov_b32 v35, v20
	s_delay_alu instid0(VALU_DEP_1)
	v_fma_f32 v20, v56, v20, -v36
	s_and_not1_b32 exec_lo, exec_lo, s18
	s_cbranch_execnz .LBB50_116
; %bb.117:
	s_or_b32 exec_lo, exec_lo, s18
.LBB50_118:
	s_delay_alu instid0(SALU_CYCLE_1)
	s_or_b32 exec_lo, exec_lo, s17
                                        ; implicit-def: $vgpr23_vgpr24
.LBB50_119:
	s_and_not1_saveexec_b32 s10, s16
; %bb.120:
	v_add_f32_e32 v20, v24, v24
; %bb.121:
	s_or_b32 exec_lo, exec_lo, s10
.LBB50_122:
	s_delay_alu instid0(SALU_CYCLE_1)
	s_or_b32 exec_lo, exec_lo, s14
.LBB50_123:
	s_delay_alu instid0(SALU_CYCLE_1) | instskip(SKIP_3) | instid1(VALU_DEP_1)
	s_or_b32 exec_lo, exec_lo, s13
	s_waitcnt vmcnt(10)
	v_lshlrev_b32_e32 v23, 16, v55
	s_mov_b32 s13, exec_lo
	v_trunc_f32_e32 v24, v23
	s_delay_alu instid0(VALU_DEP_1) | instskip(NEXT) | instid1(VALU_DEP_1)
	v_mul_f32_e64 v35, 0x2f800000, |v24|
	v_floor_f32_e32 v35, v35
	s_delay_alu instid0(VALU_DEP_1) | instskip(SKIP_2) | instid1(VALU_DEP_3)
	v_fma_f32 v36, 0xcf800000, v35, |v24|
	v_ashrrev_i32_e32 v24, 31, v24
	v_cvt_u32_f32_e32 v35, v35
	v_cvt_u32_f32_e32 v36, v36
	s_delay_alu instid0(VALU_DEP_2) | instskip(NEXT) | instid1(VALU_DEP_2)
	v_xor_b32_e32 v35, v35, v24
	v_xor_b32_e32 v36, v36, v24
	s_delay_alu instid0(VALU_DEP_1) | instskip(NEXT) | instid1(VALU_DEP_3)
	v_sub_co_u32 v56, vcc_lo, v36, v24
	v_sub_co_ci_u32_e32 v24, vcc_lo, v35, v24, vcc_lo
	v_cmp_class_f32_e64 vcc_lo, v23, 0x1f8
	s_delay_alu instid0(VALU_DEP_2) | instskip(NEXT) | instid1(VALU_DEP_4)
	v_dual_mov_b32 v23, 0 :: v_dual_cndmask_b32 v36, -1, v24
	v_cndmask_b32_e32 v35, -1, v56, vcc_lo
	s_delay_alu instid0(VALU_DEP_1)
	v_cmpx_lt_i64_e32 -1, v[35:36]
	s_cbranch_execz .LBB50_135
; %bb.124:
	v_mov_b32_e32 v23, 1.0
	s_mov_b32 s14, exec_lo
	v_cmpx_lt_i64_e32 0, v[35:36]
	s_cbranch_execz .LBB50_134
; %bb.125:
                                        ; implicit-def: $vgpr23
	s_mov_b32 s10, exec_lo
	v_cmpx_ne_u64_e32 1, v[35:36]
	s_xor_b32 s16, exec_lo, s10
	s_cbranch_execz .LBB50_131
; %bb.126:
	v_mov_b32_e32 v23, 0x7fc00000
	s_mov_b32 s17, exec_lo
	v_cmpx_gt_u64_e32 0x81, v[35:36]
	s_cbranch_execz .LBB50_130
; %bb.127:
	v_add_f32_e32 v24, v27, v27
	v_lshlrev_b64 v[35:36], 1, v[35:36]
	v_mov_b32_e32 v56, 1.0
	s_mov_b64 s[10:11], 2
	s_mov_b32 s18, 0
	v_mov_b32_e32 v23, v24
	.p2align	6
.LBB50_128:                             ; =>This Inner Loop Header: Depth=1
	s_clz_i32_u32 s19, s11
	s_delay_alu instid0(SALU_CYCLE_1) | instskip(NEXT) | instid1(SALU_CYCLE_1)
	s_min_u32 s19, s19, 32
	s_lshl_b64 s[20:21], s[10:11], s19
	s_sub_i32 s19, 32, s19
	s_min_u32 s20, s20, 1
	s_delay_alu instid0(SALU_CYCLE_1) | instskip(SKIP_3) | instid1(SALU_CYCLE_1)
	s_or_b32 s20, s21, s20
	s_add_u32 s10, s10, 2
	v_cvt_f32_u32_e32 v57, s20
	s_addc_u32 s11, s11, 0
	v_cmp_ge_u64_e32 vcc_lo, s[10:11], v[35:36]
	s_delay_alu instid0(VALU_DEP_2) | instskip(SKIP_1) | instid1(VALU_DEP_1)
	v_ldexp_f32 v57, v57, s19
	s_or_b32 s18, vcc_lo, s18
	v_dual_mul_f32 v57, v56, v57 :: v_dual_mov_b32 v56, v23
	s_delay_alu instid0(VALU_DEP_1)
	v_fma_f32 v23, v24, v23, -v57
	s_and_not1_b32 exec_lo, exec_lo, s18
	s_cbranch_execnz .LBB50_128
; %bb.129:
	s_or_b32 exec_lo, exec_lo, s18
.LBB50_130:
	s_delay_alu instid0(SALU_CYCLE_1)
	s_or_b32 exec_lo, exec_lo, s17
.LBB50_131:
	s_and_not1_saveexec_b32 s10, s16
; %bb.132:
	v_add_f32_e32 v23, v27, v27
; %bb.133:
	s_or_b32 exec_lo, exec_lo, s10
.LBB50_134:
	s_delay_alu instid0(SALU_CYCLE_1)
	s_or_b32 exec_lo, exec_lo, s14
.LBB50_135:
	s_delay_alu instid0(SALU_CYCLE_1) | instskip(SKIP_2) | instid1(VALU_DEP_1)
	s_or_b32 exec_lo, exec_lo, s13
	v_and_b32_e32 v24, 0xffff0000, v55
	s_mov_b32 s13, exec_lo
	v_trunc_f32_e32 v27, v24
	s_delay_alu instid0(VALU_DEP_1) | instskip(NEXT) | instid1(VALU_DEP_1)
	v_mul_f32_e64 v35, 0x2f800000, |v27|
	v_floor_f32_e32 v35, v35
	s_delay_alu instid0(VALU_DEP_1) | instskip(SKIP_2) | instid1(VALU_DEP_3)
	v_fma_f32 v36, 0xcf800000, v35, |v27|
	v_ashrrev_i32_e32 v27, 31, v27
	v_cvt_u32_f32_e32 v35, v35
	v_cvt_u32_f32_e32 v36, v36
	s_delay_alu instid0(VALU_DEP_2) | instskip(NEXT) | instid1(VALU_DEP_2)
	v_xor_b32_e32 v35, v35, v27
	v_xor_b32_e32 v36, v36, v27
	s_delay_alu instid0(VALU_DEP_1) | instskip(NEXT) | instid1(VALU_DEP_3)
	v_sub_co_u32 v55, vcc_lo, v36, v27
	v_sub_co_ci_u32_e32 v27, vcc_lo, v35, v27, vcc_lo
	v_cmp_class_f32_e64 vcc_lo, v24, 0x1f8
	v_mov_b32_e32 v24, 0
	s_delay_alu instid0(VALU_DEP_3) | instskip(SKIP_1) | instid1(VALU_DEP_1)
	v_cndmask_b32_e32 v36, -1, v27, vcc_lo
	v_cndmask_b32_e32 v35, -1, v55, vcc_lo
	v_cmpx_lt_i64_e32 -1, v[35:36]
	s_cbranch_execz .LBB50_147
; %bb.136:
	v_mov_b32_e32 v24, 1.0
	s_mov_b32 s14, exec_lo
	v_cmpx_lt_i64_e32 0, v[35:36]
	s_cbranch_execz .LBB50_146
; %bb.137:
	s_mov_b32 s10, exec_lo
	v_cmpx_ne_u64_e32 1, v[35:36]
	s_xor_b32 s16, exec_lo, s10
	s_cbranch_execz .LBB50_143
; %bb.138:
	v_mov_b32_e32 v24, 0x7fc00000
	s_mov_b32 s17, exec_lo
	v_cmpx_gt_u64_e32 0x81, v[35:36]
	s_cbranch_execz .LBB50_142
; %bb.139:
	v_add_f32_e32 v55, v28, v28
	v_lshlrev_b64 v[27:28], 1, v[35:36]
	v_mov_b32_e32 v35, 1.0
	s_mov_b64 s[10:11], 2
	s_mov_b32 s18, 0
	v_mov_b32_e32 v24, v55
	.p2align	6
.LBB50_140:                             ; =>This Inner Loop Header: Depth=1
	s_clz_i32_u32 s19, s11
	s_delay_alu instid0(SALU_CYCLE_1) | instskip(NEXT) | instid1(SALU_CYCLE_1)
	s_min_u32 s19, s19, 32
	s_lshl_b64 s[20:21], s[10:11], s19
	s_sub_i32 s19, 32, s19
	s_min_u32 s20, s20, 1
	s_delay_alu instid0(SALU_CYCLE_1) | instskip(SKIP_3) | instid1(SALU_CYCLE_1)
	s_or_b32 s20, s21, s20
	s_add_u32 s10, s10, 2
	v_cvt_f32_u32_e32 v36, s20
	s_addc_u32 s11, s11, 0
	v_cmp_ge_u64_e32 vcc_lo, s[10:11], v[27:28]
	s_delay_alu instid0(VALU_DEP_2) | instskip(SKIP_1) | instid1(VALU_DEP_1)
	v_ldexp_f32 v36, v36, s19
	s_or_b32 s18, vcc_lo, s18
	v_dual_mul_f32 v36, v35, v36 :: v_dual_mov_b32 v35, v24
	s_delay_alu instid0(VALU_DEP_1)
	v_fma_f32 v24, v55, v24, -v36
	s_and_not1_b32 exec_lo, exec_lo, s18
	s_cbranch_execnz .LBB50_140
; %bb.141:
	s_or_b32 exec_lo, exec_lo, s18
.LBB50_142:
	s_delay_alu instid0(SALU_CYCLE_1)
	s_or_b32 exec_lo, exec_lo, s17
                                        ; implicit-def: $vgpr27_vgpr28
.LBB50_143:
	s_and_not1_saveexec_b32 s10, s16
; %bb.144:
	v_add_f32_e32 v24, v28, v28
; %bb.145:
	s_or_b32 exec_lo, exec_lo, s10
.LBB50_146:
	s_delay_alu instid0(SALU_CYCLE_1)
	s_or_b32 exec_lo, exec_lo, s14
.LBB50_147:
	s_delay_alu instid0(SALU_CYCLE_1) | instskip(SKIP_3) | instid1(VALU_DEP_1)
	s_or_b32 exec_lo, exec_lo, s13
	s_waitcnt vmcnt(9)
	v_lshlrev_b32_e32 v27, 16, v54
	s_mov_b32 s13, exec_lo
	v_trunc_f32_e32 v28, v27
	s_delay_alu instid0(VALU_DEP_1) | instskip(NEXT) | instid1(VALU_DEP_1)
	v_mul_f32_e64 v35, 0x2f800000, |v28|
	v_floor_f32_e32 v35, v35
	s_delay_alu instid0(VALU_DEP_1) | instskip(SKIP_2) | instid1(VALU_DEP_3)
	v_fma_f32 v36, 0xcf800000, v35, |v28|
	v_ashrrev_i32_e32 v28, 31, v28
	v_cvt_u32_f32_e32 v35, v35
	v_cvt_u32_f32_e32 v36, v36
	s_delay_alu instid0(VALU_DEP_2) | instskip(NEXT) | instid1(VALU_DEP_2)
	v_xor_b32_e32 v35, v35, v28
	v_xor_b32_e32 v36, v36, v28
	s_delay_alu instid0(VALU_DEP_1) | instskip(NEXT) | instid1(VALU_DEP_3)
	v_sub_co_u32 v55, vcc_lo, v36, v28
	v_sub_co_ci_u32_e32 v28, vcc_lo, v35, v28, vcc_lo
	v_cmp_class_f32_e64 vcc_lo, v27, 0x1f8
	s_delay_alu instid0(VALU_DEP_2) | instskip(NEXT) | instid1(VALU_DEP_4)
	v_dual_mov_b32 v27, 0 :: v_dual_cndmask_b32 v36, -1, v28
	v_cndmask_b32_e32 v35, -1, v55, vcc_lo
	s_delay_alu instid0(VALU_DEP_1)
	v_cmpx_lt_i64_e32 -1, v[35:36]
	s_cbranch_execz .LBB50_159
; %bb.148:
	v_mov_b32_e32 v27, 1.0
	s_mov_b32 s14, exec_lo
	v_cmpx_lt_i64_e32 0, v[35:36]
	s_cbranch_execz .LBB50_158
; %bb.149:
                                        ; implicit-def: $vgpr27
	s_mov_b32 s10, exec_lo
	v_cmpx_ne_u64_e32 1, v[35:36]
	s_xor_b32 s16, exec_lo, s10
	s_cbranch_execz .LBB50_155
; %bb.150:
	v_mov_b32_e32 v27, 0x7fc00000
	s_mov_b32 s17, exec_lo
	v_cmpx_gt_u64_e32 0x81, v[35:36]
	s_cbranch_execz .LBB50_154
; %bb.151:
	v_dual_add_f32 v28, v31, v31 :: v_dual_mov_b32 v55, 1.0
	v_lshlrev_b64 v[35:36], 1, v[35:36]
	s_mov_b64 s[10:11], 2
	s_mov_b32 s18, 0
	s_delay_alu instid0(VALU_DEP_2)
	v_mov_b32_e32 v27, v28
	.p2align	6
.LBB50_152:                             ; =>This Inner Loop Header: Depth=1
	s_clz_i32_u32 s19, s11
	s_delay_alu instid0(SALU_CYCLE_1) | instskip(NEXT) | instid1(SALU_CYCLE_1)
	s_min_u32 s19, s19, 32
	s_lshl_b64 s[20:21], s[10:11], s19
	s_sub_i32 s19, 32, s19
	s_min_u32 s20, s20, 1
	s_delay_alu instid0(SALU_CYCLE_1) | instskip(SKIP_3) | instid1(SALU_CYCLE_1)
	s_or_b32 s20, s21, s20
	s_add_u32 s10, s10, 2
	v_cvt_f32_u32_e32 v56, s20
	s_addc_u32 s11, s11, 0
	v_cmp_ge_u64_e32 vcc_lo, s[10:11], v[35:36]
	s_delay_alu instid0(VALU_DEP_2) | instskip(SKIP_1) | instid1(VALU_DEP_1)
	v_ldexp_f32 v56, v56, s19
	s_or_b32 s18, vcc_lo, s18
	v_mul_f32_e32 v56, v55, v56
	v_mov_b32_e32 v55, v27
	s_delay_alu instid0(VALU_DEP_2)
	v_fma_f32 v27, v28, v27, -v56
	s_and_not1_b32 exec_lo, exec_lo, s18
	s_cbranch_execnz .LBB50_152
; %bb.153:
	s_or_b32 exec_lo, exec_lo, s18
.LBB50_154:
	s_delay_alu instid0(SALU_CYCLE_1)
	s_or_b32 exec_lo, exec_lo, s17
.LBB50_155:
	s_and_not1_saveexec_b32 s10, s16
; %bb.156:
	v_add_f32_e32 v27, v31, v31
; %bb.157:
	s_or_b32 exec_lo, exec_lo, s10
.LBB50_158:
	s_delay_alu instid0(SALU_CYCLE_1)
	s_or_b32 exec_lo, exec_lo, s14
.LBB50_159:
	s_delay_alu instid0(SALU_CYCLE_1) | instskip(SKIP_2) | instid1(VALU_DEP_1)
	s_or_b32 exec_lo, exec_lo, s13
	v_and_b32_e32 v28, 0xffff0000, v54
	s_mov_b32 s13, exec_lo
	v_trunc_f32_e32 v31, v28
	s_delay_alu instid0(VALU_DEP_1) | instskip(NEXT) | instid1(VALU_DEP_1)
	v_mul_f32_e64 v35, 0x2f800000, |v31|
	v_floor_f32_e32 v35, v35
	s_delay_alu instid0(VALU_DEP_1) | instskip(SKIP_2) | instid1(VALU_DEP_3)
	v_fma_f32 v36, 0xcf800000, v35, |v31|
	v_ashrrev_i32_e32 v31, 31, v31
	v_cvt_u32_f32_e32 v35, v35
	v_cvt_u32_f32_e32 v36, v36
	s_delay_alu instid0(VALU_DEP_2) | instskip(NEXT) | instid1(VALU_DEP_2)
	v_xor_b32_e32 v35, v35, v31
	v_xor_b32_e32 v36, v36, v31
	s_delay_alu instid0(VALU_DEP_1) | instskip(NEXT) | instid1(VALU_DEP_3)
	v_sub_co_u32 v54, vcc_lo, v36, v31
	v_sub_co_ci_u32_e32 v31, vcc_lo, v35, v31, vcc_lo
	v_cmp_class_f32_e64 vcc_lo, v28, 0x1f8
	v_mov_b32_e32 v28, 0
	s_delay_alu instid0(VALU_DEP_3) | instskip(NEXT) | instid1(VALU_DEP_1)
	v_dual_cndmask_b32 v36, -1, v31 :: v_dual_cndmask_b32 v35, -1, v54
	v_cmpx_lt_i64_e32 -1, v[35:36]
	s_cbranch_execz .LBB50_171
; %bb.160:
	v_mov_b32_e32 v28, 1.0
	s_mov_b32 s14, exec_lo
	v_cmpx_lt_i64_e32 0, v[35:36]
	s_cbranch_execz .LBB50_170
; %bb.161:
	s_mov_b32 s10, exec_lo
	v_cmpx_ne_u64_e32 1, v[35:36]
	s_xor_b32 s16, exec_lo, s10
	s_cbranch_execz .LBB50_167
; %bb.162:
	v_mov_b32_e32 v28, 0x7fc00000
	s_mov_b32 s17, exec_lo
	v_cmpx_gt_u64_e32 0x81, v[35:36]
	s_cbranch_execz .LBB50_166
; %bb.163:
	v_add_f32_e32 v54, v32, v32
	v_lshlrev_b64 v[31:32], 1, v[35:36]
	v_mov_b32_e32 v35, 1.0
	s_mov_b64 s[10:11], 2
	s_mov_b32 s18, 0
	v_mov_b32_e32 v28, v54
	.p2align	6
.LBB50_164:                             ; =>This Inner Loop Header: Depth=1
	s_clz_i32_u32 s19, s11
	s_delay_alu instid0(SALU_CYCLE_1) | instskip(NEXT) | instid1(SALU_CYCLE_1)
	s_min_u32 s19, s19, 32
	s_lshl_b64 s[20:21], s[10:11], s19
	s_sub_i32 s19, 32, s19
	s_min_u32 s20, s20, 1
	s_delay_alu instid0(SALU_CYCLE_1) | instskip(SKIP_3) | instid1(SALU_CYCLE_1)
	s_or_b32 s20, s21, s20
	s_add_u32 s10, s10, 2
	v_cvt_f32_u32_e32 v36, s20
	s_addc_u32 s11, s11, 0
	v_cmp_ge_u64_e32 vcc_lo, s[10:11], v[31:32]
	s_delay_alu instid0(VALU_DEP_2) | instskip(SKIP_1) | instid1(VALU_DEP_1)
	v_ldexp_f32 v36, v36, s19
	s_or_b32 s18, vcc_lo, s18
	v_dual_mul_f32 v36, v35, v36 :: v_dual_mov_b32 v35, v28
	s_delay_alu instid0(VALU_DEP_1)
	v_fma_f32 v28, v54, v28, -v36
	s_and_not1_b32 exec_lo, exec_lo, s18
	s_cbranch_execnz .LBB50_164
; %bb.165:
	s_or_b32 exec_lo, exec_lo, s18
.LBB50_166:
	s_delay_alu instid0(SALU_CYCLE_1)
	s_or_b32 exec_lo, exec_lo, s17
                                        ; implicit-def: $vgpr31_vgpr32
.LBB50_167:
	s_and_not1_saveexec_b32 s10, s16
; %bb.168:
	v_add_f32_e32 v28, v32, v32
; %bb.169:
	s_or_b32 exec_lo, exec_lo, s10
.LBB50_170:
	s_delay_alu instid0(SALU_CYCLE_1)
	s_or_b32 exec_lo, exec_lo, s14
.LBB50_171:
	s_delay_alu instid0(SALU_CYCLE_1) | instskip(SKIP_3) | instid1(VALU_DEP_1)
	s_or_b32 exec_lo, exec_lo, s13
	s_waitcnt vmcnt(8)
	v_lshlrev_b32_e32 v31, 16, v53
	s_mov_b32 s13, exec_lo
	v_trunc_f32_e32 v32, v31
	s_delay_alu instid0(VALU_DEP_1) | instskip(NEXT) | instid1(VALU_DEP_1)
	v_mul_f32_e64 v35, 0x2f800000, |v32|
	v_floor_f32_e32 v35, v35
	s_delay_alu instid0(VALU_DEP_1) | instskip(SKIP_2) | instid1(VALU_DEP_3)
	v_fma_f32 v36, 0xcf800000, v35, |v32|
	v_ashrrev_i32_e32 v32, 31, v32
	v_cvt_u32_f32_e32 v35, v35
	v_cvt_u32_f32_e32 v36, v36
	s_delay_alu instid0(VALU_DEP_2) | instskip(NEXT) | instid1(VALU_DEP_2)
	v_xor_b32_e32 v35, v35, v32
	v_xor_b32_e32 v36, v36, v32
	s_delay_alu instid0(VALU_DEP_1) | instskip(NEXT) | instid1(VALU_DEP_3)
	v_sub_co_u32 v54, vcc_lo, v36, v32
	v_sub_co_ci_u32_e32 v32, vcc_lo, v35, v32, vcc_lo
	v_cmp_class_f32_e64 vcc_lo, v31, 0x1f8
	s_delay_alu instid0(VALU_DEP_2) | instskip(NEXT) | instid1(VALU_DEP_4)
	v_dual_mov_b32 v31, 0 :: v_dual_cndmask_b32 v36, -1, v32
	v_cndmask_b32_e32 v35, -1, v54, vcc_lo
	s_delay_alu instid0(VALU_DEP_1)
	v_cmpx_lt_i64_e32 -1, v[35:36]
	s_cbranch_execz .LBB50_183
; %bb.172:
	v_mov_b32_e32 v31, 1.0
	s_mov_b32 s14, exec_lo
	v_cmpx_lt_i64_e32 0, v[35:36]
	s_cbranch_execz .LBB50_182
; %bb.173:
                                        ; implicit-def: $vgpr31
	s_mov_b32 s10, exec_lo
	v_cmpx_ne_u64_e32 1, v[35:36]
	s_xor_b32 s16, exec_lo, s10
	s_cbranch_execz .LBB50_179
; %bb.174:
	v_mov_b32_e32 v31, 0x7fc00000
	s_mov_b32 s17, exec_lo
	v_cmpx_gt_u64_e32 0x81, v[35:36]
	s_cbranch_execz .LBB50_178
; %bb.175:
	v_add_f32_e32 v32, v33, v33
	v_lshlrev_b64 v[35:36], 1, v[35:36]
	v_mov_b32_e32 v54, 1.0
	s_mov_b64 s[10:11], 2
	s_mov_b32 s18, 0
	v_mov_b32_e32 v31, v32
	.p2align	6
.LBB50_176:                             ; =>This Inner Loop Header: Depth=1
	s_clz_i32_u32 s19, s11
	s_delay_alu instid0(SALU_CYCLE_1) | instskip(NEXT) | instid1(SALU_CYCLE_1)
	s_min_u32 s19, s19, 32
	s_lshl_b64 s[20:21], s[10:11], s19
	s_sub_i32 s19, 32, s19
	s_min_u32 s20, s20, 1
	s_delay_alu instid0(SALU_CYCLE_1) | instskip(SKIP_3) | instid1(SALU_CYCLE_1)
	s_or_b32 s20, s21, s20
	s_add_u32 s10, s10, 2
	v_cvt_f32_u32_e32 v55, s20
	s_addc_u32 s11, s11, 0
	v_cmp_ge_u64_e32 vcc_lo, s[10:11], v[35:36]
	s_delay_alu instid0(VALU_DEP_2) | instskip(SKIP_1) | instid1(VALU_DEP_1)
	v_ldexp_f32 v55, v55, s19
	s_or_b32 s18, vcc_lo, s18
	v_dual_mul_f32 v55, v54, v55 :: v_dual_mov_b32 v54, v31
	s_delay_alu instid0(VALU_DEP_1)
	v_fma_f32 v31, v32, v31, -v55
	s_and_not1_b32 exec_lo, exec_lo, s18
	s_cbranch_execnz .LBB50_176
; %bb.177:
	s_or_b32 exec_lo, exec_lo, s18
.LBB50_178:
	s_delay_alu instid0(SALU_CYCLE_1)
	s_or_b32 exec_lo, exec_lo, s17
.LBB50_179:
	s_and_not1_saveexec_b32 s10, s16
; %bb.180:
	v_add_f32_e32 v31, v33, v33
; %bb.181:
	s_or_b32 exec_lo, exec_lo, s10
.LBB50_182:
	s_delay_alu instid0(SALU_CYCLE_1)
	s_or_b32 exec_lo, exec_lo, s14
.LBB50_183:
	s_delay_alu instid0(SALU_CYCLE_1) | instskip(SKIP_2) | instid1(VALU_DEP_1)
	s_or_b32 exec_lo, exec_lo, s13
	v_and_b32_e32 v32, 0xffff0000, v53
	s_mov_b32 s13, exec_lo
	v_trunc_f32_e32 v33, v32
	s_delay_alu instid0(VALU_DEP_1) | instskip(NEXT) | instid1(VALU_DEP_1)
	v_mul_f32_e64 v35, 0x2f800000, |v33|
	v_floor_f32_e32 v35, v35
	s_delay_alu instid0(VALU_DEP_1) | instskip(SKIP_2) | instid1(VALU_DEP_3)
	v_fma_f32 v36, 0xcf800000, v35, |v33|
	v_ashrrev_i32_e32 v33, 31, v33
	v_cvt_u32_f32_e32 v35, v35
	v_cvt_u32_f32_e32 v36, v36
	s_delay_alu instid0(VALU_DEP_2) | instskip(NEXT) | instid1(VALU_DEP_2)
	v_xor_b32_e32 v35, v35, v33
	v_xor_b32_e32 v36, v36, v33
	s_delay_alu instid0(VALU_DEP_1) | instskip(NEXT) | instid1(VALU_DEP_3)
	v_sub_co_u32 v53, vcc_lo, v36, v33
	v_sub_co_ci_u32_e32 v33, vcc_lo, v35, v33, vcc_lo
	v_cmp_class_f32_e64 vcc_lo, v32, 0x1f8
	v_mov_b32_e32 v32, 0
	s_delay_alu instid0(VALU_DEP_3) | instskip(SKIP_1) | instid1(VALU_DEP_1)
	v_cndmask_b32_e32 v36, -1, v33, vcc_lo
	v_cndmask_b32_e32 v35, -1, v53, vcc_lo
	v_cmpx_lt_i64_e32 -1, v[35:36]
	s_cbranch_execz .LBB50_195
; %bb.184:
	v_mov_b32_e32 v32, 1.0
	s_mov_b32 s14, exec_lo
	v_cmpx_lt_i64_e32 0, v[35:36]
	s_cbranch_execz .LBB50_194
; %bb.185:
	s_mov_b32 s10, exec_lo
	v_cmpx_ne_u64_e32 1, v[35:36]
	s_xor_b32 s16, exec_lo, s10
	s_cbranch_execz .LBB50_191
; %bb.186:
	v_mov_b32_e32 v32, 0x7fc00000
	s_mov_b32 s17, exec_lo
	v_cmpx_gt_u64_e32 0x81, v[35:36]
	s_cbranch_execz .LBB50_190
; %bb.187:
	v_add_f32_e32 v53, v34, v34
	v_lshlrev_b64 v[33:34], 1, v[35:36]
	v_mov_b32_e32 v35, 1.0
	s_mov_b64 s[10:11], 2
	s_mov_b32 s18, 0
	v_mov_b32_e32 v32, v53
	.p2align	6
.LBB50_188:                             ; =>This Inner Loop Header: Depth=1
	s_clz_i32_u32 s19, s11
	s_delay_alu instid0(SALU_CYCLE_1) | instskip(NEXT) | instid1(SALU_CYCLE_1)
	s_min_u32 s19, s19, 32
	s_lshl_b64 s[20:21], s[10:11], s19
	s_sub_i32 s19, 32, s19
	s_min_u32 s20, s20, 1
	s_delay_alu instid0(SALU_CYCLE_1) | instskip(SKIP_3) | instid1(SALU_CYCLE_1)
	s_or_b32 s20, s21, s20
	s_add_u32 s10, s10, 2
	v_cvt_f32_u32_e32 v36, s20
	s_addc_u32 s11, s11, 0
	v_cmp_ge_u64_e32 vcc_lo, s[10:11], v[33:34]
	s_delay_alu instid0(VALU_DEP_2) | instskip(SKIP_1) | instid1(VALU_DEP_1)
	v_ldexp_f32 v36, v36, s19
	s_or_b32 s18, vcc_lo, s18
	v_dual_mul_f32 v36, v35, v36 :: v_dual_mov_b32 v35, v32
	s_delay_alu instid0(VALU_DEP_1)
	v_fma_f32 v32, v53, v32, -v36
	s_and_not1_b32 exec_lo, exec_lo, s18
	s_cbranch_execnz .LBB50_188
; %bb.189:
	s_or_b32 exec_lo, exec_lo, s18
.LBB50_190:
	s_delay_alu instid0(SALU_CYCLE_1)
	s_or_b32 exec_lo, exec_lo, s17
                                        ; implicit-def: $vgpr33_vgpr34
.LBB50_191:
	s_and_not1_saveexec_b32 s10, s16
; %bb.192:
	v_add_f32_e32 v32, v34, v34
; %bb.193:
	s_or_b32 exec_lo, exec_lo, s10
.LBB50_194:
	s_delay_alu instid0(SALU_CYCLE_1)
	s_or_b32 exec_lo, exec_lo, s14
.LBB50_195:
	s_delay_alu instid0(SALU_CYCLE_1) | instskip(SKIP_3) | instid1(VALU_DEP_1)
	s_or_b32 exec_lo, exec_lo, s13
	s_waitcnt vmcnt(7)
	v_lshlrev_b32_e32 v33, 16, v52
	s_mov_b32 s13, exec_lo
	v_trunc_f32_e32 v34, v33
	s_delay_alu instid0(VALU_DEP_1) | instskip(NEXT) | instid1(VALU_DEP_1)
	v_mul_f32_e64 v35, 0x2f800000, |v34|
	v_floor_f32_e32 v35, v35
	s_delay_alu instid0(VALU_DEP_1) | instskip(SKIP_2) | instid1(VALU_DEP_3)
	v_fma_f32 v36, 0xcf800000, v35, |v34|
	v_ashrrev_i32_e32 v34, 31, v34
	v_cvt_u32_f32_e32 v35, v35
	v_cvt_u32_f32_e32 v36, v36
	s_delay_alu instid0(VALU_DEP_2) | instskip(NEXT) | instid1(VALU_DEP_2)
	v_xor_b32_e32 v35, v35, v34
	v_xor_b32_e32 v36, v36, v34
	s_delay_alu instid0(VALU_DEP_1) | instskip(NEXT) | instid1(VALU_DEP_3)
	v_sub_co_u32 v36, vcc_lo, v36, v34
	v_sub_co_ci_u32_e32 v34, vcc_lo, v35, v34, vcc_lo
	v_cmp_class_f32_e64 vcc_lo, v33, 0x1f8
	v_mov_b32_e32 v33, 0
	s_delay_alu instid0(VALU_DEP_3) | instskip(NEXT) | instid1(VALU_DEP_1)
	v_dual_cndmask_b32 v35, -1, v34 :: v_dual_cndmask_b32 v34, -1, v36
	v_cmpx_lt_i64_e32 -1, v[34:35]
	s_cbranch_execz .LBB50_207
; %bb.196:
	v_mov_b32_e32 v33, 1.0
	s_mov_b32 s14, exec_lo
	v_cmpx_lt_i64_e32 0, v[34:35]
	s_cbranch_execz .LBB50_206
; %bb.197:
                                        ; implicit-def: $vgpr33
	s_mov_b32 s10, exec_lo
	v_cmpx_ne_u64_e32 1, v[34:35]
	s_xor_b32 s16, exec_lo, s10
	s_cbranch_execz .LBB50_203
; %bb.198:
	v_mov_b32_e32 v33, 0x7fc00000
	s_mov_b32 s17, exec_lo
	v_cmpx_gt_u64_e32 0x81, v[34:35]
	s_cbranch_execz .LBB50_202
; %bb.199:
	v_dual_add_f32 v36, v29, v29 :: v_dual_mov_b32 v53, 1.0
	v_lshlrev_b64 v[34:35], 1, v[34:35]
	s_mov_b64 s[10:11], 2
	s_mov_b32 s18, 0
	s_delay_alu instid0(VALU_DEP_2)
	v_mov_b32_e32 v33, v36
	.p2align	6
.LBB50_200:                             ; =>This Inner Loop Header: Depth=1
	s_clz_i32_u32 s19, s11
	s_delay_alu instid0(SALU_CYCLE_1) | instskip(NEXT) | instid1(SALU_CYCLE_1)
	s_min_u32 s19, s19, 32
	s_lshl_b64 s[20:21], s[10:11], s19
	s_sub_i32 s19, 32, s19
	s_min_u32 s20, s20, 1
	s_delay_alu instid0(SALU_CYCLE_1) | instskip(SKIP_3) | instid1(SALU_CYCLE_1)
	s_or_b32 s20, s21, s20
	s_add_u32 s10, s10, 2
	v_cvt_f32_u32_e32 v54, s20
	s_addc_u32 s11, s11, 0
	v_cmp_ge_u64_e32 vcc_lo, s[10:11], v[34:35]
	s_delay_alu instid0(VALU_DEP_2) | instskip(SKIP_1) | instid1(VALU_DEP_1)
	v_ldexp_f32 v54, v54, s19
	s_or_b32 s18, vcc_lo, s18
	v_mul_f32_e32 v54, v53, v54
	v_mov_b32_e32 v53, v33
	s_delay_alu instid0(VALU_DEP_2)
	v_fma_f32 v33, v36, v33, -v54
	s_and_not1_b32 exec_lo, exec_lo, s18
	s_cbranch_execnz .LBB50_200
; %bb.201:
	s_or_b32 exec_lo, exec_lo, s18
.LBB50_202:
	s_delay_alu instid0(SALU_CYCLE_1)
	s_or_b32 exec_lo, exec_lo, s17
.LBB50_203:
	s_and_not1_saveexec_b32 s10, s16
; %bb.204:
	v_add_f32_e32 v33, v29, v29
; %bb.205:
	s_or_b32 exec_lo, exec_lo, s10
.LBB50_206:
	s_delay_alu instid0(SALU_CYCLE_1)
	s_or_b32 exec_lo, exec_lo, s14
.LBB50_207:
	s_delay_alu instid0(SALU_CYCLE_1) | instskip(SKIP_2) | instid1(VALU_DEP_1)
	s_or_b32 exec_lo, exec_lo, s13
	v_and_b32_e32 v29, 0xffff0000, v52
	s_mov_b32 s13, exec_lo
	v_trunc_f32_e32 v34, v29
	s_delay_alu instid0(VALU_DEP_1) | instskip(NEXT) | instid1(VALU_DEP_1)
	v_mul_f32_e64 v35, 0x2f800000, |v34|
	v_floor_f32_e32 v35, v35
	s_delay_alu instid0(VALU_DEP_1) | instskip(SKIP_2) | instid1(VALU_DEP_3)
	v_fma_f32 v36, 0xcf800000, v35, |v34|
	v_ashrrev_i32_e32 v34, 31, v34
	v_cvt_u32_f32_e32 v35, v35
	v_cvt_u32_f32_e32 v36, v36
	s_delay_alu instid0(VALU_DEP_2) | instskip(NEXT) | instid1(VALU_DEP_2)
	v_xor_b32_e32 v35, v35, v34
	v_xor_b32_e32 v36, v36, v34
	s_delay_alu instid0(VALU_DEP_1) | instskip(NEXT) | instid1(VALU_DEP_3)
	v_sub_co_u32 v52, vcc_lo, v36, v34
	v_sub_co_ci_u32_e32 v34, vcc_lo, v35, v34, vcc_lo
	v_cmp_class_f32_e64 vcc_lo, v29, 0x1f8
	s_delay_alu instid0(VALU_DEP_2) | instskip(SKIP_1) | instid1(VALU_DEP_2)
	v_dual_cndmask_b32 v36, -1, v34 :: v_dual_cndmask_b32 v35, -1, v52
	v_mov_b32_e32 v34, 0
	v_cmpx_lt_i64_e32 -1, v[35:36]
	s_cbranch_execz .LBB50_219
; %bb.208:
	v_mov_b32_e32 v34, 1.0
	s_mov_b32 s14, exec_lo
	v_cmpx_lt_i64_e32 0, v[35:36]
	s_cbranch_execz .LBB50_218
; %bb.209:
	s_mov_b32 s10, exec_lo
	v_cmpx_ne_u64_e32 1, v[35:36]
	s_xor_b32 s16, exec_lo, s10
	s_cbranch_execz .LBB50_215
; %bb.210:
	v_mov_b32_e32 v34, 0x7fc00000
	s_mov_b32 s17, exec_lo
	v_cmpx_gt_u64_e32 0x81, v[35:36]
	s_cbranch_execz .LBB50_214
; %bb.211:
	v_add_f32_e32 v52, v30, v30
	v_lshlrev_b64 v[29:30], 1, v[35:36]
	v_mov_b32_e32 v35, 1.0
	s_mov_b64 s[10:11], 2
	s_mov_b32 s18, 0
	v_mov_b32_e32 v34, v52
	.p2align	6
.LBB50_212:                             ; =>This Inner Loop Header: Depth=1
	s_clz_i32_u32 s19, s11
	s_delay_alu instid0(SALU_CYCLE_1) | instskip(NEXT) | instid1(SALU_CYCLE_1)
	s_min_u32 s19, s19, 32
	s_lshl_b64 s[20:21], s[10:11], s19
	s_sub_i32 s19, 32, s19
	s_min_u32 s20, s20, 1
	s_delay_alu instid0(SALU_CYCLE_1) | instskip(SKIP_3) | instid1(SALU_CYCLE_1)
	s_or_b32 s20, s21, s20
	s_add_u32 s10, s10, 2
	v_cvt_f32_u32_e32 v36, s20
	s_addc_u32 s11, s11, 0
	v_cmp_ge_u64_e32 vcc_lo, s[10:11], v[29:30]
	s_delay_alu instid0(VALU_DEP_2) | instskip(SKIP_1) | instid1(VALU_DEP_1)
	v_ldexp_f32 v36, v36, s19
	s_or_b32 s18, vcc_lo, s18
	v_dual_mul_f32 v36, v35, v36 :: v_dual_mov_b32 v35, v34
	s_delay_alu instid0(VALU_DEP_1)
	v_fma_f32 v34, v52, v34, -v36
	s_and_not1_b32 exec_lo, exec_lo, s18
	s_cbranch_execnz .LBB50_212
; %bb.213:
	s_or_b32 exec_lo, exec_lo, s18
.LBB50_214:
	s_delay_alu instid0(SALU_CYCLE_1)
	s_or_b32 exec_lo, exec_lo, s17
                                        ; implicit-def: $vgpr29_vgpr30
.LBB50_215:
	s_and_not1_saveexec_b32 s10, s16
; %bb.216:
	v_add_f32_e32 v34, v30, v30
; %bb.217:
	s_or_b32 exec_lo, exec_lo, s10
.LBB50_218:
	s_delay_alu instid0(SALU_CYCLE_1)
	s_or_b32 exec_lo, exec_lo, s14
.LBB50_219:
	s_delay_alu instid0(SALU_CYCLE_1) | instskip(SKIP_3) | instid1(VALU_DEP_1)
	s_or_b32 exec_lo, exec_lo, s13
	s_waitcnt vmcnt(6)
	v_lshlrev_b32_e32 v29, 16, v51
	s_mov_b32 s13, exec_lo
	v_trunc_f32_e32 v30, v29
	s_delay_alu instid0(VALU_DEP_1) | instskip(NEXT) | instid1(VALU_DEP_1)
	v_mul_f32_e64 v35, 0x2f800000, |v30|
	v_floor_f32_e32 v35, v35
	s_delay_alu instid0(VALU_DEP_1) | instskip(SKIP_2) | instid1(VALU_DEP_3)
	v_fma_f32 v36, 0xcf800000, v35, |v30|
	v_ashrrev_i32_e32 v30, 31, v30
	v_cvt_u32_f32_e32 v35, v35
	v_cvt_u32_f32_e32 v36, v36
	s_delay_alu instid0(VALU_DEP_2) | instskip(NEXT) | instid1(VALU_DEP_2)
	v_xor_b32_e32 v35, v35, v30
	v_xor_b32_e32 v36, v36, v30
	s_delay_alu instid0(VALU_DEP_1) | instskip(NEXT) | instid1(VALU_DEP_3)
	v_sub_co_u32 v52, vcc_lo, v36, v30
	v_sub_co_ci_u32_e32 v30, vcc_lo, v35, v30, vcc_lo
	v_cmp_class_f32_e64 vcc_lo, v29, 0x1f8
	s_delay_alu instid0(VALU_DEP_2) | instskip(NEXT) | instid1(VALU_DEP_4)
	v_dual_mov_b32 v29, 0 :: v_dual_cndmask_b32 v36, -1, v30
	v_cndmask_b32_e32 v35, -1, v52, vcc_lo
	s_delay_alu instid0(VALU_DEP_1)
	v_cmpx_lt_i64_e32 -1, v[35:36]
	s_cbranch_execz .LBB50_231
; %bb.220:
	v_mov_b32_e32 v29, 1.0
	s_mov_b32 s14, exec_lo
	v_cmpx_lt_i64_e32 0, v[35:36]
	s_cbranch_execz .LBB50_230
; %bb.221:
                                        ; implicit-def: $vgpr29
	s_mov_b32 s10, exec_lo
	v_cmpx_ne_u64_e32 1, v[35:36]
	s_xor_b32 s16, exec_lo, s10
	s_cbranch_execz .LBB50_227
; %bb.222:
	v_mov_b32_e32 v29, 0x7fc00000
	s_mov_b32 s17, exec_lo
	v_cmpx_gt_u64_e32 0x81, v[35:36]
	s_cbranch_execz .LBB50_226
; %bb.223:
	v_add_f32_e32 v30, v25, v25
	v_lshlrev_b64 v[35:36], 1, v[35:36]
	v_mov_b32_e32 v52, 1.0
	s_mov_b64 s[10:11], 2
	s_mov_b32 s18, 0
	v_mov_b32_e32 v29, v30
	.p2align	6
.LBB50_224:                             ; =>This Inner Loop Header: Depth=1
	s_clz_i32_u32 s19, s11
	s_delay_alu instid0(SALU_CYCLE_1) | instskip(NEXT) | instid1(SALU_CYCLE_1)
	s_min_u32 s19, s19, 32
	s_lshl_b64 s[20:21], s[10:11], s19
	s_sub_i32 s19, 32, s19
	s_min_u32 s20, s20, 1
	s_delay_alu instid0(SALU_CYCLE_1) | instskip(SKIP_3) | instid1(SALU_CYCLE_1)
	s_or_b32 s20, s21, s20
	s_add_u32 s10, s10, 2
	v_cvt_f32_u32_e32 v53, s20
	s_addc_u32 s11, s11, 0
	v_cmp_ge_u64_e32 vcc_lo, s[10:11], v[35:36]
	s_delay_alu instid0(VALU_DEP_2) | instskip(SKIP_1) | instid1(VALU_DEP_1)
	v_ldexp_f32 v53, v53, s19
	s_or_b32 s18, vcc_lo, s18
	v_dual_mul_f32 v53, v52, v53 :: v_dual_mov_b32 v52, v29
	s_delay_alu instid0(VALU_DEP_1)
	v_fma_f32 v29, v30, v29, -v53
	s_and_not1_b32 exec_lo, exec_lo, s18
	s_cbranch_execnz .LBB50_224
; %bb.225:
	s_or_b32 exec_lo, exec_lo, s18
.LBB50_226:
	s_delay_alu instid0(SALU_CYCLE_1)
	s_or_b32 exec_lo, exec_lo, s17
.LBB50_227:
	s_and_not1_saveexec_b32 s10, s16
; %bb.228:
	v_add_f32_e32 v29, v25, v25
; %bb.229:
	s_or_b32 exec_lo, exec_lo, s10
.LBB50_230:
	s_delay_alu instid0(SALU_CYCLE_1)
	s_or_b32 exec_lo, exec_lo, s14
.LBB50_231:
	s_delay_alu instid0(SALU_CYCLE_1) | instskip(SKIP_2) | instid1(VALU_DEP_1)
	s_or_b32 exec_lo, exec_lo, s13
	v_and_b32_e32 v25, 0xffff0000, v51
	s_mov_b32 s13, exec_lo
	v_trunc_f32_e32 v30, v25
	s_delay_alu instid0(VALU_DEP_1) | instskip(NEXT) | instid1(VALU_DEP_1)
	v_mul_f32_e64 v35, 0x2f800000, |v30|
	v_floor_f32_e32 v35, v35
	s_delay_alu instid0(VALU_DEP_1) | instskip(SKIP_2) | instid1(VALU_DEP_3)
	v_fma_f32 v36, 0xcf800000, v35, |v30|
	v_ashrrev_i32_e32 v30, 31, v30
	v_cvt_u32_f32_e32 v35, v35
	v_cvt_u32_f32_e32 v36, v36
	s_delay_alu instid0(VALU_DEP_2) | instskip(NEXT) | instid1(VALU_DEP_2)
	v_xor_b32_e32 v35, v35, v30
	v_xor_b32_e32 v36, v36, v30
	s_delay_alu instid0(VALU_DEP_1) | instskip(NEXT) | instid1(VALU_DEP_3)
	v_sub_co_u32 v51, vcc_lo, v36, v30
	v_sub_co_ci_u32_e32 v30, vcc_lo, v35, v30, vcc_lo
	v_cmp_class_f32_e64 vcc_lo, v25, 0x1f8
	s_delay_alu instid0(VALU_DEP_2) | instskip(SKIP_1) | instid1(VALU_DEP_2)
	v_dual_cndmask_b32 v36, -1, v30 :: v_dual_cndmask_b32 v35, -1, v51
	v_mov_b32_e32 v30, 0
	v_cmpx_lt_i64_e32 -1, v[35:36]
	s_cbranch_execz .LBB50_243
; %bb.232:
	v_mov_b32_e32 v30, 1.0
	s_mov_b32 s14, exec_lo
	v_cmpx_lt_i64_e32 0, v[35:36]
	s_cbranch_execz .LBB50_242
; %bb.233:
	s_mov_b32 s10, exec_lo
	v_cmpx_ne_u64_e32 1, v[35:36]
	s_xor_b32 s16, exec_lo, s10
	s_cbranch_execz .LBB50_239
; %bb.234:
	v_mov_b32_e32 v30, 0x7fc00000
	s_mov_b32 s17, exec_lo
	v_cmpx_gt_u64_e32 0x81, v[35:36]
	s_cbranch_execz .LBB50_238
; %bb.235:
	v_add_f32_e32 v51, v26, v26
	v_lshlrev_b64 v[25:26], 1, v[35:36]
	v_mov_b32_e32 v35, 1.0
	s_mov_b64 s[10:11], 2
	s_mov_b32 s18, 0
	v_mov_b32_e32 v30, v51
	.p2align	6
.LBB50_236:                             ; =>This Inner Loop Header: Depth=1
	s_clz_i32_u32 s19, s11
	s_delay_alu instid0(SALU_CYCLE_1) | instskip(NEXT) | instid1(SALU_CYCLE_1)
	s_min_u32 s19, s19, 32
	s_lshl_b64 s[20:21], s[10:11], s19
	s_sub_i32 s19, 32, s19
	s_min_u32 s20, s20, 1
	s_delay_alu instid0(SALU_CYCLE_1) | instskip(SKIP_3) | instid1(SALU_CYCLE_1)
	s_or_b32 s20, s21, s20
	s_add_u32 s10, s10, 2
	v_cvt_f32_u32_e32 v36, s20
	s_addc_u32 s11, s11, 0
	v_cmp_ge_u64_e32 vcc_lo, s[10:11], v[25:26]
	s_delay_alu instid0(VALU_DEP_2) | instskip(SKIP_1) | instid1(VALU_DEP_1)
	v_ldexp_f32 v36, v36, s19
	s_or_b32 s18, vcc_lo, s18
	v_dual_mul_f32 v36, v35, v36 :: v_dual_mov_b32 v35, v30
	s_delay_alu instid0(VALU_DEP_1)
	v_fma_f32 v30, v51, v30, -v36
	s_and_not1_b32 exec_lo, exec_lo, s18
	s_cbranch_execnz .LBB50_236
; %bb.237:
	s_or_b32 exec_lo, exec_lo, s18
.LBB50_238:
	s_delay_alu instid0(SALU_CYCLE_1)
	s_or_b32 exec_lo, exec_lo, s17
                                        ; implicit-def: $vgpr25_vgpr26
.LBB50_239:
	s_and_not1_saveexec_b32 s10, s16
; %bb.240:
	v_add_f32_e32 v30, v26, v26
; %bb.241:
	s_or_b32 exec_lo, exec_lo, s10
.LBB50_242:
	s_delay_alu instid0(SALU_CYCLE_1)
	s_or_b32 exec_lo, exec_lo, s14
.LBB50_243:
	s_delay_alu instid0(SALU_CYCLE_1) | instskip(SKIP_3) | instid1(VALU_DEP_1)
	s_or_b32 exec_lo, exec_lo, s13
	s_waitcnt vmcnt(5)
	v_lshlrev_b32_e32 v25, 16, v50
	s_mov_b32 s13, exec_lo
	v_trunc_f32_e32 v26, v25
	s_delay_alu instid0(VALU_DEP_1) | instskip(NEXT) | instid1(VALU_DEP_1)
	v_mul_f32_e64 v35, 0x2f800000, |v26|
	v_floor_f32_e32 v35, v35
	s_delay_alu instid0(VALU_DEP_1) | instskip(SKIP_2) | instid1(VALU_DEP_3)
	v_fma_f32 v36, 0xcf800000, v35, |v26|
	v_ashrrev_i32_e32 v26, 31, v26
	v_cvt_u32_f32_e32 v35, v35
	v_cvt_u32_f32_e32 v36, v36
	s_delay_alu instid0(VALU_DEP_2) | instskip(NEXT) | instid1(VALU_DEP_2)
	v_xor_b32_e32 v35, v35, v26
	v_xor_b32_e32 v36, v36, v26
	s_delay_alu instid0(VALU_DEP_1) | instskip(NEXT) | instid1(VALU_DEP_3)
	v_sub_co_u32 v51, vcc_lo, v36, v26
	v_sub_co_ci_u32_e32 v26, vcc_lo, v35, v26, vcc_lo
	v_cmp_class_f32_e64 vcc_lo, v25, 0x1f8
	s_delay_alu instid0(VALU_DEP_2) | instskip(NEXT) | instid1(VALU_DEP_4)
	v_dual_mov_b32 v25, 0 :: v_dual_cndmask_b32 v36, -1, v26
	v_cndmask_b32_e32 v35, -1, v51, vcc_lo
	s_delay_alu instid0(VALU_DEP_1)
	v_cmpx_lt_i64_e32 -1, v[35:36]
	s_cbranch_execz .LBB50_255
; %bb.244:
	v_mov_b32_e32 v25, 1.0
	s_mov_b32 s14, exec_lo
	v_cmpx_lt_i64_e32 0, v[35:36]
	s_cbranch_execz .LBB50_254
; %bb.245:
                                        ; implicit-def: $vgpr25
	s_mov_b32 s10, exec_lo
	v_cmpx_ne_u64_e32 1, v[35:36]
	s_xor_b32 s16, exec_lo, s10
	s_cbranch_execz .LBB50_251
; %bb.246:
	v_mov_b32_e32 v25, 0x7fc00000
	s_mov_b32 s17, exec_lo
	v_cmpx_gt_u64_e32 0x81, v[35:36]
	s_cbranch_execz .LBB50_250
; %bb.247:
	v_dual_add_f32 v26, v21, v21 :: v_dual_mov_b32 v51, 1.0
	v_lshlrev_b64 v[35:36], 1, v[35:36]
	s_mov_b64 s[10:11], 2
	s_mov_b32 s18, 0
	s_delay_alu instid0(VALU_DEP_2)
	v_mov_b32_e32 v25, v26
	.p2align	6
.LBB50_248:                             ; =>This Inner Loop Header: Depth=1
	s_clz_i32_u32 s19, s11
	s_delay_alu instid0(SALU_CYCLE_1) | instskip(NEXT) | instid1(SALU_CYCLE_1)
	s_min_u32 s19, s19, 32
	s_lshl_b64 s[20:21], s[10:11], s19
	s_sub_i32 s19, 32, s19
	s_min_u32 s20, s20, 1
	s_delay_alu instid0(SALU_CYCLE_1) | instskip(SKIP_3) | instid1(SALU_CYCLE_1)
	s_or_b32 s20, s21, s20
	s_add_u32 s10, s10, 2
	v_cvt_f32_u32_e32 v52, s20
	s_addc_u32 s11, s11, 0
	v_cmp_ge_u64_e32 vcc_lo, s[10:11], v[35:36]
	s_delay_alu instid0(VALU_DEP_2) | instskip(SKIP_1) | instid1(VALU_DEP_1)
	v_ldexp_f32 v52, v52, s19
	s_or_b32 s18, vcc_lo, s18
	v_dual_mul_f32 v52, v51, v52 :: v_dual_mov_b32 v51, v25
	s_delay_alu instid0(VALU_DEP_1)
	v_fma_f32 v25, v26, v25, -v52
	s_and_not1_b32 exec_lo, exec_lo, s18
	s_cbranch_execnz .LBB50_248
; %bb.249:
	s_or_b32 exec_lo, exec_lo, s18
.LBB50_250:
	s_delay_alu instid0(SALU_CYCLE_1)
	s_or_b32 exec_lo, exec_lo, s17
.LBB50_251:
	s_and_not1_saveexec_b32 s10, s16
; %bb.252:
	v_add_f32_e32 v25, v21, v21
; %bb.253:
	s_or_b32 exec_lo, exec_lo, s10
.LBB50_254:
	s_delay_alu instid0(SALU_CYCLE_1)
	s_or_b32 exec_lo, exec_lo, s14
.LBB50_255:
	s_delay_alu instid0(SALU_CYCLE_1) | instskip(SKIP_2) | instid1(VALU_DEP_1)
	s_or_b32 exec_lo, exec_lo, s13
	v_and_b32_e32 v21, 0xffff0000, v50
	s_mov_b32 s13, exec_lo
	v_trunc_f32_e32 v26, v21
	s_delay_alu instid0(VALU_DEP_1) | instskip(NEXT) | instid1(VALU_DEP_1)
	v_mul_f32_e64 v35, 0x2f800000, |v26|
	v_floor_f32_e32 v35, v35
	s_delay_alu instid0(VALU_DEP_1) | instskip(SKIP_2) | instid1(VALU_DEP_3)
	v_fma_f32 v36, 0xcf800000, v35, |v26|
	v_ashrrev_i32_e32 v26, 31, v26
	v_cvt_u32_f32_e32 v35, v35
	v_cvt_u32_f32_e32 v36, v36
	s_delay_alu instid0(VALU_DEP_2) | instskip(NEXT) | instid1(VALU_DEP_2)
	v_xor_b32_e32 v35, v35, v26
	v_xor_b32_e32 v36, v36, v26
	s_delay_alu instid0(VALU_DEP_1) | instskip(NEXT) | instid1(VALU_DEP_3)
	v_sub_co_u32 v50, vcc_lo, v36, v26
	v_sub_co_ci_u32_e32 v26, vcc_lo, v35, v26, vcc_lo
	v_cmp_class_f32_e64 vcc_lo, v21, 0x1f8
	s_delay_alu instid0(VALU_DEP_2) | instskip(NEXT) | instid1(VALU_DEP_4)
	v_cndmask_b32_e32 v36, -1, v26, vcc_lo
	v_dual_mov_b32 v26, 0 :: v_dual_cndmask_b32 v35, -1, v50
	s_delay_alu instid0(VALU_DEP_1)
	v_cmpx_lt_i64_e32 -1, v[35:36]
	s_cbranch_execz .LBB50_267
; %bb.256:
	v_mov_b32_e32 v26, 1.0
	s_mov_b32 s14, exec_lo
	v_cmpx_lt_i64_e32 0, v[35:36]
	s_cbranch_execz .LBB50_266
; %bb.257:
	s_mov_b32 s10, exec_lo
	v_cmpx_ne_u64_e32 1, v[35:36]
	s_xor_b32 s16, exec_lo, s10
	s_cbranch_execz .LBB50_263
; %bb.258:
	v_mov_b32_e32 v26, 0x7fc00000
	s_mov_b32 s17, exec_lo
	v_cmpx_gt_u64_e32 0x81, v[35:36]
	s_cbranch_execz .LBB50_262
; %bb.259:
	v_add_f32_e32 v50, v22, v22
	v_lshlrev_b64 v[21:22], 1, v[35:36]
	v_mov_b32_e32 v35, 1.0
	s_mov_b64 s[10:11], 2
	s_mov_b32 s18, 0
	v_mov_b32_e32 v26, v50
	.p2align	6
.LBB50_260:                             ; =>This Inner Loop Header: Depth=1
	s_clz_i32_u32 s19, s11
	s_delay_alu instid0(SALU_CYCLE_1) | instskip(NEXT) | instid1(SALU_CYCLE_1)
	s_min_u32 s19, s19, 32
	s_lshl_b64 s[20:21], s[10:11], s19
	s_sub_i32 s19, 32, s19
	s_min_u32 s20, s20, 1
	s_delay_alu instid0(SALU_CYCLE_1) | instskip(SKIP_3) | instid1(SALU_CYCLE_1)
	s_or_b32 s20, s21, s20
	s_add_u32 s10, s10, 2
	v_cvt_f32_u32_e32 v36, s20
	s_addc_u32 s11, s11, 0
	v_cmp_ge_u64_e32 vcc_lo, s[10:11], v[21:22]
	s_delay_alu instid0(VALU_DEP_2) | instskip(SKIP_1) | instid1(VALU_DEP_1)
	v_ldexp_f32 v36, v36, s19
	s_or_b32 s18, vcc_lo, s18
	v_dual_mul_f32 v36, v35, v36 :: v_dual_mov_b32 v35, v26
	s_delay_alu instid0(VALU_DEP_1)
	v_fma_f32 v26, v50, v26, -v36
	s_and_not1_b32 exec_lo, exec_lo, s18
	s_cbranch_execnz .LBB50_260
; %bb.261:
	s_or_b32 exec_lo, exec_lo, s18
.LBB50_262:
	s_delay_alu instid0(SALU_CYCLE_1)
	s_or_b32 exec_lo, exec_lo, s17
                                        ; implicit-def: $vgpr21_vgpr22
.LBB50_263:
	s_and_not1_saveexec_b32 s10, s16
; %bb.264:
	v_add_f32_e32 v26, v22, v22
; %bb.265:
	s_or_b32 exec_lo, exec_lo, s10
.LBB50_266:
	s_delay_alu instid0(SALU_CYCLE_1)
	s_or_b32 exec_lo, exec_lo, s14
.LBB50_267:
	s_delay_alu instid0(SALU_CYCLE_1) | instskip(SKIP_3) | instid1(VALU_DEP_1)
	s_or_b32 exec_lo, exec_lo, s13
	s_waitcnt vmcnt(4)
	v_lshlrev_b32_e32 v21, 16, v49
	s_mov_b32 s13, exec_lo
	v_trunc_f32_e32 v22, v21
	s_delay_alu instid0(VALU_DEP_1) | instskip(NEXT) | instid1(VALU_DEP_1)
	v_mul_f32_e64 v35, 0x2f800000, |v22|
	v_floor_f32_e32 v35, v35
	s_delay_alu instid0(VALU_DEP_1) | instskip(SKIP_2) | instid1(VALU_DEP_3)
	v_fma_f32 v36, 0xcf800000, v35, |v22|
	v_ashrrev_i32_e32 v22, 31, v22
	v_cvt_u32_f32_e32 v35, v35
	v_cvt_u32_f32_e32 v36, v36
	s_delay_alu instid0(VALU_DEP_2) | instskip(NEXT) | instid1(VALU_DEP_2)
	v_xor_b32_e32 v35, v35, v22
	v_xor_b32_e32 v36, v36, v22
	s_delay_alu instid0(VALU_DEP_1) | instskip(NEXT) | instid1(VALU_DEP_3)
	v_sub_co_u32 v50, vcc_lo, v36, v22
	v_sub_co_ci_u32_e32 v22, vcc_lo, v35, v22, vcc_lo
	v_cmp_class_f32_e64 vcc_lo, v21, 0x1f8
	s_delay_alu instid0(VALU_DEP_2) | instskip(NEXT) | instid1(VALU_DEP_4)
	v_dual_mov_b32 v21, 0 :: v_dual_cndmask_b32 v36, -1, v22
	v_cndmask_b32_e32 v35, -1, v50, vcc_lo
	s_delay_alu instid0(VALU_DEP_1)
	v_cmpx_lt_i64_e32 -1, v[35:36]
	s_cbranch_execz .LBB50_279
; %bb.268:
	v_mov_b32_e32 v21, 1.0
	s_mov_b32 s14, exec_lo
	v_cmpx_lt_i64_e32 0, v[35:36]
	s_cbranch_execz .LBB50_278
; %bb.269:
                                        ; implicit-def: $vgpr21
	s_mov_b32 s10, exec_lo
	v_cmpx_ne_u64_e32 1, v[35:36]
	s_xor_b32 s16, exec_lo, s10
	s_cbranch_execz .LBB50_275
; %bb.270:
	v_mov_b32_e32 v21, 0x7fc00000
	s_mov_b32 s17, exec_lo
	v_cmpx_gt_u64_e32 0x81, v[35:36]
	s_cbranch_execz .LBB50_274
; %bb.271:
	v_add_f32_e32 v22, v17, v17
	v_lshlrev_b64 v[35:36], 1, v[35:36]
	v_mov_b32_e32 v50, 1.0
	s_mov_b64 s[10:11], 2
	s_mov_b32 s18, 0
	v_mov_b32_e32 v21, v22
	.p2align	6
.LBB50_272:                             ; =>This Inner Loop Header: Depth=1
	s_clz_i32_u32 s19, s11
	s_delay_alu instid0(SALU_CYCLE_1) | instskip(NEXT) | instid1(SALU_CYCLE_1)
	s_min_u32 s19, s19, 32
	s_lshl_b64 s[20:21], s[10:11], s19
	s_sub_i32 s19, 32, s19
	s_min_u32 s20, s20, 1
	s_delay_alu instid0(SALU_CYCLE_1) | instskip(SKIP_3) | instid1(SALU_CYCLE_1)
	s_or_b32 s20, s21, s20
	s_add_u32 s10, s10, 2
	v_cvt_f32_u32_e32 v51, s20
	s_addc_u32 s11, s11, 0
	v_cmp_ge_u64_e32 vcc_lo, s[10:11], v[35:36]
	s_delay_alu instid0(VALU_DEP_2) | instskip(SKIP_1) | instid1(VALU_DEP_1)
	v_ldexp_f32 v51, v51, s19
	s_or_b32 s18, vcc_lo, s18
	v_dual_mul_f32 v51, v50, v51 :: v_dual_mov_b32 v50, v21
	s_delay_alu instid0(VALU_DEP_1)
	v_fma_f32 v21, v22, v21, -v51
	s_and_not1_b32 exec_lo, exec_lo, s18
	s_cbranch_execnz .LBB50_272
; %bb.273:
	s_or_b32 exec_lo, exec_lo, s18
.LBB50_274:
	s_delay_alu instid0(SALU_CYCLE_1)
	s_or_b32 exec_lo, exec_lo, s17
.LBB50_275:
	s_and_not1_saveexec_b32 s10, s16
; %bb.276:
	v_add_f32_e32 v21, v17, v17
; %bb.277:
	s_or_b32 exec_lo, exec_lo, s10
.LBB50_278:
	s_delay_alu instid0(SALU_CYCLE_1)
	s_or_b32 exec_lo, exec_lo, s14
.LBB50_279:
	s_delay_alu instid0(SALU_CYCLE_1) | instskip(SKIP_2) | instid1(VALU_DEP_1)
	s_or_b32 exec_lo, exec_lo, s13
	v_and_b32_e32 v17, 0xffff0000, v49
	s_mov_b32 s13, exec_lo
	v_trunc_f32_e32 v22, v17
	s_delay_alu instid0(VALU_DEP_1) | instskip(NEXT) | instid1(VALU_DEP_1)
	v_mul_f32_e64 v35, 0x2f800000, |v22|
	v_floor_f32_e32 v35, v35
	s_delay_alu instid0(VALU_DEP_1) | instskip(SKIP_2) | instid1(VALU_DEP_3)
	v_fma_f32 v36, 0xcf800000, v35, |v22|
	v_ashrrev_i32_e32 v22, 31, v22
	v_cvt_u32_f32_e32 v35, v35
	v_cvt_u32_f32_e32 v36, v36
	s_delay_alu instid0(VALU_DEP_2) | instskip(NEXT) | instid1(VALU_DEP_2)
	v_xor_b32_e32 v35, v35, v22
	v_xor_b32_e32 v36, v36, v22
	s_delay_alu instid0(VALU_DEP_1) | instskip(NEXT) | instid1(VALU_DEP_3)
	v_sub_co_u32 v49, vcc_lo, v36, v22
	v_sub_co_ci_u32_e32 v22, vcc_lo, v35, v22, vcc_lo
	v_cmp_class_f32_e64 vcc_lo, v17, 0x1f8
	s_delay_alu instid0(VALU_DEP_2) | instskip(SKIP_1) | instid1(VALU_DEP_2)
	v_dual_cndmask_b32 v36, -1, v22 :: v_dual_cndmask_b32 v35, -1, v49
	v_mov_b32_e32 v22, 0
	v_cmpx_lt_i64_e32 -1, v[35:36]
	s_cbranch_execz .LBB50_291
; %bb.280:
	v_mov_b32_e32 v22, 1.0
	s_mov_b32 s14, exec_lo
	v_cmpx_lt_i64_e32 0, v[35:36]
	s_cbranch_execz .LBB50_290
; %bb.281:
	s_mov_b32 s10, exec_lo
	v_cmpx_ne_u64_e32 1, v[35:36]
	s_xor_b32 s16, exec_lo, s10
	s_cbranch_execz .LBB50_287
; %bb.282:
	v_mov_b32_e32 v22, 0x7fc00000
	s_mov_b32 s17, exec_lo
	v_cmpx_gt_u64_e32 0x81, v[35:36]
	s_cbranch_execz .LBB50_286
; %bb.283:
	v_add_f32_e32 v49, v18, v18
	v_lshlrev_b64 v[17:18], 1, v[35:36]
	v_mov_b32_e32 v35, 1.0
	s_mov_b64 s[10:11], 2
	s_mov_b32 s18, 0
	v_mov_b32_e32 v22, v49
	.p2align	6
.LBB50_284:                             ; =>This Inner Loop Header: Depth=1
	s_clz_i32_u32 s19, s11
	s_delay_alu instid0(SALU_CYCLE_1) | instskip(NEXT) | instid1(SALU_CYCLE_1)
	s_min_u32 s19, s19, 32
	s_lshl_b64 s[20:21], s[10:11], s19
	s_sub_i32 s19, 32, s19
	s_min_u32 s20, s20, 1
	s_delay_alu instid0(SALU_CYCLE_1) | instskip(SKIP_3) | instid1(SALU_CYCLE_1)
	s_or_b32 s20, s21, s20
	s_add_u32 s10, s10, 2
	v_cvt_f32_u32_e32 v36, s20
	s_addc_u32 s11, s11, 0
	v_cmp_ge_u64_e32 vcc_lo, s[10:11], v[17:18]
	s_delay_alu instid0(VALU_DEP_2) | instskip(SKIP_1) | instid1(VALU_DEP_1)
	v_ldexp_f32 v36, v36, s19
	s_or_b32 s18, vcc_lo, s18
	v_dual_mul_f32 v36, v35, v36 :: v_dual_mov_b32 v35, v22
	s_delay_alu instid0(VALU_DEP_1)
	v_fma_f32 v22, v49, v22, -v36
	s_and_not1_b32 exec_lo, exec_lo, s18
	s_cbranch_execnz .LBB50_284
; %bb.285:
	s_or_b32 exec_lo, exec_lo, s18
.LBB50_286:
	s_delay_alu instid0(SALU_CYCLE_1)
	s_or_b32 exec_lo, exec_lo, s17
                                        ; implicit-def: $vgpr17_vgpr18
.LBB50_287:
	s_and_not1_saveexec_b32 s10, s16
; %bb.288:
	v_add_f32_e32 v22, v18, v18
; %bb.289:
	s_or_b32 exec_lo, exec_lo, s10
.LBB50_290:
	s_delay_alu instid0(SALU_CYCLE_1)
	s_or_b32 exec_lo, exec_lo, s14
.LBB50_291:
	s_delay_alu instid0(SALU_CYCLE_1) | instskip(SKIP_3) | instid1(VALU_DEP_1)
	s_or_b32 exec_lo, exec_lo, s13
	s_waitcnt vmcnt(3)
	v_lshlrev_b32_e32 v17, 16, v48
	s_mov_b32 s13, exec_lo
	v_trunc_f32_e32 v18, v17
	s_delay_alu instid0(VALU_DEP_1) | instskip(NEXT) | instid1(VALU_DEP_1)
	v_mul_f32_e64 v35, 0x2f800000, |v18|
	v_floor_f32_e32 v35, v35
	s_delay_alu instid0(VALU_DEP_1) | instskip(SKIP_2) | instid1(VALU_DEP_3)
	v_fma_f32 v36, 0xcf800000, v35, |v18|
	v_ashrrev_i32_e32 v18, 31, v18
	v_cvt_u32_f32_e32 v35, v35
	v_cvt_u32_f32_e32 v36, v36
	s_delay_alu instid0(VALU_DEP_2) | instskip(NEXT) | instid1(VALU_DEP_2)
	v_xor_b32_e32 v35, v35, v18
	v_xor_b32_e32 v36, v36, v18
	s_delay_alu instid0(VALU_DEP_1) | instskip(NEXT) | instid1(VALU_DEP_3)
	v_sub_co_u32 v49, vcc_lo, v36, v18
	v_sub_co_ci_u32_e32 v18, vcc_lo, v35, v18, vcc_lo
	v_cmp_class_f32_e64 vcc_lo, v17, 0x1f8
	s_delay_alu instid0(VALU_DEP_2) | instskip(NEXT) | instid1(VALU_DEP_4)
	v_dual_mov_b32 v17, 0 :: v_dual_cndmask_b32 v36, -1, v18
	v_cndmask_b32_e32 v35, -1, v49, vcc_lo
	s_delay_alu instid0(VALU_DEP_1)
	v_cmpx_lt_i64_e32 -1, v[35:36]
	s_cbranch_execz .LBB50_303
; %bb.292:
	v_mov_b32_e32 v17, 1.0
	s_mov_b32 s14, exec_lo
	v_cmpx_lt_i64_e32 0, v[35:36]
	s_cbranch_execz .LBB50_302
; %bb.293:
                                        ; implicit-def: $vgpr17
	s_mov_b32 s10, exec_lo
	v_cmpx_ne_u64_e32 1, v[35:36]
	s_xor_b32 s16, exec_lo, s10
	s_cbranch_execz .LBB50_299
; %bb.294:
	v_mov_b32_e32 v17, 0x7fc00000
	s_mov_b32 s17, exec_lo
	v_cmpx_gt_u64_e32 0x81, v[35:36]
	s_cbranch_execz .LBB50_298
; %bb.295:
	v_dual_add_f32 v18, v13, v13 :: v_dual_mov_b32 v49, 1.0
	v_lshlrev_b64 v[35:36], 1, v[35:36]
	s_mov_b64 s[10:11], 2
	s_mov_b32 s18, 0
	s_delay_alu instid0(VALU_DEP_2)
	v_mov_b32_e32 v17, v18
	.p2align	6
.LBB50_296:                             ; =>This Inner Loop Header: Depth=1
	s_clz_i32_u32 s19, s11
	s_delay_alu instid0(SALU_CYCLE_1) | instskip(NEXT) | instid1(SALU_CYCLE_1)
	s_min_u32 s19, s19, 32
	s_lshl_b64 s[20:21], s[10:11], s19
	s_sub_i32 s19, 32, s19
	s_min_u32 s20, s20, 1
	s_delay_alu instid0(SALU_CYCLE_1) | instskip(SKIP_3) | instid1(SALU_CYCLE_1)
	s_or_b32 s20, s21, s20
	s_add_u32 s10, s10, 2
	v_cvt_f32_u32_e32 v50, s20
	s_addc_u32 s11, s11, 0
	v_cmp_ge_u64_e32 vcc_lo, s[10:11], v[35:36]
	s_delay_alu instid0(VALU_DEP_2) | instskip(SKIP_1) | instid1(VALU_DEP_1)
	v_ldexp_f32 v50, v50, s19
	s_or_b32 s18, vcc_lo, s18
	v_mul_f32_e32 v50, v49, v50
	v_mov_b32_e32 v49, v17
	s_delay_alu instid0(VALU_DEP_2)
	v_fma_f32 v17, v18, v17, -v50
	s_and_not1_b32 exec_lo, exec_lo, s18
	s_cbranch_execnz .LBB50_296
; %bb.297:
	s_or_b32 exec_lo, exec_lo, s18
.LBB50_298:
	s_delay_alu instid0(SALU_CYCLE_1)
	s_or_b32 exec_lo, exec_lo, s17
.LBB50_299:
	s_and_not1_saveexec_b32 s10, s16
; %bb.300:
	v_add_f32_e32 v17, v13, v13
; %bb.301:
	s_or_b32 exec_lo, exec_lo, s10
.LBB50_302:
	s_delay_alu instid0(SALU_CYCLE_1)
	s_or_b32 exec_lo, exec_lo, s14
.LBB50_303:
	s_delay_alu instid0(SALU_CYCLE_1) | instskip(SKIP_2) | instid1(VALU_DEP_1)
	s_or_b32 exec_lo, exec_lo, s13
	v_and_b32_e32 v13, 0xffff0000, v48
	s_mov_b32 s13, exec_lo
	v_trunc_f32_e32 v18, v13
	s_delay_alu instid0(VALU_DEP_1) | instskip(NEXT) | instid1(VALU_DEP_1)
	v_mul_f32_e64 v35, 0x2f800000, |v18|
	v_floor_f32_e32 v35, v35
	s_delay_alu instid0(VALU_DEP_1) | instskip(SKIP_2) | instid1(VALU_DEP_3)
	v_fma_f32 v36, 0xcf800000, v35, |v18|
	v_ashrrev_i32_e32 v18, 31, v18
	v_cvt_u32_f32_e32 v35, v35
	v_cvt_u32_f32_e32 v36, v36
	s_delay_alu instid0(VALU_DEP_2) | instskip(NEXT) | instid1(VALU_DEP_2)
	v_xor_b32_e32 v35, v35, v18
	v_xor_b32_e32 v36, v36, v18
	s_delay_alu instid0(VALU_DEP_1) | instskip(NEXT) | instid1(VALU_DEP_3)
	v_sub_co_u32 v48, vcc_lo, v36, v18
	v_sub_co_ci_u32_e32 v18, vcc_lo, v35, v18, vcc_lo
	v_cmp_class_f32_e64 vcc_lo, v13, 0x1f8
	s_delay_alu instid0(VALU_DEP_2) | instskip(SKIP_1) | instid1(VALU_DEP_2)
	v_dual_cndmask_b32 v36, -1, v18 :: v_dual_cndmask_b32 v35, -1, v48
	v_mov_b32_e32 v18, 0
	v_cmpx_lt_i64_e32 -1, v[35:36]
	s_cbranch_execz .LBB50_315
; %bb.304:
	v_mov_b32_e32 v18, 1.0
	s_mov_b32 s14, exec_lo
	v_cmpx_lt_i64_e32 0, v[35:36]
	s_cbranch_execz .LBB50_314
; %bb.305:
	s_mov_b32 s10, exec_lo
	v_cmpx_ne_u64_e32 1, v[35:36]
	s_xor_b32 s16, exec_lo, s10
	s_cbranch_execz .LBB50_311
; %bb.306:
	v_mov_b32_e32 v18, 0x7fc00000
	s_mov_b32 s17, exec_lo
	v_cmpx_gt_u64_e32 0x81, v[35:36]
	s_cbranch_execz .LBB50_310
; %bb.307:
	v_add_f32_e32 v48, v14, v14
	v_lshlrev_b64 v[13:14], 1, v[35:36]
	v_mov_b32_e32 v35, 1.0
	s_mov_b64 s[10:11], 2
	s_mov_b32 s18, 0
	v_mov_b32_e32 v18, v48
	.p2align	6
.LBB50_308:                             ; =>This Inner Loop Header: Depth=1
	s_clz_i32_u32 s19, s11
	s_delay_alu instid0(SALU_CYCLE_1) | instskip(NEXT) | instid1(SALU_CYCLE_1)
	s_min_u32 s19, s19, 32
	s_lshl_b64 s[20:21], s[10:11], s19
	s_sub_i32 s19, 32, s19
	s_min_u32 s20, s20, 1
	s_delay_alu instid0(SALU_CYCLE_1) | instskip(SKIP_3) | instid1(SALU_CYCLE_1)
	s_or_b32 s20, s21, s20
	s_add_u32 s10, s10, 2
	v_cvt_f32_u32_e32 v36, s20
	s_addc_u32 s11, s11, 0
	v_cmp_ge_u64_e32 vcc_lo, s[10:11], v[13:14]
	s_delay_alu instid0(VALU_DEP_2) | instskip(SKIP_1) | instid1(VALU_DEP_1)
	v_ldexp_f32 v36, v36, s19
	s_or_b32 s18, vcc_lo, s18
	v_dual_mul_f32 v36, v35, v36 :: v_dual_mov_b32 v35, v18
	s_delay_alu instid0(VALU_DEP_1)
	v_fma_f32 v18, v48, v18, -v36
	s_and_not1_b32 exec_lo, exec_lo, s18
	s_cbranch_execnz .LBB50_308
; %bb.309:
	s_or_b32 exec_lo, exec_lo, s18
.LBB50_310:
	s_delay_alu instid0(SALU_CYCLE_1)
	s_or_b32 exec_lo, exec_lo, s17
                                        ; implicit-def: $vgpr13_vgpr14
.LBB50_311:
	s_and_not1_saveexec_b32 s10, s16
; %bb.312:
	v_add_f32_e32 v18, v14, v14
; %bb.313:
	s_or_b32 exec_lo, exec_lo, s10
.LBB50_314:
	s_delay_alu instid0(SALU_CYCLE_1)
	s_or_b32 exec_lo, exec_lo, s14
.LBB50_315:
	s_delay_alu instid0(SALU_CYCLE_1) | instskip(SKIP_3) | instid1(VALU_DEP_1)
	s_or_b32 exec_lo, exec_lo, s13
	s_waitcnt vmcnt(2)
	v_lshlrev_b32_e32 v13, 16, v47
	s_mov_b32 s13, exec_lo
	v_trunc_f32_e32 v14, v13
	s_delay_alu instid0(VALU_DEP_1) | instskip(NEXT) | instid1(VALU_DEP_1)
	v_mul_f32_e64 v35, 0x2f800000, |v14|
	v_floor_f32_e32 v35, v35
	s_delay_alu instid0(VALU_DEP_1) | instskip(SKIP_2) | instid1(VALU_DEP_3)
	v_fma_f32 v36, 0xcf800000, v35, |v14|
	v_ashrrev_i32_e32 v14, 31, v14
	v_cvt_u32_f32_e32 v35, v35
	v_cvt_u32_f32_e32 v36, v36
	s_delay_alu instid0(VALU_DEP_2) | instskip(NEXT) | instid1(VALU_DEP_2)
	v_xor_b32_e32 v35, v35, v14
	v_xor_b32_e32 v36, v36, v14
	s_delay_alu instid0(VALU_DEP_1) | instskip(NEXT) | instid1(VALU_DEP_3)
	v_sub_co_u32 v48, vcc_lo, v36, v14
	v_sub_co_ci_u32_e32 v14, vcc_lo, v35, v14, vcc_lo
	v_cmp_class_f32_e64 vcc_lo, v13, 0x1f8
	s_delay_alu instid0(VALU_DEP_2) | instskip(NEXT) | instid1(VALU_DEP_4)
	v_dual_mov_b32 v13, 0 :: v_dual_cndmask_b32 v36, -1, v14
	v_cndmask_b32_e32 v35, -1, v48, vcc_lo
	s_delay_alu instid0(VALU_DEP_1)
	v_cmpx_lt_i64_e32 -1, v[35:36]
	s_cbranch_execz .LBB50_327
; %bb.316:
	v_mov_b32_e32 v13, 1.0
	s_mov_b32 s14, exec_lo
	v_cmpx_lt_i64_e32 0, v[35:36]
	s_cbranch_execz .LBB50_326
; %bb.317:
                                        ; implicit-def: $vgpr13
	s_mov_b32 s10, exec_lo
	v_cmpx_ne_u64_e32 1, v[35:36]
	s_xor_b32 s16, exec_lo, s10
	s_cbranch_execz .LBB50_323
; %bb.318:
	v_mov_b32_e32 v13, 0x7fc00000
	s_mov_b32 s17, exec_lo
	v_cmpx_gt_u64_e32 0x81, v[35:36]
	s_cbranch_execz .LBB50_322
; %bb.319:
	v_add_f32_e32 v14, v9, v9
	v_lshlrev_b64 v[35:36], 1, v[35:36]
	v_mov_b32_e32 v48, 1.0
	s_mov_b64 s[10:11], 2
	s_mov_b32 s18, 0
	v_mov_b32_e32 v13, v14
	.p2align	6
.LBB50_320:                             ; =>This Inner Loop Header: Depth=1
	s_clz_i32_u32 s19, s11
	s_delay_alu instid0(SALU_CYCLE_1) | instskip(NEXT) | instid1(SALU_CYCLE_1)
	s_min_u32 s19, s19, 32
	s_lshl_b64 s[20:21], s[10:11], s19
	s_sub_i32 s19, 32, s19
	s_min_u32 s20, s20, 1
	s_delay_alu instid0(SALU_CYCLE_1) | instskip(SKIP_3) | instid1(SALU_CYCLE_1)
	s_or_b32 s20, s21, s20
	s_add_u32 s10, s10, 2
	v_cvt_f32_u32_e32 v49, s20
	s_addc_u32 s11, s11, 0
	v_cmp_ge_u64_e32 vcc_lo, s[10:11], v[35:36]
	s_delay_alu instid0(VALU_DEP_2) | instskip(SKIP_1) | instid1(VALU_DEP_1)
	v_ldexp_f32 v49, v49, s19
	s_or_b32 s18, vcc_lo, s18
	v_dual_mul_f32 v49, v48, v49 :: v_dual_mov_b32 v48, v13
	s_delay_alu instid0(VALU_DEP_1)
	v_fma_f32 v13, v14, v13, -v49
	s_and_not1_b32 exec_lo, exec_lo, s18
	s_cbranch_execnz .LBB50_320
; %bb.321:
	s_or_b32 exec_lo, exec_lo, s18
.LBB50_322:
	s_delay_alu instid0(SALU_CYCLE_1)
	s_or_b32 exec_lo, exec_lo, s17
.LBB50_323:
	s_and_not1_saveexec_b32 s10, s16
; %bb.324:
	v_add_f32_e32 v13, v9, v9
; %bb.325:
	s_or_b32 exec_lo, exec_lo, s10
.LBB50_326:
	s_delay_alu instid0(SALU_CYCLE_1)
	s_or_b32 exec_lo, exec_lo, s14
.LBB50_327:
	s_delay_alu instid0(SALU_CYCLE_1) | instskip(SKIP_2) | instid1(VALU_DEP_1)
	s_or_b32 exec_lo, exec_lo, s13
	v_and_b32_e32 v9, 0xffff0000, v47
	s_mov_b32 s13, exec_lo
	v_trunc_f32_e32 v14, v9
	s_delay_alu instid0(VALU_DEP_1) | instskip(NEXT) | instid1(VALU_DEP_1)
	v_mul_f32_e64 v35, 0x2f800000, |v14|
	v_floor_f32_e32 v35, v35
	s_delay_alu instid0(VALU_DEP_1) | instskip(SKIP_2) | instid1(VALU_DEP_3)
	v_fma_f32 v36, 0xcf800000, v35, |v14|
	v_ashrrev_i32_e32 v14, 31, v14
	v_cvt_u32_f32_e32 v35, v35
	v_cvt_u32_f32_e32 v36, v36
	s_delay_alu instid0(VALU_DEP_2) | instskip(NEXT) | instid1(VALU_DEP_2)
	v_xor_b32_e32 v35, v35, v14
	v_xor_b32_e32 v36, v36, v14
	s_delay_alu instid0(VALU_DEP_1) | instskip(NEXT) | instid1(VALU_DEP_3)
	v_sub_co_u32 v47, vcc_lo, v36, v14
	v_sub_co_ci_u32_e32 v14, vcc_lo, v35, v14, vcc_lo
	v_cmp_class_f32_e64 vcc_lo, v9, 0x1f8
	s_delay_alu instid0(VALU_DEP_2) | instskip(SKIP_1) | instid1(VALU_DEP_2)
	v_dual_cndmask_b32 v36, -1, v14 :: v_dual_cndmask_b32 v35, -1, v47
	v_mov_b32_e32 v14, 0
	v_cmpx_lt_i64_e32 -1, v[35:36]
	s_cbranch_execz .LBB50_339
; %bb.328:
	v_mov_b32_e32 v14, 1.0
	s_mov_b32 s14, exec_lo
	v_cmpx_lt_i64_e32 0, v[35:36]
	s_cbranch_execz .LBB50_338
; %bb.329:
	s_mov_b32 s10, exec_lo
	v_cmpx_ne_u64_e32 1, v[35:36]
	s_xor_b32 s16, exec_lo, s10
	s_cbranch_execz .LBB50_335
; %bb.330:
	v_mov_b32_e32 v14, 0x7fc00000
	s_mov_b32 s17, exec_lo
	v_cmpx_gt_u64_e32 0x81, v[35:36]
	s_cbranch_execz .LBB50_334
; %bb.331:
	v_add_f32_e32 v47, v10, v10
	v_lshlrev_b64 v[9:10], 1, v[35:36]
	v_mov_b32_e32 v35, 1.0
	s_mov_b64 s[10:11], 2
	s_mov_b32 s18, 0
	v_mov_b32_e32 v14, v47
	.p2align	6
.LBB50_332:                             ; =>This Inner Loop Header: Depth=1
	s_clz_i32_u32 s19, s11
	s_delay_alu instid0(SALU_CYCLE_1) | instskip(NEXT) | instid1(SALU_CYCLE_1)
	s_min_u32 s19, s19, 32
	s_lshl_b64 s[20:21], s[10:11], s19
	s_sub_i32 s19, 32, s19
	s_min_u32 s20, s20, 1
	s_delay_alu instid0(SALU_CYCLE_1) | instskip(SKIP_3) | instid1(SALU_CYCLE_1)
	s_or_b32 s20, s21, s20
	s_add_u32 s10, s10, 2
	v_cvt_f32_u32_e32 v36, s20
	s_addc_u32 s11, s11, 0
	v_cmp_ge_u64_e32 vcc_lo, s[10:11], v[9:10]
	s_delay_alu instid0(VALU_DEP_2) | instskip(SKIP_1) | instid1(VALU_DEP_1)
	v_ldexp_f32 v36, v36, s19
	s_or_b32 s18, vcc_lo, s18
	v_dual_mul_f32 v36, v35, v36 :: v_dual_mov_b32 v35, v14
	s_delay_alu instid0(VALU_DEP_1)
	v_fma_f32 v14, v47, v14, -v36
	s_and_not1_b32 exec_lo, exec_lo, s18
	s_cbranch_execnz .LBB50_332
; %bb.333:
	s_or_b32 exec_lo, exec_lo, s18
.LBB50_334:
	s_delay_alu instid0(SALU_CYCLE_1)
	s_or_b32 exec_lo, exec_lo, s17
                                        ; implicit-def: $vgpr9_vgpr10
.LBB50_335:
	s_and_not1_saveexec_b32 s10, s16
; %bb.336:
	v_add_f32_e32 v14, v10, v10
; %bb.337:
	s_or_b32 exec_lo, exec_lo, s10
.LBB50_338:
	s_delay_alu instid0(SALU_CYCLE_1)
	s_or_b32 exec_lo, exec_lo, s14
.LBB50_339:
	s_delay_alu instid0(SALU_CYCLE_1) | instskip(SKIP_3) | instid1(VALU_DEP_1)
	s_or_b32 exec_lo, exec_lo, s13
	s_waitcnt vmcnt(1)
	v_lshlrev_b32_e32 v9, 16, v46
	s_mov_b32 s13, exec_lo
	v_trunc_f32_e32 v10, v9
	s_delay_alu instid0(VALU_DEP_1) | instskip(NEXT) | instid1(VALU_DEP_1)
	v_mul_f32_e64 v35, 0x2f800000, |v10|
	v_floor_f32_e32 v35, v35
	s_delay_alu instid0(VALU_DEP_1) | instskip(SKIP_2) | instid1(VALU_DEP_3)
	v_fma_f32 v36, 0xcf800000, v35, |v10|
	v_ashrrev_i32_e32 v10, 31, v10
	v_cvt_u32_f32_e32 v35, v35
	v_cvt_u32_f32_e32 v36, v36
	s_delay_alu instid0(VALU_DEP_2) | instskip(NEXT) | instid1(VALU_DEP_2)
	v_xor_b32_e32 v35, v35, v10
	v_xor_b32_e32 v36, v36, v10
	s_delay_alu instid0(VALU_DEP_1) | instskip(NEXT) | instid1(VALU_DEP_3)
	v_sub_co_u32 v47, vcc_lo, v36, v10
	v_sub_co_ci_u32_e32 v10, vcc_lo, v35, v10, vcc_lo
	v_cmp_class_f32_e64 vcc_lo, v9, 0x1f8
	s_delay_alu instid0(VALU_DEP_2) | instskip(NEXT) | instid1(VALU_DEP_4)
	v_dual_mov_b32 v9, 0 :: v_dual_cndmask_b32 v36, -1, v10
	v_cndmask_b32_e32 v35, -1, v47, vcc_lo
	s_delay_alu instid0(VALU_DEP_1)
	v_cmpx_lt_i64_e32 -1, v[35:36]
	s_cbranch_execz .LBB50_351
; %bb.340:
	v_mov_b32_e32 v9, 1.0
	s_mov_b32 s14, exec_lo
	v_cmpx_lt_i64_e32 0, v[35:36]
	s_cbranch_execz .LBB50_350
; %bb.341:
                                        ; implicit-def: $vgpr9
	s_mov_b32 s10, exec_lo
	v_cmpx_ne_u64_e32 1, v[35:36]
	s_xor_b32 s16, exec_lo, s10
	s_cbranch_execz .LBB50_347
; %bb.342:
	v_mov_b32_e32 v9, 0x7fc00000
	s_mov_b32 s17, exec_lo
	v_cmpx_gt_u64_e32 0x81, v[35:36]
	s_cbranch_execz .LBB50_346
; %bb.343:
	v_dual_add_f32 v10, v5, v5 :: v_dual_mov_b32 v47, 1.0
	v_lshlrev_b64 v[35:36], 1, v[35:36]
	s_mov_b64 s[10:11], 2
	s_mov_b32 s18, 0
	s_delay_alu instid0(VALU_DEP_2)
	v_mov_b32_e32 v9, v10
	.p2align	6
.LBB50_344:                             ; =>This Inner Loop Header: Depth=1
	s_clz_i32_u32 s19, s11
	s_delay_alu instid0(SALU_CYCLE_1) | instskip(NEXT) | instid1(SALU_CYCLE_1)
	s_min_u32 s19, s19, 32
	s_lshl_b64 s[20:21], s[10:11], s19
	s_sub_i32 s19, 32, s19
	s_min_u32 s20, s20, 1
	s_delay_alu instid0(SALU_CYCLE_1) | instskip(SKIP_3) | instid1(SALU_CYCLE_1)
	s_or_b32 s20, s21, s20
	s_add_u32 s10, s10, 2
	v_cvt_f32_u32_e32 v48, s20
	s_addc_u32 s11, s11, 0
	v_cmp_ge_u64_e32 vcc_lo, s[10:11], v[35:36]
	s_delay_alu instid0(VALU_DEP_2) | instskip(SKIP_1) | instid1(VALU_DEP_1)
	v_ldexp_f32 v48, v48, s19
	s_or_b32 s18, vcc_lo, s18
	v_dual_mul_f32 v48, v47, v48 :: v_dual_mov_b32 v47, v9
	s_delay_alu instid0(VALU_DEP_1)
	v_fma_f32 v9, v10, v9, -v48
	s_and_not1_b32 exec_lo, exec_lo, s18
	s_cbranch_execnz .LBB50_344
; %bb.345:
	s_or_b32 exec_lo, exec_lo, s18
.LBB50_346:
	s_delay_alu instid0(SALU_CYCLE_1)
	s_or_b32 exec_lo, exec_lo, s17
.LBB50_347:
	s_and_not1_saveexec_b32 s10, s16
; %bb.348:
	v_add_f32_e32 v9, v5, v5
; %bb.349:
	s_or_b32 exec_lo, exec_lo, s10
.LBB50_350:
	s_delay_alu instid0(SALU_CYCLE_1)
	s_or_b32 exec_lo, exec_lo, s14
.LBB50_351:
	s_delay_alu instid0(SALU_CYCLE_1) | instskip(SKIP_2) | instid1(VALU_DEP_1)
	s_or_b32 exec_lo, exec_lo, s13
	v_and_b32_e32 v5, 0xffff0000, v46
	s_mov_b32 s13, exec_lo
	v_trunc_f32_e32 v10, v5
	s_delay_alu instid0(VALU_DEP_1) | instskip(NEXT) | instid1(VALU_DEP_1)
	v_mul_f32_e64 v35, 0x2f800000, |v10|
	v_floor_f32_e32 v35, v35
	s_delay_alu instid0(VALU_DEP_1) | instskip(SKIP_2) | instid1(VALU_DEP_3)
	v_fma_f32 v36, 0xcf800000, v35, |v10|
	v_ashrrev_i32_e32 v10, 31, v10
	v_cvt_u32_f32_e32 v35, v35
	v_cvt_u32_f32_e32 v36, v36
	s_delay_alu instid0(VALU_DEP_2) | instskip(NEXT) | instid1(VALU_DEP_2)
	v_xor_b32_e32 v35, v35, v10
	v_xor_b32_e32 v36, v36, v10
	s_delay_alu instid0(VALU_DEP_1) | instskip(NEXT) | instid1(VALU_DEP_3)
	v_sub_co_u32 v46, vcc_lo, v36, v10
	v_sub_co_ci_u32_e32 v10, vcc_lo, v35, v10, vcc_lo
	v_cmp_class_f32_e64 vcc_lo, v5, 0x1f8
	s_delay_alu instid0(VALU_DEP_2) | instskip(NEXT) | instid1(VALU_DEP_4)
	v_cndmask_b32_e32 v36, -1, v10, vcc_lo
	v_dual_mov_b32 v10, 0 :: v_dual_cndmask_b32 v35, -1, v46
	s_delay_alu instid0(VALU_DEP_1)
	v_cmpx_lt_i64_e32 -1, v[35:36]
	s_cbranch_execz .LBB50_363
; %bb.352:
	v_mov_b32_e32 v10, 1.0
	s_mov_b32 s14, exec_lo
	v_cmpx_lt_i64_e32 0, v[35:36]
	s_cbranch_execz .LBB50_362
; %bb.353:
	s_mov_b32 s10, exec_lo
	v_cmpx_ne_u64_e32 1, v[35:36]
	s_xor_b32 s16, exec_lo, s10
	s_cbranch_execz .LBB50_359
; %bb.354:
	v_mov_b32_e32 v10, 0x7fc00000
	s_mov_b32 s17, exec_lo
	v_cmpx_gt_u64_e32 0x81, v[35:36]
	s_cbranch_execz .LBB50_358
; %bb.355:
	v_add_f32_e32 v46, v6, v6
	v_lshlrev_b64 v[5:6], 1, v[35:36]
	v_mov_b32_e32 v35, 1.0
	s_mov_b64 s[10:11], 2
	s_mov_b32 s18, 0
	v_mov_b32_e32 v10, v46
	.p2align	6
.LBB50_356:                             ; =>This Inner Loop Header: Depth=1
	s_clz_i32_u32 s19, s11
	s_delay_alu instid0(SALU_CYCLE_1) | instskip(NEXT) | instid1(SALU_CYCLE_1)
	s_min_u32 s19, s19, 32
	s_lshl_b64 s[20:21], s[10:11], s19
	s_sub_i32 s19, 32, s19
	s_min_u32 s20, s20, 1
	s_delay_alu instid0(SALU_CYCLE_1) | instskip(SKIP_3) | instid1(SALU_CYCLE_1)
	s_or_b32 s20, s21, s20
	s_add_u32 s10, s10, 2
	v_cvt_f32_u32_e32 v36, s20
	s_addc_u32 s11, s11, 0
	v_cmp_ge_u64_e32 vcc_lo, s[10:11], v[5:6]
	s_delay_alu instid0(VALU_DEP_2) | instskip(SKIP_1) | instid1(VALU_DEP_1)
	v_ldexp_f32 v36, v36, s19
	s_or_b32 s18, vcc_lo, s18
	v_dual_mul_f32 v36, v35, v36 :: v_dual_mov_b32 v35, v10
	s_delay_alu instid0(VALU_DEP_1)
	v_fma_f32 v10, v46, v10, -v36
	s_and_not1_b32 exec_lo, exec_lo, s18
	s_cbranch_execnz .LBB50_356
; %bb.357:
	s_or_b32 exec_lo, exec_lo, s18
.LBB50_358:
	s_delay_alu instid0(SALU_CYCLE_1)
	s_or_b32 exec_lo, exec_lo, s17
                                        ; implicit-def: $vgpr5_vgpr6
.LBB50_359:
	s_and_not1_saveexec_b32 s10, s16
; %bb.360:
	v_add_f32_e32 v10, v6, v6
; %bb.361:
	s_or_b32 exec_lo, exec_lo, s10
.LBB50_362:
	s_delay_alu instid0(SALU_CYCLE_1)
	s_or_b32 exec_lo, exec_lo, s14
.LBB50_363:
	s_delay_alu instid0(SALU_CYCLE_1) | instskip(SKIP_3) | instid1(VALU_DEP_1)
	s_or_b32 exec_lo, exec_lo, s13
	s_waitcnt vmcnt(0)
	v_lshlrev_b32_e32 v5, 16, v45
	s_mov_b32 s13, exec_lo
	v_trunc_f32_e32 v6, v5
	s_delay_alu instid0(VALU_DEP_1) | instskip(NEXT) | instid1(VALU_DEP_1)
	v_mul_f32_e64 v35, 0x2f800000, |v6|
	v_floor_f32_e32 v35, v35
	s_delay_alu instid0(VALU_DEP_1) | instskip(SKIP_2) | instid1(VALU_DEP_3)
	v_fma_f32 v36, 0xcf800000, v35, |v6|
	v_ashrrev_i32_e32 v6, 31, v6
	v_cvt_u32_f32_e32 v35, v35
	v_cvt_u32_f32_e32 v36, v36
	s_delay_alu instid0(VALU_DEP_2) | instskip(NEXT) | instid1(VALU_DEP_2)
	v_xor_b32_e32 v35, v35, v6
	v_xor_b32_e32 v36, v36, v6
	s_delay_alu instid0(VALU_DEP_1) | instskip(NEXT) | instid1(VALU_DEP_3)
	v_sub_co_u32 v46, vcc_lo, v36, v6
	v_sub_co_ci_u32_e32 v6, vcc_lo, v35, v6, vcc_lo
	v_cmp_class_f32_e64 vcc_lo, v5, 0x1f8
	s_delay_alu instid0(VALU_DEP_2) | instskip(NEXT) | instid1(VALU_DEP_4)
	v_dual_mov_b32 v5, 0 :: v_dual_cndmask_b32 v36, -1, v6
	v_cndmask_b32_e32 v35, -1, v46, vcc_lo
	s_delay_alu instid0(VALU_DEP_1)
	v_cmpx_lt_i64_e32 -1, v[35:36]
	s_cbranch_execz .LBB50_375
; %bb.364:
	v_mov_b32_e32 v5, 1.0
	s_mov_b32 s14, exec_lo
	v_cmpx_lt_i64_e32 0, v[35:36]
	s_cbranch_execz .LBB50_374
; %bb.365:
                                        ; implicit-def: $vgpr5
	s_mov_b32 s10, exec_lo
	v_cmpx_ne_u64_e32 1, v[35:36]
	s_xor_b32 s16, exec_lo, s10
	s_cbranch_execz .LBB50_371
; %bb.366:
	v_mov_b32_e32 v5, 0x7fc00000
	s_mov_b32 s17, exec_lo
	v_cmpx_gt_u64_e32 0x81, v[35:36]
	s_cbranch_execz .LBB50_370
; %bb.367:
	v_add_f32_e32 v6, v1, v1
	v_lshlrev_b64 v[35:36], 1, v[35:36]
	v_mov_b32_e32 v46, 1.0
	s_mov_b64 s[10:11], 2
	s_mov_b32 s18, 0
	v_mov_b32_e32 v5, v6
	.p2align	6
.LBB50_368:                             ; =>This Inner Loop Header: Depth=1
	s_clz_i32_u32 s19, s11
	s_delay_alu instid0(SALU_CYCLE_1) | instskip(NEXT) | instid1(SALU_CYCLE_1)
	s_min_u32 s19, s19, 32
	s_lshl_b64 s[20:21], s[10:11], s19
	s_sub_i32 s19, 32, s19
	s_min_u32 s20, s20, 1
	s_delay_alu instid0(SALU_CYCLE_1) | instskip(SKIP_3) | instid1(SALU_CYCLE_1)
	s_or_b32 s20, s21, s20
	s_add_u32 s10, s10, 2
	v_cvt_f32_u32_e32 v47, s20
	s_addc_u32 s11, s11, 0
	v_cmp_ge_u64_e32 vcc_lo, s[10:11], v[35:36]
	s_delay_alu instid0(VALU_DEP_2) | instskip(SKIP_1) | instid1(VALU_DEP_1)
	v_ldexp_f32 v47, v47, s19
	s_or_b32 s18, vcc_lo, s18
	v_dual_mul_f32 v47, v46, v47 :: v_dual_mov_b32 v46, v5
	s_delay_alu instid0(VALU_DEP_1)
	v_fma_f32 v5, v6, v5, -v47
	s_and_not1_b32 exec_lo, exec_lo, s18
	s_cbranch_execnz .LBB50_368
; %bb.369:
	s_or_b32 exec_lo, exec_lo, s18
.LBB50_370:
	s_delay_alu instid0(SALU_CYCLE_1)
	s_or_b32 exec_lo, exec_lo, s17
.LBB50_371:
	s_and_not1_saveexec_b32 s10, s16
; %bb.372:
	v_add_f32_e32 v5, v1, v1
; %bb.373:
	s_or_b32 exec_lo, exec_lo, s10
.LBB50_374:
	s_delay_alu instid0(SALU_CYCLE_1)
	s_or_b32 exec_lo, exec_lo, s14
.LBB50_375:
	s_delay_alu instid0(SALU_CYCLE_1) | instskip(SKIP_2) | instid1(VALU_DEP_1)
	s_or_b32 exec_lo, exec_lo, s13
	v_and_b32_e32 v1, 0xffff0000, v45
	s_mov_b32 s13, exec_lo
	v_trunc_f32_e32 v6, v1
	s_delay_alu instid0(VALU_DEP_1) | instskip(NEXT) | instid1(VALU_DEP_1)
	v_mul_f32_e64 v35, 0x2f800000, |v6|
	v_floor_f32_e32 v35, v35
	s_delay_alu instid0(VALU_DEP_1) | instskip(SKIP_2) | instid1(VALU_DEP_3)
	v_fma_f32 v36, 0xcf800000, v35, |v6|
	v_ashrrev_i32_e32 v6, 31, v6
	v_cvt_u32_f32_e32 v35, v35
	v_cvt_u32_f32_e32 v36, v36
	s_delay_alu instid0(VALU_DEP_2) | instskip(NEXT) | instid1(VALU_DEP_2)
	v_xor_b32_e32 v35, v35, v6
	v_xor_b32_e32 v36, v36, v6
	s_delay_alu instid0(VALU_DEP_1) | instskip(NEXT) | instid1(VALU_DEP_3)
	v_sub_co_u32 v45, vcc_lo, v36, v6
	v_sub_co_ci_u32_e32 v6, vcc_lo, v35, v6, vcc_lo
	v_cmp_class_f32_e64 vcc_lo, v1, 0x1f8
	s_delay_alu instid0(VALU_DEP_2) | instskip(SKIP_1) | instid1(VALU_DEP_2)
	v_dual_cndmask_b32 v36, -1, v6 :: v_dual_cndmask_b32 v35, -1, v45
	v_mov_b32_e32 v6, 0
	v_cmpx_lt_i64_e32 -1, v[35:36]
	s_cbranch_execz .LBB50_387
; %bb.376:
	v_mov_b32_e32 v6, 1.0
	s_mov_b32 s14, exec_lo
	v_cmpx_lt_i64_e32 0, v[35:36]
	s_cbranch_execz .LBB50_386
; %bb.377:
	s_mov_b32 s10, exec_lo
	v_cmpx_ne_u64_e32 1, v[35:36]
	s_xor_b32 s16, exec_lo, s10
	s_cbranch_execz .LBB50_383
; %bb.378:
	v_mov_b32_e32 v6, 0x7fc00000
	s_mov_b32 s17, exec_lo
	v_cmpx_gt_u64_e32 0x81, v[35:36]
	s_cbranch_execz .LBB50_382
; %bb.379:
	v_add_f32_e32 v45, v2, v2
	v_lshlrev_b64 v[1:2], 1, v[35:36]
	v_mov_b32_e32 v35, 1.0
	s_mov_b64 s[10:11], 2
	s_mov_b32 s18, 0
	v_mov_b32_e32 v6, v45
	.p2align	6
.LBB50_380:                             ; =>This Inner Loop Header: Depth=1
	s_clz_i32_u32 s19, s11
	s_delay_alu instid0(SALU_CYCLE_1) | instskip(NEXT) | instid1(SALU_CYCLE_1)
	s_min_u32 s19, s19, 32
	s_lshl_b64 s[20:21], s[10:11], s19
	s_sub_i32 s19, 32, s19
	s_min_u32 s20, s20, 1
	s_delay_alu instid0(SALU_CYCLE_1) | instskip(SKIP_3) | instid1(SALU_CYCLE_1)
	s_or_b32 s20, s21, s20
	s_add_u32 s10, s10, 2
	v_cvt_f32_u32_e32 v36, s20
	s_addc_u32 s11, s11, 0
	v_cmp_ge_u64_e32 vcc_lo, s[10:11], v[1:2]
	s_delay_alu instid0(VALU_DEP_2) | instskip(SKIP_1) | instid1(VALU_DEP_1)
	v_ldexp_f32 v36, v36, s19
	s_or_b32 s18, vcc_lo, s18
	v_dual_mul_f32 v36, v35, v36 :: v_dual_mov_b32 v35, v6
	s_delay_alu instid0(VALU_DEP_1)
	v_fma_f32 v6, v45, v6, -v36
	s_and_not1_b32 exec_lo, exec_lo, s18
	s_cbranch_execnz .LBB50_380
; %bb.381:
	s_or_b32 exec_lo, exec_lo, s18
.LBB50_382:
	s_delay_alu instid0(SALU_CYCLE_1)
	s_or_b32 exec_lo, exec_lo, s17
                                        ; implicit-def: $vgpr1_vgpr2
.LBB50_383:
	s_and_not1_saveexec_b32 s10, s16
; %bb.384:
	v_add_f32_e32 v6, v2, v2
; %bb.385:
	s_or_b32 exec_lo, exec_lo, s10
.LBB50_386:
	s_delay_alu instid0(SALU_CYCLE_1)
	s_or_b32 exec_lo, exec_lo, s14
.LBB50_387:
	s_delay_alu instid0(SALU_CYCLE_1) | instskip(SKIP_3) | instid1(VALU_DEP_1)
	s_or_b32 exec_lo, exec_lo, s13
	s_add_u32 s10, s4, s8
	s_addc_u32 s11, s5, s9
	v_add_co_u32 v49, s8, s10, v37
	v_add_co_ci_u32_e64 v50, null, s11, 0, s8
	s_delay_alu instid0(VALU_DEP_2) | instskip(NEXT) | instid1(VALU_DEP_2)
	v_add_co_u32 v1, vcc_lo, 0x1000, v49
	v_add_co_ci_u32_e32 v2, vcc_lo, 0, v50, vcc_lo
	v_add_co_u32 v35, vcc_lo, 0x3000, v49
	v_add_co_ci_u32_e32 v36, vcc_lo, 0, v50, vcc_lo
	;; [unrolled: 2-line block ×4, first 2 shown]
	s_clause 0x7
	global_store_b64 v37, v[3:4], s[10:11]
	global_store_b64 v40, v[11:12], s[10:11]
	;; [unrolled: 1-line block ×4, first 2 shown]
	global_store_b64 v[1:2], v[7:8], off
	global_store_b64 v[35:36], v[15:16], off
	;; [unrolled: 1-line block ×4, first 2 shown]
	v_add_co_u32 v1, vcc_lo, 0x9000, v49
	v_add_co_ci_u32_e32 v2, vcc_lo, 0, v50, vcc_lo
	v_add_co_u32 v3, vcc_lo, 0xb000, v49
	v_add_co_ci_u32_e32 v4, vcc_lo, 0, v50, vcc_lo
	v_add_co_u32 v7, vcc_lo, 0xd000, v49
	v_add_co_ci_u32_e32 v8, vcc_lo, 0, v50, vcc_lo
	v_add_co_u32 v11, vcc_lo, 0xf000, v49
	v_add_co_ci_u32_e32 v12, vcc_lo, 0, v50, vcc_lo
	s_clause 0x7
	global_store_b64 v38, v[33:34], s[10:11]
	global_store_b64 v39, v[25:26], s[10:11]
	;; [unrolled: 1-line block ×4, first 2 shown]
	global_store_b64 v[1:2], v[29:30], off
	global_store_b64 v[3:4], v[21:22], off
	;; [unrolled: 1-line block ×4, first 2 shown]
	s_branch .LBB50_2
.LBB50_388:
	s_clause 0x1
	s_load_b32 s10, s[0:1], 0x24
	s_load_b128 s[16:19], s[0:1], 0x28
	v_dual_mov_b32 v31, v0 :: v_dual_mov_b32 v0, s4
	v_dual_mov_b32 v1, s5 :: v_dual_mov_b32 v2, s6
	;; [unrolled: 1-line block ×4, first 2 shown]
	s_add_u32 s8, s0, 56
	s_addc_u32 s9, s1, 0
	s_mov_b32 s12, s15
	s_getpc_b64 s[0:1]
	s_add_u32 s0, s0, _ZN2at6native25elementwise_kernel_helperILb1ENS0_13BinaryFunctorIfffZZZNS0_12_GLOBAL__N_132hermite_polynomial_h_kernel_cudaERNS_18TensorIteratorBaseEENKUlvE_clEvENKUlvE0_clEvEUlffE_EENS0_6memory8policies11unroll_baseILi512ESt5arrayIPcLm3EE23TrivialOffsetCalculatorILi2EjESG_ILi1EjENSA_12LoadWithCastILi2EEENSA_13StoreWithCastILi1EEELi32ELi1EEEEEvT0_T1_@rel32@lo+4
	s_addc_u32 s1, s1, _ZN2at6native25elementwise_kernel_helperILb1ENS0_13BinaryFunctorIfffZZZNS0_12_GLOBAL__N_132hermite_polynomial_h_kernel_cudaERNS_18TensorIteratorBaseEENKUlvE_clEvENKUlvE0_clEvEUlffE_EENS0_6memory8policies11unroll_baseILi512ESt5arrayIPcLm3EE23TrivialOffsetCalculatorILi2EjESG_ILi1EjENSA_12LoadWithCastILi2EEENSA_13StoreWithCastILi1EEELi32ELi1EEEEEvT0_T1_@rel32@hi+12
	s_waitcnt lgkmcnt(0)
	v_lshrrev_b16 v8, 8, s10
	v_dual_mov_b32 v7, s10 :: v_dual_mov_b32 v10, s17
	v_dual_mov_b32 v9, s16 :: v_dual_mov_b32 v12, s19
	v_mov_b32_e32 v11, s18
	s_swappc_b64 s[30:31], s[0:1]
	s_endpgm
	.section	.rodata,"a",@progbits
	.p2align	6, 0x0
	.amdhsa_kernel _ZN2at6native39vectorized_templated_elementwise_kernelILi2ENS0_13BinaryFunctorIfffZZZNS0_12_GLOBAL__N_132hermite_polynomial_h_kernel_cudaERNS_18TensorIteratorBaseEENKUlvE_clEvENKUlvE0_clEvEUlffE_EESt5arrayIPcLm3EE23TrivialOffsetCalculatorILi2EjESD_ILi1EjENS0_6memory12LoadWithCastILi2EEENSG_13StoreWithCastILi1EEEfJfN3c108BFloat16EEEEviT0_T1_T2_T3_T4_T5_
		.amdhsa_group_segment_fixed_size 0
		.amdhsa_private_segment_fixed_size 272
		.amdhsa_kernarg_size 312
		.amdhsa_user_sgpr_count 15
		.amdhsa_user_sgpr_dispatch_ptr 0
		.amdhsa_user_sgpr_queue_ptr 0
		.amdhsa_user_sgpr_kernarg_segment_ptr 1
		.amdhsa_user_sgpr_dispatch_id 0
		.amdhsa_user_sgpr_private_segment_size 0
		.amdhsa_wavefront_size32 1
		.amdhsa_uses_dynamic_stack 0
		.amdhsa_enable_private_segment 1
		.amdhsa_system_sgpr_workgroup_id_x 1
		.amdhsa_system_sgpr_workgroup_id_y 0
		.amdhsa_system_sgpr_workgroup_id_z 0
		.amdhsa_system_sgpr_workgroup_info 0
		.amdhsa_system_vgpr_workitem_id 0
		.amdhsa_next_free_vgpr 68
		.amdhsa_next_free_sgpr 77
		.amdhsa_reserve_vcc 1
		.amdhsa_float_round_mode_32 0
		.amdhsa_float_round_mode_16_64 0
		.amdhsa_float_denorm_mode_32 3
		.amdhsa_float_denorm_mode_16_64 3
		.amdhsa_dx10_clamp 1
		.amdhsa_ieee_mode 1
		.amdhsa_fp16_overflow 0
		.amdhsa_workgroup_processor_mode 1
		.amdhsa_memory_ordered 1
		.amdhsa_forward_progress 0
		.amdhsa_shared_vgpr_count 0
		.amdhsa_exception_fp_ieee_invalid_op 0
		.amdhsa_exception_fp_denorm_src 0
		.amdhsa_exception_fp_ieee_div_zero 0
		.amdhsa_exception_fp_ieee_overflow 0
		.amdhsa_exception_fp_ieee_underflow 0
		.amdhsa_exception_fp_ieee_inexact 0
		.amdhsa_exception_int_div_zero 0
	.end_amdhsa_kernel
	.section	.text._ZN2at6native39vectorized_templated_elementwise_kernelILi2ENS0_13BinaryFunctorIfffZZZNS0_12_GLOBAL__N_132hermite_polynomial_h_kernel_cudaERNS_18TensorIteratorBaseEENKUlvE_clEvENKUlvE0_clEvEUlffE_EESt5arrayIPcLm3EE23TrivialOffsetCalculatorILi2EjESD_ILi1EjENS0_6memory12LoadWithCastILi2EEENSG_13StoreWithCastILi1EEEfJfN3c108BFloat16EEEEviT0_T1_T2_T3_T4_T5_,"axG",@progbits,_ZN2at6native39vectorized_templated_elementwise_kernelILi2ENS0_13BinaryFunctorIfffZZZNS0_12_GLOBAL__N_132hermite_polynomial_h_kernel_cudaERNS_18TensorIteratorBaseEENKUlvE_clEvENKUlvE0_clEvEUlffE_EESt5arrayIPcLm3EE23TrivialOffsetCalculatorILi2EjESD_ILi1EjENS0_6memory12LoadWithCastILi2EEENSG_13StoreWithCastILi1EEEfJfN3c108BFloat16EEEEviT0_T1_T2_T3_T4_T5_,comdat
.Lfunc_end50:
	.size	_ZN2at6native39vectorized_templated_elementwise_kernelILi2ENS0_13BinaryFunctorIfffZZZNS0_12_GLOBAL__N_132hermite_polynomial_h_kernel_cudaERNS_18TensorIteratorBaseEENKUlvE_clEvENKUlvE0_clEvEUlffE_EESt5arrayIPcLm3EE23TrivialOffsetCalculatorILi2EjESD_ILi1EjENS0_6memory12LoadWithCastILi2EEENSG_13StoreWithCastILi1EEEfJfN3c108BFloat16EEEEviT0_T1_T2_T3_T4_T5_, .Lfunc_end50-_ZN2at6native39vectorized_templated_elementwise_kernelILi2ENS0_13BinaryFunctorIfffZZZNS0_12_GLOBAL__N_132hermite_polynomial_h_kernel_cudaERNS_18TensorIteratorBaseEENKUlvE_clEvENKUlvE0_clEvEUlffE_EESt5arrayIPcLm3EE23TrivialOffsetCalculatorILi2EjESD_ILi1EjENS0_6memory12LoadWithCastILi2EEENSG_13StoreWithCastILi1EEEfJfN3c108BFloat16EEEEviT0_T1_T2_T3_T4_T5_
                                        ; -- End function
	.section	.AMDGPU.csdata,"",@progbits
; Kernel info:
; codeLenInByte = 12340
; NumSgprs: 79
; NumVgprs: 68
; ScratchSize: 272
; MemoryBound: 0
; FloatMode: 240
; IeeeMode: 1
; LDSByteSize: 0 bytes/workgroup (compile time only)
; SGPRBlocks: 9
; VGPRBlocks: 8
; NumSGPRsForWavesPerEU: 79
; NumVGPRsForWavesPerEU: 68
; Occupancy: 16
; WaveLimiterHint : 0
; COMPUTE_PGM_RSRC2:SCRATCH_EN: 1
; COMPUTE_PGM_RSRC2:USER_SGPR: 15
; COMPUTE_PGM_RSRC2:TRAP_HANDLER: 0
; COMPUTE_PGM_RSRC2:TGID_X_EN: 1
; COMPUTE_PGM_RSRC2:TGID_Y_EN: 0
; COMPUTE_PGM_RSRC2:TGID_Z_EN: 0
; COMPUTE_PGM_RSRC2:TIDIG_COMP_CNT: 0
	.section	.text._ZN2at6native39vectorized_templated_elementwise_kernelILi8ENS0_13BinaryFunctorIfffZZZNS0_12_GLOBAL__N_132hermite_polynomial_h_kernel_cudaERNS_18TensorIteratorBaseEENKUlvE_clEvENKUlvE0_clEvEUlffE_EESt5arrayIPcLm3EE23TrivialOffsetCalculatorILi2EjESD_ILi1EjENS0_6memory12LoadWithCastILi2EEENSG_13StoreWithCastILi1EEEfJN3c108BFloat16EfEEEviT0_T1_T2_T3_T4_T5_,"axG",@progbits,_ZN2at6native39vectorized_templated_elementwise_kernelILi8ENS0_13BinaryFunctorIfffZZZNS0_12_GLOBAL__N_132hermite_polynomial_h_kernel_cudaERNS_18TensorIteratorBaseEENKUlvE_clEvENKUlvE0_clEvEUlffE_EESt5arrayIPcLm3EE23TrivialOffsetCalculatorILi2EjESD_ILi1EjENS0_6memory12LoadWithCastILi2EEENSG_13StoreWithCastILi1EEEfJN3c108BFloat16EfEEEviT0_T1_T2_T3_T4_T5_,comdat
	.globl	_ZN2at6native39vectorized_templated_elementwise_kernelILi8ENS0_13BinaryFunctorIfffZZZNS0_12_GLOBAL__N_132hermite_polynomial_h_kernel_cudaERNS_18TensorIteratorBaseEENKUlvE_clEvENKUlvE0_clEvEUlffE_EESt5arrayIPcLm3EE23TrivialOffsetCalculatorILi2EjESD_ILi1EjENS0_6memory12LoadWithCastILi2EEENSG_13StoreWithCastILi1EEEfJN3c108BFloat16EfEEEviT0_T1_T2_T3_T4_T5_ ; -- Begin function _ZN2at6native39vectorized_templated_elementwise_kernelILi8ENS0_13BinaryFunctorIfffZZZNS0_12_GLOBAL__N_132hermite_polynomial_h_kernel_cudaERNS_18TensorIteratorBaseEENKUlvE_clEvENKUlvE0_clEvEUlffE_EESt5arrayIPcLm3EE23TrivialOffsetCalculatorILi2EjESD_ILi1EjENS0_6memory12LoadWithCastILi2EEENSG_13StoreWithCastILi1EEEfJN3c108BFloat16EfEEEviT0_T1_T2_T3_T4_T5_
	.p2align	8
	.type	_ZN2at6native39vectorized_templated_elementwise_kernelILi8ENS0_13BinaryFunctorIfffZZZNS0_12_GLOBAL__N_132hermite_polynomial_h_kernel_cudaERNS_18TensorIteratorBaseEENKUlvE_clEvENKUlvE0_clEvEUlffE_EESt5arrayIPcLm3EE23TrivialOffsetCalculatorILi2EjESD_ILi1EjENS0_6memory12LoadWithCastILi2EEENSG_13StoreWithCastILi1EEEfJN3c108BFloat16EfEEEviT0_T1_T2_T3_T4_T5_,@function
_ZN2at6native39vectorized_templated_elementwise_kernelILi8ENS0_13BinaryFunctorIfffZZZNS0_12_GLOBAL__N_132hermite_polynomial_h_kernel_cudaERNS_18TensorIteratorBaseEENKUlvE_clEvENKUlvE0_clEvEUlffE_EESt5arrayIPcLm3EE23TrivialOffsetCalculatorILi2EjESD_ILi1EjENS0_6memory12LoadWithCastILi2EEENSG_13StoreWithCastILi1EEEfJN3c108BFloat16EfEEEviT0_T1_T2_T3_T4_T5_: ; @_ZN2at6native39vectorized_templated_elementwise_kernelILi8ENS0_13BinaryFunctorIfffZZZNS0_12_GLOBAL__N_132hermite_polynomial_h_kernel_cudaERNS_18TensorIteratorBaseEENKUlvE_clEvENKUlvE0_clEvEUlffE_EESt5arrayIPcLm3EE23TrivialOffsetCalculatorILi2EjESD_ILi1EjENS0_6memory12LoadWithCastILi2EEENSG_13StoreWithCastILi1EEEfJN3c108BFloat16EfEEEviT0_T1_T2_T3_T4_T5_
; %bb.0:
	s_clause 0x3
	s_load_b32 s8, s[0:1], 0x38
	s_load_b32 s9, s[0:1], 0x0
	s_load_b64 s[2:3], s[0:1], 0x18
	s_load_b128 s[4:7], s[0:1], 0x8
	s_not_b32 s10, s15
	s_mov_b32 s32, 0
	s_waitcnt lgkmcnt(0)
	s_add_i32 s8, s8, s10
	s_delay_alu instid0(SALU_CYCLE_1) | instskip(NEXT) | instid1(SALU_CYCLE_1)
	s_lshl_b32 s8, s8, 14
	s_sub_i32 s12, s9, s8
	s_mov_b32 s9, -1
	s_cmpk_gt_i32 s12, 0x3fff
	s_cbranch_scc1 .LBB51_3
; %bb.1:
	s_and_b32 vcc_lo, exec_lo, s9
	s_cbranch_vccnz .LBB51_388
.LBB51_2:
	s_nop 0
	s_sendmsg sendmsg(MSG_DEALLOC_VGPRS)
	s_endpgm
.LBB51_3:
	s_ashr_i32 s9, s8, 31
	v_lshlrev_b32_e32 v52, 5, v0
	s_lshl_b64 s[10:11], s[8:9], 1
	v_lshlrev_b32_e32 v17, 4, v0
	s_add_u32 s10, s6, s10
	s_addc_u32 s11, s7, s11
	s_lshl_b64 s[8:9], s[8:9], 2
	v_or_b32_e32 v5, 0x400, v0
	s_add_u32 s16, s2, s8
	s_addc_u32 s17, s3, s9
	v_add_co_u32 v7, s13, s10, v17
	s_clause 0x1
	global_load_b128 v[1:4], v52, s[16:17]
	global_load_b128 v[13:16], v52, s[16:17] offset:16
	v_add_co_ci_u32_e64 v8, null, s11, 0, s13
	v_lshlrev_b32_e32 v18, 4, v5
	v_lshlrev_b32_e32 v51, 5, v5
	v_add_co_u32 v5, vcc_lo, 0x2000, v7
	v_add_co_u32 v11, s13, s16, v52
	v_add_co_ci_u32_e32 v6, vcc_lo, 0, v8, vcc_lo
	v_add_co_ci_u32_e64 v12, null, s17, 0, s13
	v_add_co_u32 v7, vcc_lo, 0x6000, v7
	v_add_co_ci_u32_e32 v8, vcc_lo, 0, v8, vcc_lo
	v_add_co_u32 v9, vcc_lo, 0x4000, v11
	s_delay_alu instid0(VALU_DEP_4)
	v_add_co_ci_u32_e32 v10, vcc_lo, 0, v12, vcc_lo
	v_add_co_u32 v11, vcc_lo, 0xc000, v11
	v_add_co_ci_u32_e32 v12, vcc_lo, 0, v12, vcc_lo
	s_clause 0x1
	global_load_b128 v[29:32], v51, s[16:17] offset:16
	global_load_b128 v[37:40], v51, s[16:17]
	s_mov_b32 s13, exec_lo
	s_waitcnt vmcnt(3)
	v_trunc_f32_e32 v49, v1
	s_delay_alu instid0(VALU_DEP_1) | instskip(NEXT) | instid1(VALU_DEP_1)
	v_mul_f32_e64 v50, 0x2f800000, |v49|
	v_floor_f32_e32 v50, v50
	s_delay_alu instid0(VALU_DEP_1) | instskip(SKIP_2) | instid1(VALU_DEP_3)
	v_fma_f32 v53, 0xcf800000, v50, |v49|
	v_ashrrev_i32_e32 v49, 31, v49
	v_cvt_u32_f32_e32 v50, v50
	v_cvt_u32_f32_e32 v53, v53
	s_delay_alu instid0(VALU_DEP_2) | instskip(NEXT) | instid1(VALU_DEP_2)
	v_xor_b32_e32 v50, v50, v49
	v_xor_b32_e32 v53, v53, v49
	s_delay_alu instid0(VALU_DEP_1) | instskip(NEXT) | instid1(VALU_DEP_3)
	v_sub_co_u32 v53, vcc_lo, v53, v49
	v_sub_co_ci_u32_e32 v49, vcc_lo, v50, v49, vcc_lo
	v_cmp_class_f32_e64 vcc_lo, v1, 0x1f8
	s_delay_alu instid0(VALU_DEP_2)
	v_dual_mov_b32 v1, 0 :: v_dual_cndmask_b32 v50, -1, v49
	s_clause 0x3
	global_load_b128 v[45:48], v17, s[10:11]
	global_load_b128 v[41:44], v[5:6], off
	global_load_b128 v[25:28], v18, s[10:11]
	global_load_b128 v[5:8], v[7:8], off
	s_clause 0x3
	global_load_b128 v[21:24], v[9:10], off
	global_load_b128 v[33:36], v[9:10], off offset:16
	global_load_b128 v[17:20], v[11:12], off
	global_load_b128 v[9:12], v[11:12], off offset:16
	v_cndmask_b32_e32 v49, -1, v53, vcc_lo
	s_delay_alu instid0(VALU_DEP_1)
	v_cmpx_lt_i64_e32 -1, v[49:50]
	s_cbranch_execz .LBB51_15
; %bb.4:
	v_mov_b32_e32 v1, 1.0
	s_mov_b32 s14, exec_lo
	v_cmpx_lt_i64_e32 0, v[49:50]
	s_cbranch_execz .LBB51_14
; %bb.5:
	s_waitcnt vmcnt(7)
	v_lshlrev_b32_e32 v53, 16, v45
                                        ; implicit-def: $vgpr1
	s_mov_b32 s10, exec_lo
	v_cmpx_ne_u64_e32 1, v[49:50]
	s_xor_b32 s16, exec_lo, s10
	s_cbranch_execz .LBB51_11
; %bb.6:
	v_mov_b32_e32 v1, 0x7fc00000
	s_mov_b32 s17, exec_lo
	v_cmpx_gt_u64_e32 0x81, v[49:50]
	s_cbranch_execz .LBB51_10
; %bb.7:
	v_dual_add_f32 v53, v53, v53 :: v_dual_mov_b32 v54, 1.0
	v_lshlrev_b64 v[49:50], 1, v[49:50]
	s_mov_b64 s[10:11], 2
	s_mov_b32 s18, 0
	s_delay_alu instid0(VALU_DEP_2)
	v_mov_b32_e32 v1, v53
	.p2align	6
.LBB51_8:                               ; =>This Inner Loop Header: Depth=1
	s_clz_i32_u32 s19, s11
	s_delay_alu instid0(SALU_CYCLE_1) | instskip(NEXT) | instid1(SALU_CYCLE_1)
	s_min_u32 s19, s19, 32
	s_lshl_b64 s[20:21], s[10:11], s19
	s_sub_i32 s19, 32, s19
	s_min_u32 s20, s20, 1
	s_delay_alu instid0(SALU_CYCLE_1) | instskip(SKIP_3) | instid1(SALU_CYCLE_1)
	s_or_b32 s20, s21, s20
	s_add_u32 s10, s10, 2
	v_cvt_f32_u32_e32 v55, s20
	s_addc_u32 s11, s11, 0
	v_cmp_ge_u64_e32 vcc_lo, s[10:11], v[49:50]
	s_delay_alu instid0(VALU_DEP_2) | instskip(SKIP_1) | instid1(VALU_DEP_1)
	v_ldexp_f32 v55, v55, s19
	s_or_b32 s18, vcc_lo, s18
	v_dual_mul_f32 v55, v54, v55 :: v_dual_mov_b32 v54, v1
	s_delay_alu instid0(VALU_DEP_1)
	v_fma_f32 v1, v53, v1, -v55
	s_and_not1_b32 exec_lo, exec_lo, s18
	s_cbranch_execnz .LBB51_8
; %bb.9:
	s_or_b32 exec_lo, exec_lo, s18
.LBB51_10:
	s_delay_alu instid0(SALU_CYCLE_1)
	s_or_b32 exec_lo, exec_lo, s17
                                        ; implicit-def: $vgpr53
.LBB51_11:
	s_and_not1_saveexec_b32 s10, s16
; %bb.12:
	v_add_f32_e32 v1, v53, v53
; %bb.13:
	s_or_b32 exec_lo, exec_lo, s10
.LBB51_14:
	s_delay_alu instid0(SALU_CYCLE_1)
	s_or_b32 exec_lo, exec_lo, s14
.LBB51_15:
	s_delay_alu instid0(SALU_CYCLE_1) | instskip(SKIP_2) | instid1(VALU_DEP_1)
	s_or_b32 exec_lo, exec_lo, s13
	v_trunc_f32_e32 v49, v2
	s_mov_b32 s13, exec_lo
	v_mul_f32_e64 v50, 0x2f800000, |v49|
	s_delay_alu instid0(VALU_DEP_1) | instskip(NEXT) | instid1(VALU_DEP_1)
	v_floor_f32_e32 v50, v50
	v_fma_f32 v53, 0xcf800000, v50, |v49|
	v_ashrrev_i32_e32 v49, 31, v49
	v_cvt_u32_f32_e32 v50, v50
	s_delay_alu instid0(VALU_DEP_3) | instskip(NEXT) | instid1(VALU_DEP_2)
	v_cvt_u32_f32_e32 v53, v53
	v_xor_b32_e32 v50, v50, v49
	s_delay_alu instid0(VALU_DEP_2) | instskip(NEXT) | instid1(VALU_DEP_1)
	v_xor_b32_e32 v53, v53, v49
	v_sub_co_u32 v53, vcc_lo, v53, v49
	s_delay_alu instid0(VALU_DEP_3) | instskip(SKIP_2) | instid1(VALU_DEP_3)
	v_sub_co_ci_u32_e32 v49, vcc_lo, v50, v49, vcc_lo
	v_cmp_class_f32_e64 vcc_lo, v2, 0x1f8
	v_mov_b32_e32 v2, 0
	v_cndmask_b32_e32 v50, -1, v49, vcc_lo
	v_cndmask_b32_e32 v49, -1, v53, vcc_lo
	s_delay_alu instid0(VALU_DEP_1)
	v_cmpx_lt_i64_e32 -1, v[49:50]
	s_cbranch_execz .LBB51_27
; %bb.16:
	v_mov_b32_e32 v2, 1.0
	s_mov_b32 s14, exec_lo
	v_cmpx_lt_i64_e32 0, v[49:50]
	s_cbranch_execz .LBB51_26
; %bb.17:
	s_waitcnt vmcnt(7)
	v_and_b32_e32 v45, 0xffff0000, v45
	s_mov_b32 s10, exec_lo
	v_cmpx_ne_u64_e32 1, v[49:50]
	s_xor_b32 s16, exec_lo, s10
	s_cbranch_execz .LBB51_23
; %bb.18:
	v_mov_b32_e32 v2, 0x7fc00000
	s_mov_b32 s17, exec_lo
	v_cmpx_gt_u64_e32 0x81, v[49:50]
	s_cbranch_execz .LBB51_22
; %bb.19:
	v_add_f32_e32 v45, v45, v45
	v_lshlrev_b64 v[49:50], 1, v[49:50]
	v_mov_b32_e32 v53, 1.0
	s_mov_b64 s[10:11], 2
	s_mov_b32 s18, 0
	v_mov_b32_e32 v2, v45
	.p2align	6
.LBB51_20:                              ; =>This Inner Loop Header: Depth=1
	s_clz_i32_u32 s19, s11
	s_delay_alu instid0(SALU_CYCLE_1) | instskip(NEXT) | instid1(SALU_CYCLE_1)
	s_min_u32 s19, s19, 32
	s_lshl_b64 s[20:21], s[10:11], s19
	s_sub_i32 s19, 32, s19
	s_min_u32 s20, s20, 1
	s_delay_alu instid0(SALU_CYCLE_1) | instskip(SKIP_3) | instid1(SALU_CYCLE_1)
	s_or_b32 s20, s21, s20
	s_add_u32 s10, s10, 2
	v_cvt_f32_u32_e32 v54, s20
	s_addc_u32 s11, s11, 0
	v_cmp_ge_u64_e32 vcc_lo, s[10:11], v[49:50]
	s_delay_alu instid0(VALU_DEP_2) | instskip(SKIP_1) | instid1(VALU_DEP_1)
	v_ldexp_f32 v54, v54, s19
	s_or_b32 s18, vcc_lo, s18
	v_dual_mul_f32 v54, v53, v54 :: v_dual_mov_b32 v53, v2
	s_delay_alu instid0(VALU_DEP_1)
	v_fma_f32 v2, v45, v2, -v54
	s_and_not1_b32 exec_lo, exec_lo, s18
	s_cbranch_execnz .LBB51_20
; %bb.21:
	s_or_b32 exec_lo, exec_lo, s18
.LBB51_22:
	s_delay_alu instid0(SALU_CYCLE_1)
	s_or_b32 exec_lo, exec_lo, s17
                                        ; implicit-def: $vgpr45
.LBB51_23:
	s_and_not1_saveexec_b32 s10, s16
; %bb.24:
	v_add_f32_e32 v2, v45, v45
; %bb.25:
	s_or_b32 exec_lo, exec_lo, s10
.LBB51_26:
	s_delay_alu instid0(SALU_CYCLE_1)
	s_or_b32 exec_lo, exec_lo, s14
.LBB51_27:
	s_delay_alu instid0(SALU_CYCLE_1) | instskip(SKIP_3) | instid1(VALU_DEP_1)
	s_or_b32 exec_lo, exec_lo, s13
	s_waitcnt vmcnt(7)
	v_trunc_f32_e32 v45, v3
	s_mov_b32 s13, exec_lo
	v_mul_f32_e64 v49, 0x2f800000, |v45|
	s_delay_alu instid0(VALU_DEP_1) | instskip(NEXT) | instid1(VALU_DEP_1)
	v_floor_f32_e32 v49, v49
	v_fma_f32 v50, 0xcf800000, v49, |v45|
	v_ashrrev_i32_e32 v45, 31, v45
	v_cvt_u32_f32_e32 v49, v49
	s_delay_alu instid0(VALU_DEP_3) | instskip(NEXT) | instid1(VALU_DEP_2)
	v_cvt_u32_f32_e32 v50, v50
	v_xor_b32_e32 v49, v49, v45
	s_delay_alu instid0(VALU_DEP_2) | instskip(NEXT) | instid1(VALU_DEP_1)
	v_xor_b32_e32 v50, v50, v45
	v_sub_co_u32 v53, vcc_lo, v50, v45
	s_delay_alu instid0(VALU_DEP_3) | instskip(SKIP_1) | instid1(VALU_DEP_2)
	v_sub_co_ci_u32_e32 v45, vcc_lo, v49, v45, vcc_lo
	v_cmp_class_f32_e64 vcc_lo, v3, 0x1f8
	v_dual_mov_b32 v3, 0 :: v_dual_cndmask_b32 v50, -1, v45
	s_delay_alu instid0(VALU_DEP_4) | instskip(NEXT) | instid1(VALU_DEP_1)
	v_cndmask_b32_e32 v49, -1, v53, vcc_lo
	v_cmpx_lt_i64_e32 -1, v[49:50]
	s_cbranch_execz .LBB51_39
; %bb.28:
	v_mov_b32_e32 v3, 1.0
	s_mov_b32 s14, exec_lo
	v_cmpx_lt_i64_e32 0, v[49:50]
	s_cbranch_execz .LBB51_38
; %bb.29:
	v_lshlrev_b32_e32 v45, 16, v46
	s_mov_b32 s10, exec_lo
	v_cmpx_ne_u64_e32 1, v[49:50]
	s_xor_b32 s16, exec_lo, s10
	s_cbranch_execz .LBB51_35
; %bb.30:
	v_mov_b32_e32 v3, 0x7fc00000
	s_mov_b32 s17, exec_lo
	v_cmpx_gt_u64_e32 0x81, v[49:50]
	s_cbranch_execz .LBB51_34
; %bb.31:
	v_add_f32_e32 v45, v45, v45
	v_lshlrev_b64 v[49:50], 1, v[49:50]
	v_mov_b32_e32 v53, 1.0
	s_mov_b64 s[10:11], 2
	s_mov_b32 s18, 0
	v_mov_b32_e32 v3, v45
	.p2align	6
.LBB51_32:                              ; =>This Inner Loop Header: Depth=1
	s_clz_i32_u32 s19, s11
	s_delay_alu instid0(SALU_CYCLE_1) | instskip(NEXT) | instid1(SALU_CYCLE_1)
	s_min_u32 s19, s19, 32
	s_lshl_b64 s[20:21], s[10:11], s19
	s_sub_i32 s19, 32, s19
	s_min_u32 s20, s20, 1
	s_delay_alu instid0(SALU_CYCLE_1) | instskip(SKIP_3) | instid1(SALU_CYCLE_1)
	s_or_b32 s20, s21, s20
	s_add_u32 s10, s10, 2
	v_cvt_f32_u32_e32 v54, s20
	s_addc_u32 s11, s11, 0
	v_cmp_ge_u64_e32 vcc_lo, s[10:11], v[49:50]
	s_delay_alu instid0(VALU_DEP_2) | instskip(SKIP_1) | instid1(VALU_DEP_1)
	v_ldexp_f32 v54, v54, s19
	s_or_b32 s18, vcc_lo, s18
	v_dual_mul_f32 v54, v53, v54 :: v_dual_mov_b32 v53, v3
	s_delay_alu instid0(VALU_DEP_1)
	v_fma_f32 v3, v45, v3, -v54
	s_and_not1_b32 exec_lo, exec_lo, s18
	s_cbranch_execnz .LBB51_32
; %bb.33:
	s_or_b32 exec_lo, exec_lo, s18
.LBB51_34:
	s_delay_alu instid0(SALU_CYCLE_1)
	s_or_b32 exec_lo, exec_lo, s17
                                        ; implicit-def: $vgpr45
.LBB51_35:
	s_and_not1_saveexec_b32 s10, s16
; %bb.36:
	v_add_f32_e32 v3, v45, v45
; %bb.37:
	s_or_b32 exec_lo, exec_lo, s10
.LBB51_38:
	s_delay_alu instid0(SALU_CYCLE_1)
	s_or_b32 exec_lo, exec_lo, s14
.LBB51_39:
	s_delay_alu instid0(SALU_CYCLE_1) | instskip(SKIP_2) | instid1(VALU_DEP_1)
	s_or_b32 exec_lo, exec_lo, s13
	v_trunc_f32_e32 v45, v4
	s_mov_b32 s13, exec_lo
	v_mul_f32_e64 v49, 0x2f800000, |v45|
	s_delay_alu instid0(VALU_DEP_1) | instskip(NEXT) | instid1(VALU_DEP_1)
	v_floor_f32_e32 v49, v49
	v_fma_f32 v50, 0xcf800000, v49, |v45|
	v_ashrrev_i32_e32 v45, 31, v45
	v_cvt_u32_f32_e32 v49, v49
	s_delay_alu instid0(VALU_DEP_3) | instskip(NEXT) | instid1(VALU_DEP_2)
	v_cvt_u32_f32_e32 v50, v50
	v_xor_b32_e32 v49, v49, v45
	s_delay_alu instid0(VALU_DEP_2) | instskip(NEXT) | instid1(VALU_DEP_1)
	v_xor_b32_e32 v50, v50, v45
	v_sub_co_u32 v53, vcc_lo, v50, v45
	s_delay_alu instid0(VALU_DEP_3) | instskip(SKIP_2) | instid1(VALU_DEP_3)
	v_sub_co_ci_u32_e32 v45, vcc_lo, v49, v45, vcc_lo
	v_cmp_class_f32_e64 vcc_lo, v4, 0x1f8
	v_mov_b32_e32 v4, 0
	v_cndmask_b32_e32 v50, -1, v45, vcc_lo
	v_cndmask_b32_e32 v49, -1, v53, vcc_lo
	s_delay_alu instid0(VALU_DEP_1)
	v_cmpx_lt_i64_e32 -1, v[49:50]
	s_cbranch_execz .LBB51_51
; %bb.40:
	v_mov_b32_e32 v4, 1.0
	s_mov_b32 s14, exec_lo
	v_cmpx_lt_i64_e32 0, v[49:50]
	s_cbranch_execz .LBB51_50
; %bb.41:
	v_and_b32_e32 v45, 0xffff0000, v46
	s_mov_b32 s10, exec_lo
	v_cmpx_ne_u64_e32 1, v[49:50]
	s_xor_b32 s16, exec_lo, s10
	s_cbranch_execz .LBB51_47
; %bb.42:
	v_mov_b32_e32 v4, 0x7fc00000
	s_mov_b32 s17, exec_lo
	v_cmpx_gt_u64_e32 0x81, v[49:50]
	s_cbranch_execz .LBB51_46
; %bb.43:
	v_add_f32_e32 v53, v45, v45
	v_lshlrev_b64 v[45:46], 1, v[49:50]
	v_mov_b32_e32 v49, 1.0
	s_mov_b64 s[10:11], 2
	s_mov_b32 s18, 0
	v_mov_b32_e32 v4, v53
	.p2align	6
.LBB51_44:                              ; =>This Inner Loop Header: Depth=1
	s_clz_i32_u32 s19, s11
	s_delay_alu instid0(SALU_CYCLE_1) | instskip(NEXT) | instid1(SALU_CYCLE_1)
	s_min_u32 s19, s19, 32
	s_lshl_b64 s[20:21], s[10:11], s19
	s_sub_i32 s19, 32, s19
	s_min_u32 s20, s20, 1
	s_delay_alu instid0(SALU_CYCLE_1) | instskip(SKIP_3) | instid1(SALU_CYCLE_1)
	s_or_b32 s20, s21, s20
	s_add_u32 s10, s10, 2
	v_cvt_f32_u32_e32 v50, s20
	s_addc_u32 s11, s11, 0
	v_cmp_ge_u64_e32 vcc_lo, s[10:11], v[45:46]
	s_delay_alu instid0(VALU_DEP_2) | instskip(SKIP_1) | instid1(VALU_DEP_1)
	v_ldexp_f32 v50, v50, s19
	s_or_b32 s18, vcc_lo, s18
	v_dual_mul_f32 v50, v49, v50 :: v_dual_mov_b32 v49, v4
	s_delay_alu instid0(VALU_DEP_1)
	v_fma_f32 v4, v53, v4, -v50
	s_and_not1_b32 exec_lo, exec_lo, s18
	s_cbranch_execnz .LBB51_44
; %bb.45:
	s_or_b32 exec_lo, exec_lo, s18
.LBB51_46:
	s_delay_alu instid0(SALU_CYCLE_1)
	s_or_b32 exec_lo, exec_lo, s17
                                        ; implicit-def: $vgpr45
.LBB51_47:
	s_and_not1_saveexec_b32 s10, s16
; %bb.48:
	v_add_f32_e32 v4, v45, v45
; %bb.49:
	s_or_b32 exec_lo, exec_lo, s10
.LBB51_50:
	s_delay_alu instid0(SALU_CYCLE_1)
	s_or_b32 exec_lo, exec_lo, s14
.LBB51_51:
	s_delay_alu instid0(SALU_CYCLE_1) | instskip(SKIP_2) | instid1(VALU_DEP_1)
	s_or_b32 exec_lo, exec_lo, s13
	v_trunc_f32_e32 v45, v13
	s_mov_b32 s13, exec_lo
	v_mul_f32_e64 v46, 0x2f800000, |v45|
	s_delay_alu instid0(VALU_DEP_1) | instskip(NEXT) | instid1(VALU_DEP_1)
	v_floor_f32_e32 v46, v46
	v_fma_f32 v49, 0xcf800000, v46, |v45|
	v_ashrrev_i32_e32 v45, 31, v45
	v_cvt_u32_f32_e32 v46, v46
	s_delay_alu instid0(VALU_DEP_3) | instskip(NEXT) | instid1(VALU_DEP_2)
	v_cvt_u32_f32_e32 v49, v49
	v_xor_b32_e32 v46, v46, v45
	s_delay_alu instid0(VALU_DEP_2) | instskip(NEXT) | instid1(VALU_DEP_1)
	v_xor_b32_e32 v49, v49, v45
	v_sub_co_u32 v49, vcc_lo, v49, v45
	s_delay_alu instid0(VALU_DEP_3) | instskip(SKIP_1) | instid1(VALU_DEP_2)
	v_sub_co_ci_u32_e32 v45, vcc_lo, v46, v45, vcc_lo
	v_cmp_class_f32_e64 vcc_lo, v13, 0x1f8
	v_dual_mov_b32 v13, 0 :: v_dual_cndmask_b32 v46, -1, v45
	s_delay_alu instid0(VALU_DEP_4) | instskip(NEXT) | instid1(VALU_DEP_1)
	v_cndmask_b32_e32 v45, -1, v49, vcc_lo
	v_cmpx_lt_i64_e32 -1, v[45:46]
	s_cbranch_execz .LBB51_63
; %bb.52:
	v_mov_b32_e32 v13, 1.0
	s_mov_b32 s14, exec_lo
	v_cmpx_lt_i64_e32 0, v[45:46]
	s_cbranch_execz .LBB51_62
; %bb.53:
	v_lshlrev_b32_e32 v49, 16, v47
                                        ; implicit-def: $vgpr13
	s_mov_b32 s10, exec_lo
	v_cmpx_ne_u64_e32 1, v[45:46]
	s_xor_b32 s16, exec_lo, s10
	s_cbranch_execz .LBB51_59
; %bb.54:
	v_mov_b32_e32 v13, 0x7fc00000
	s_mov_b32 s17, exec_lo
	v_cmpx_gt_u64_e32 0x81, v[45:46]
	s_cbranch_execz .LBB51_58
; %bb.55:
	v_dual_add_f32 v49, v49, v49 :: v_dual_mov_b32 v50, 1.0
	v_lshlrev_b64 v[45:46], 1, v[45:46]
	s_mov_b64 s[10:11], 2
	s_mov_b32 s18, 0
	s_delay_alu instid0(VALU_DEP_2)
	v_mov_b32_e32 v13, v49
	.p2align	6
.LBB51_56:                              ; =>This Inner Loop Header: Depth=1
	s_clz_i32_u32 s19, s11
	s_delay_alu instid0(SALU_CYCLE_1) | instskip(NEXT) | instid1(SALU_CYCLE_1)
	s_min_u32 s19, s19, 32
	s_lshl_b64 s[20:21], s[10:11], s19
	s_sub_i32 s19, 32, s19
	s_min_u32 s20, s20, 1
	s_delay_alu instid0(SALU_CYCLE_1) | instskip(SKIP_3) | instid1(SALU_CYCLE_1)
	s_or_b32 s20, s21, s20
	s_add_u32 s10, s10, 2
	v_cvt_f32_u32_e32 v53, s20
	s_addc_u32 s11, s11, 0
	v_cmp_ge_u64_e32 vcc_lo, s[10:11], v[45:46]
	s_delay_alu instid0(VALU_DEP_2) | instskip(SKIP_1) | instid1(VALU_DEP_1)
	v_ldexp_f32 v53, v53, s19
	s_or_b32 s18, vcc_lo, s18
	v_dual_mul_f32 v53, v50, v53 :: v_dual_mov_b32 v50, v13
	s_delay_alu instid0(VALU_DEP_1)
	v_fma_f32 v13, v49, v13, -v53
	s_and_not1_b32 exec_lo, exec_lo, s18
	s_cbranch_execnz .LBB51_56
; %bb.57:
	s_or_b32 exec_lo, exec_lo, s18
.LBB51_58:
	s_delay_alu instid0(SALU_CYCLE_1)
	s_or_b32 exec_lo, exec_lo, s17
                                        ; implicit-def: $vgpr49
.LBB51_59:
	s_and_not1_saveexec_b32 s10, s16
; %bb.60:
	v_add_f32_e32 v13, v49, v49
; %bb.61:
	s_or_b32 exec_lo, exec_lo, s10
.LBB51_62:
	s_delay_alu instid0(SALU_CYCLE_1)
	s_or_b32 exec_lo, exec_lo, s14
.LBB51_63:
	s_delay_alu instid0(SALU_CYCLE_1) | instskip(SKIP_2) | instid1(VALU_DEP_1)
	s_or_b32 exec_lo, exec_lo, s13
	v_trunc_f32_e32 v45, v14
	s_mov_b32 s13, exec_lo
	v_mul_f32_e64 v46, 0x2f800000, |v45|
	s_delay_alu instid0(VALU_DEP_1) | instskip(NEXT) | instid1(VALU_DEP_1)
	v_floor_f32_e32 v46, v46
	v_fma_f32 v49, 0xcf800000, v46, |v45|
	v_ashrrev_i32_e32 v45, 31, v45
	v_cvt_u32_f32_e32 v46, v46
	s_delay_alu instid0(VALU_DEP_3) | instskip(NEXT) | instid1(VALU_DEP_2)
	v_cvt_u32_f32_e32 v49, v49
	v_xor_b32_e32 v46, v46, v45
	s_delay_alu instid0(VALU_DEP_2) | instskip(NEXT) | instid1(VALU_DEP_1)
	v_xor_b32_e32 v49, v49, v45
	v_sub_co_u32 v49, vcc_lo, v49, v45
	s_delay_alu instid0(VALU_DEP_3) | instskip(SKIP_2) | instid1(VALU_DEP_3)
	v_sub_co_ci_u32_e32 v45, vcc_lo, v46, v45, vcc_lo
	v_cmp_class_f32_e64 vcc_lo, v14, 0x1f8
	v_mov_b32_e32 v14, 0
	v_cndmask_b32_e32 v46, -1, v45, vcc_lo
	v_cndmask_b32_e32 v45, -1, v49, vcc_lo
	s_delay_alu instid0(VALU_DEP_1)
	v_cmpx_lt_i64_e32 -1, v[45:46]
	s_cbranch_execz .LBB51_75
; %bb.64:
	v_mov_b32_e32 v14, 1.0
	s_mov_b32 s14, exec_lo
	v_cmpx_lt_i64_e32 0, v[45:46]
	s_cbranch_execz .LBB51_74
; %bb.65:
	v_and_b32_e32 v47, 0xffff0000, v47
	s_mov_b32 s10, exec_lo
	v_cmpx_ne_u64_e32 1, v[45:46]
	s_xor_b32 s16, exec_lo, s10
	s_cbranch_execz .LBB51_71
; %bb.66:
	v_mov_b32_e32 v14, 0x7fc00000
	s_mov_b32 s17, exec_lo
	v_cmpx_gt_u64_e32 0x81, v[45:46]
	s_cbranch_execz .LBB51_70
; %bb.67:
	v_add_f32_e32 v47, v47, v47
	v_lshlrev_b64 v[45:46], 1, v[45:46]
	v_mov_b32_e32 v49, 1.0
	s_mov_b64 s[10:11], 2
	s_mov_b32 s18, 0
	v_mov_b32_e32 v14, v47
	.p2align	6
.LBB51_68:                              ; =>This Inner Loop Header: Depth=1
	s_clz_i32_u32 s19, s11
	s_delay_alu instid0(SALU_CYCLE_1) | instskip(NEXT) | instid1(SALU_CYCLE_1)
	s_min_u32 s19, s19, 32
	s_lshl_b64 s[20:21], s[10:11], s19
	s_sub_i32 s19, 32, s19
	s_min_u32 s20, s20, 1
	s_delay_alu instid0(SALU_CYCLE_1) | instskip(SKIP_3) | instid1(SALU_CYCLE_1)
	s_or_b32 s20, s21, s20
	s_add_u32 s10, s10, 2
	v_cvt_f32_u32_e32 v50, s20
	s_addc_u32 s11, s11, 0
	v_cmp_ge_u64_e32 vcc_lo, s[10:11], v[45:46]
	s_delay_alu instid0(VALU_DEP_2) | instskip(SKIP_1) | instid1(VALU_DEP_1)
	v_ldexp_f32 v50, v50, s19
	s_or_b32 s18, vcc_lo, s18
	v_dual_mul_f32 v50, v49, v50 :: v_dual_mov_b32 v49, v14
	s_delay_alu instid0(VALU_DEP_1)
	v_fma_f32 v14, v47, v14, -v50
	s_and_not1_b32 exec_lo, exec_lo, s18
	s_cbranch_execnz .LBB51_68
; %bb.69:
	s_or_b32 exec_lo, exec_lo, s18
.LBB51_70:
	s_delay_alu instid0(SALU_CYCLE_1)
	s_or_b32 exec_lo, exec_lo, s17
                                        ; implicit-def: $vgpr47
.LBB51_71:
	s_and_not1_saveexec_b32 s10, s16
; %bb.72:
	v_add_f32_e32 v14, v47, v47
; %bb.73:
	s_or_b32 exec_lo, exec_lo, s10
.LBB51_74:
	s_delay_alu instid0(SALU_CYCLE_1)
	s_or_b32 exec_lo, exec_lo, s14
.LBB51_75:
	s_delay_alu instid0(SALU_CYCLE_1) | instskip(SKIP_2) | instid1(VALU_DEP_1)
	s_or_b32 exec_lo, exec_lo, s13
	v_trunc_f32_e32 v45, v15
	s_mov_b32 s13, exec_lo
	v_mul_f32_e64 v46, 0x2f800000, |v45|
	s_delay_alu instid0(VALU_DEP_1) | instskip(NEXT) | instid1(VALU_DEP_1)
	v_floor_f32_e32 v46, v46
	v_fma_f32 v47, 0xcf800000, v46, |v45|
	v_ashrrev_i32_e32 v45, 31, v45
	v_cvt_u32_f32_e32 v46, v46
	s_delay_alu instid0(VALU_DEP_3) | instskip(NEXT) | instid1(VALU_DEP_2)
	v_cvt_u32_f32_e32 v47, v47
	v_xor_b32_e32 v46, v46, v45
	s_delay_alu instid0(VALU_DEP_2) | instskip(NEXT) | instid1(VALU_DEP_1)
	v_xor_b32_e32 v47, v47, v45
	v_sub_co_u32 v47, vcc_lo, v47, v45
	s_delay_alu instid0(VALU_DEP_3) | instskip(SKIP_1) | instid1(VALU_DEP_2)
	v_sub_co_ci_u32_e32 v45, vcc_lo, v46, v45, vcc_lo
	v_cmp_class_f32_e64 vcc_lo, v15, 0x1f8
	v_dual_mov_b32 v15, 0 :: v_dual_cndmask_b32 v46, -1, v45
	s_delay_alu instid0(VALU_DEP_4) | instskip(NEXT) | instid1(VALU_DEP_1)
	v_cndmask_b32_e32 v45, -1, v47, vcc_lo
	v_cmpx_lt_i64_e32 -1, v[45:46]
	s_cbranch_execz .LBB51_87
; %bb.76:
	v_mov_b32_e32 v15, 1.0
	s_mov_b32 s14, exec_lo
	v_cmpx_lt_i64_e32 0, v[45:46]
	s_cbranch_execz .LBB51_86
; %bb.77:
	v_lshlrev_b32_e32 v47, 16, v48
	s_mov_b32 s10, exec_lo
	v_cmpx_ne_u64_e32 1, v[45:46]
	s_xor_b32 s16, exec_lo, s10
	s_cbranch_execz .LBB51_83
; %bb.78:
	v_mov_b32_e32 v15, 0x7fc00000
	s_mov_b32 s17, exec_lo
	v_cmpx_gt_u64_e32 0x81, v[45:46]
	s_cbranch_execz .LBB51_82
; %bb.79:
	v_add_f32_e32 v47, v47, v47
	v_lshlrev_b64 v[45:46], 1, v[45:46]
	v_mov_b32_e32 v49, 1.0
	s_mov_b64 s[10:11], 2
	s_mov_b32 s18, 0
	v_mov_b32_e32 v15, v47
	.p2align	6
.LBB51_80:                              ; =>This Inner Loop Header: Depth=1
	s_clz_i32_u32 s19, s11
	s_delay_alu instid0(SALU_CYCLE_1) | instskip(NEXT) | instid1(SALU_CYCLE_1)
	s_min_u32 s19, s19, 32
	s_lshl_b64 s[20:21], s[10:11], s19
	s_sub_i32 s19, 32, s19
	s_min_u32 s20, s20, 1
	s_delay_alu instid0(SALU_CYCLE_1) | instskip(SKIP_3) | instid1(SALU_CYCLE_1)
	s_or_b32 s20, s21, s20
	s_add_u32 s10, s10, 2
	v_cvt_f32_u32_e32 v50, s20
	s_addc_u32 s11, s11, 0
	v_cmp_ge_u64_e32 vcc_lo, s[10:11], v[45:46]
	s_delay_alu instid0(VALU_DEP_2) | instskip(SKIP_1) | instid1(VALU_DEP_1)
	v_ldexp_f32 v50, v50, s19
	s_or_b32 s18, vcc_lo, s18
	v_dual_mul_f32 v50, v49, v50 :: v_dual_mov_b32 v49, v15
	s_delay_alu instid0(VALU_DEP_1)
	v_fma_f32 v15, v47, v15, -v50
	s_and_not1_b32 exec_lo, exec_lo, s18
	s_cbranch_execnz .LBB51_80
; %bb.81:
	s_or_b32 exec_lo, exec_lo, s18
.LBB51_82:
	s_delay_alu instid0(SALU_CYCLE_1)
	s_or_b32 exec_lo, exec_lo, s17
                                        ; implicit-def: $vgpr47
.LBB51_83:
	s_and_not1_saveexec_b32 s10, s16
; %bb.84:
	v_add_f32_e32 v15, v47, v47
; %bb.85:
	s_or_b32 exec_lo, exec_lo, s10
.LBB51_86:
	s_delay_alu instid0(SALU_CYCLE_1)
	s_or_b32 exec_lo, exec_lo, s14
.LBB51_87:
	s_delay_alu instid0(SALU_CYCLE_1) | instskip(SKIP_2) | instid1(VALU_DEP_1)
	s_or_b32 exec_lo, exec_lo, s13
	v_trunc_f32_e32 v45, v16
	s_mov_b32 s13, exec_lo
	v_mul_f32_e64 v46, 0x2f800000, |v45|
	s_delay_alu instid0(VALU_DEP_1) | instskip(NEXT) | instid1(VALU_DEP_1)
	v_floor_f32_e32 v46, v46
	v_fma_f32 v47, 0xcf800000, v46, |v45|
	v_ashrrev_i32_e32 v45, 31, v45
	v_cvt_u32_f32_e32 v46, v46
	s_delay_alu instid0(VALU_DEP_3) | instskip(NEXT) | instid1(VALU_DEP_2)
	v_cvt_u32_f32_e32 v47, v47
	v_xor_b32_e32 v46, v46, v45
	s_delay_alu instid0(VALU_DEP_2) | instskip(NEXT) | instid1(VALU_DEP_1)
	v_xor_b32_e32 v47, v47, v45
	v_sub_co_u32 v47, vcc_lo, v47, v45
	s_delay_alu instid0(VALU_DEP_3) | instskip(SKIP_2) | instid1(VALU_DEP_3)
	v_sub_co_ci_u32_e32 v45, vcc_lo, v46, v45, vcc_lo
	v_cmp_class_f32_e64 vcc_lo, v16, 0x1f8
	v_mov_b32_e32 v16, 0
	v_dual_cndmask_b32 v46, -1, v45 :: v_dual_cndmask_b32 v45, -1, v47
	s_delay_alu instid0(VALU_DEP_1)
	v_cmpx_lt_i64_e32 -1, v[45:46]
	s_cbranch_execz .LBB51_99
; %bb.88:
	v_mov_b32_e32 v16, 1.0
	s_mov_b32 s14, exec_lo
	v_cmpx_lt_i64_e32 0, v[45:46]
	s_cbranch_execz .LBB51_98
; %bb.89:
	v_and_b32_e32 v47, 0xffff0000, v48
	s_mov_b32 s10, exec_lo
	v_cmpx_ne_u64_e32 1, v[45:46]
	s_xor_b32 s16, exec_lo, s10
	s_cbranch_execz .LBB51_95
; %bb.90:
	v_mov_b32_e32 v16, 0x7fc00000
	s_mov_b32 s17, exec_lo
	v_cmpx_gt_u64_e32 0x81, v[45:46]
	s_cbranch_execz .LBB51_94
; %bb.91:
	v_dual_add_f32 v47, v47, v47 :: v_dual_mov_b32 v48, 1.0
	v_lshlrev_b64 v[45:46], 1, v[45:46]
	s_mov_b64 s[10:11], 2
	s_mov_b32 s18, 0
	s_delay_alu instid0(VALU_DEP_2)
	v_mov_b32_e32 v16, v47
	.p2align	6
.LBB51_92:                              ; =>This Inner Loop Header: Depth=1
	s_clz_i32_u32 s19, s11
	s_delay_alu instid0(SALU_CYCLE_1) | instskip(NEXT) | instid1(SALU_CYCLE_1)
	s_min_u32 s19, s19, 32
	s_lshl_b64 s[20:21], s[10:11], s19
	s_sub_i32 s19, 32, s19
	s_min_u32 s20, s20, 1
	s_delay_alu instid0(SALU_CYCLE_1) | instskip(SKIP_3) | instid1(SALU_CYCLE_1)
	s_or_b32 s20, s21, s20
	s_add_u32 s10, s10, 2
	v_cvt_f32_u32_e32 v49, s20
	s_addc_u32 s11, s11, 0
	v_cmp_ge_u64_e32 vcc_lo, s[10:11], v[45:46]
	s_delay_alu instid0(VALU_DEP_2) | instskip(SKIP_1) | instid1(VALU_DEP_1)
	v_ldexp_f32 v49, v49, s19
	s_or_b32 s18, vcc_lo, s18
	v_mul_f32_e32 v49, v48, v49
	v_mov_b32_e32 v48, v16
	s_delay_alu instid0(VALU_DEP_2)
	v_fma_f32 v16, v47, v16, -v49
	s_and_not1_b32 exec_lo, exec_lo, s18
	s_cbranch_execnz .LBB51_92
; %bb.93:
	s_or_b32 exec_lo, exec_lo, s18
.LBB51_94:
	s_delay_alu instid0(SALU_CYCLE_1)
	s_or_b32 exec_lo, exec_lo, s17
                                        ; implicit-def: $vgpr47
.LBB51_95:
	s_and_not1_saveexec_b32 s10, s16
; %bb.96:
	v_add_f32_e32 v16, v47, v47
; %bb.97:
	s_or_b32 exec_lo, exec_lo, s10
.LBB51_98:
	s_delay_alu instid0(SALU_CYCLE_1)
	s_or_b32 exec_lo, exec_lo, s14
.LBB51_99:
	s_delay_alu instid0(SALU_CYCLE_1) | instskip(SKIP_3) | instid1(VALU_DEP_1)
	s_or_b32 exec_lo, exec_lo, s13
	s_waitcnt vmcnt(3)
	v_trunc_f32_e32 v45, v21
	s_mov_b32 s13, exec_lo
	v_mul_f32_e64 v46, 0x2f800000, |v45|
	s_delay_alu instid0(VALU_DEP_1) | instskip(NEXT) | instid1(VALU_DEP_1)
	v_floor_f32_e32 v46, v46
	v_fma_f32 v47, 0xcf800000, v46, |v45|
	v_ashrrev_i32_e32 v45, 31, v45
	v_cvt_u32_f32_e32 v46, v46
	s_delay_alu instid0(VALU_DEP_3) | instskip(NEXT) | instid1(VALU_DEP_2)
	v_cvt_u32_f32_e32 v47, v47
	v_xor_b32_e32 v46, v46, v45
	s_delay_alu instid0(VALU_DEP_2) | instskip(NEXT) | instid1(VALU_DEP_1)
	v_xor_b32_e32 v47, v47, v45
	v_sub_co_u32 v47, vcc_lo, v47, v45
	s_delay_alu instid0(VALU_DEP_3) | instskip(SKIP_1) | instid1(VALU_DEP_2)
	v_sub_co_ci_u32_e32 v45, vcc_lo, v46, v45, vcc_lo
	v_cmp_class_f32_e64 vcc_lo, v21, 0x1f8
	v_dual_mov_b32 v21, 0 :: v_dual_cndmask_b32 v46, -1, v45
	s_delay_alu instid0(VALU_DEP_4) | instskip(NEXT) | instid1(VALU_DEP_1)
	v_cndmask_b32_e32 v45, -1, v47, vcc_lo
	v_cmpx_lt_i64_e32 -1, v[45:46]
	s_cbranch_execz .LBB51_111
; %bb.100:
	v_mov_b32_e32 v21, 1.0
	s_mov_b32 s14, exec_lo
	v_cmpx_lt_i64_e32 0, v[45:46]
	s_cbranch_execz .LBB51_110
; %bb.101:
	v_lshlrev_b32_e32 v47, 16, v41
                                        ; implicit-def: $vgpr21
	s_mov_b32 s10, exec_lo
	v_cmpx_ne_u64_e32 1, v[45:46]
	s_xor_b32 s16, exec_lo, s10
	s_cbranch_execz .LBB51_107
; %bb.102:
	v_mov_b32_e32 v21, 0x7fc00000
	s_mov_b32 s17, exec_lo
	v_cmpx_gt_u64_e32 0x81, v[45:46]
	s_cbranch_execz .LBB51_106
; %bb.103:
	v_dual_add_f32 v47, v47, v47 :: v_dual_mov_b32 v48, 1.0
	v_lshlrev_b64 v[45:46], 1, v[45:46]
	s_mov_b64 s[10:11], 2
	s_mov_b32 s18, 0
	s_delay_alu instid0(VALU_DEP_2)
	v_mov_b32_e32 v21, v47
	.p2align	6
.LBB51_104:                             ; =>This Inner Loop Header: Depth=1
	s_clz_i32_u32 s19, s11
	s_delay_alu instid0(SALU_CYCLE_1) | instskip(NEXT) | instid1(SALU_CYCLE_1)
	s_min_u32 s19, s19, 32
	s_lshl_b64 s[20:21], s[10:11], s19
	s_sub_i32 s19, 32, s19
	s_min_u32 s20, s20, 1
	s_delay_alu instid0(SALU_CYCLE_1) | instskip(SKIP_3) | instid1(SALU_CYCLE_1)
	s_or_b32 s20, s21, s20
	s_add_u32 s10, s10, 2
	v_cvt_f32_u32_e32 v49, s20
	s_addc_u32 s11, s11, 0
	v_cmp_ge_u64_e32 vcc_lo, s[10:11], v[45:46]
	s_delay_alu instid0(VALU_DEP_2) | instskip(SKIP_1) | instid1(VALU_DEP_1)
	v_ldexp_f32 v49, v49, s19
	s_or_b32 s18, vcc_lo, s18
	v_dual_mul_f32 v49, v48, v49 :: v_dual_mov_b32 v48, v21
	s_delay_alu instid0(VALU_DEP_1)
	v_fma_f32 v21, v47, v21, -v49
	s_and_not1_b32 exec_lo, exec_lo, s18
	s_cbranch_execnz .LBB51_104
; %bb.105:
	s_or_b32 exec_lo, exec_lo, s18
.LBB51_106:
	s_delay_alu instid0(SALU_CYCLE_1)
	s_or_b32 exec_lo, exec_lo, s17
                                        ; implicit-def: $vgpr47
.LBB51_107:
	s_and_not1_saveexec_b32 s10, s16
; %bb.108:
	v_add_f32_e32 v21, v47, v47
; %bb.109:
	s_or_b32 exec_lo, exec_lo, s10
.LBB51_110:
	s_delay_alu instid0(SALU_CYCLE_1)
	s_or_b32 exec_lo, exec_lo, s14
.LBB51_111:
	s_delay_alu instid0(SALU_CYCLE_1) | instskip(SKIP_2) | instid1(VALU_DEP_1)
	s_or_b32 exec_lo, exec_lo, s13
	v_trunc_f32_e32 v45, v22
	s_mov_b32 s13, exec_lo
	v_mul_f32_e64 v46, 0x2f800000, |v45|
	s_delay_alu instid0(VALU_DEP_1) | instskip(NEXT) | instid1(VALU_DEP_1)
	v_floor_f32_e32 v46, v46
	v_fma_f32 v47, 0xcf800000, v46, |v45|
	v_ashrrev_i32_e32 v45, 31, v45
	v_cvt_u32_f32_e32 v46, v46
	s_delay_alu instid0(VALU_DEP_3) | instskip(NEXT) | instid1(VALU_DEP_2)
	v_cvt_u32_f32_e32 v47, v47
	v_xor_b32_e32 v46, v46, v45
	s_delay_alu instid0(VALU_DEP_2) | instskip(NEXT) | instid1(VALU_DEP_1)
	v_xor_b32_e32 v47, v47, v45
	v_sub_co_u32 v47, vcc_lo, v47, v45
	s_delay_alu instid0(VALU_DEP_3) | instskip(SKIP_2) | instid1(VALU_DEP_3)
	v_sub_co_ci_u32_e32 v45, vcc_lo, v46, v45, vcc_lo
	v_cmp_class_f32_e64 vcc_lo, v22, 0x1f8
	v_mov_b32_e32 v22, 0
	v_dual_cndmask_b32 v46, -1, v45 :: v_dual_cndmask_b32 v45, -1, v47
	s_delay_alu instid0(VALU_DEP_1)
	v_cmpx_lt_i64_e32 -1, v[45:46]
	s_cbranch_execz .LBB51_123
; %bb.112:
	v_mov_b32_e32 v22, 1.0
	s_mov_b32 s14, exec_lo
	v_cmpx_lt_i64_e32 0, v[45:46]
	s_cbranch_execz .LBB51_122
; %bb.113:
	v_and_b32_e32 v41, 0xffff0000, v41
	s_mov_b32 s10, exec_lo
	v_cmpx_ne_u64_e32 1, v[45:46]
	s_xor_b32 s16, exec_lo, s10
	s_cbranch_execz .LBB51_119
; %bb.114:
	v_mov_b32_e32 v22, 0x7fc00000
	s_mov_b32 s17, exec_lo
	v_cmpx_gt_u64_e32 0x81, v[45:46]
	s_cbranch_execz .LBB51_118
; %bb.115:
	v_add_f32_e32 v41, v41, v41
	v_lshlrev_b64 v[45:46], 1, v[45:46]
	v_mov_b32_e32 v47, 1.0
	s_mov_b64 s[10:11], 2
	s_mov_b32 s18, 0
	v_mov_b32_e32 v22, v41
	.p2align	6
.LBB51_116:                             ; =>This Inner Loop Header: Depth=1
	s_clz_i32_u32 s19, s11
	s_delay_alu instid0(SALU_CYCLE_1) | instskip(NEXT) | instid1(SALU_CYCLE_1)
	s_min_u32 s19, s19, 32
	s_lshl_b64 s[20:21], s[10:11], s19
	s_sub_i32 s19, 32, s19
	s_min_u32 s20, s20, 1
	s_delay_alu instid0(SALU_CYCLE_1) | instskip(SKIP_3) | instid1(SALU_CYCLE_1)
	s_or_b32 s20, s21, s20
	s_add_u32 s10, s10, 2
	v_cvt_f32_u32_e32 v48, s20
	s_addc_u32 s11, s11, 0
	v_cmp_ge_u64_e32 vcc_lo, s[10:11], v[45:46]
	s_delay_alu instid0(VALU_DEP_2) | instskip(SKIP_1) | instid1(VALU_DEP_1)
	v_ldexp_f32 v48, v48, s19
	s_or_b32 s18, vcc_lo, s18
	v_dual_mul_f32 v48, v47, v48 :: v_dual_mov_b32 v47, v22
	s_delay_alu instid0(VALU_DEP_1)
	v_fma_f32 v22, v41, v22, -v48
	s_and_not1_b32 exec_lo, exec_lo, s18
	s_cbranch_execnz .LBB51_116
; %bb.117:
	s_or_b32 exec_lo, exec_lo, s18
.LBB51_118:
	s_delay_alu instid0(SALU_CYCLE_1)
	s_or_b32 exec_lo, exec_lo, s17
                                        ; implicit-def: $vgpr41
.LBB51_119:
	s_and_not1_saveexec_b32 s10, s16
; %bb.120:
	v_add_f32_e32 v22, v41, v41
; %bb.121:
	s_or_b32 exec_lo, exec_lo, s10
.LBB51_122:
	s_delay_alu instid0(SALU_CYCLE_1)
	s_or_b32 exec_lo, exec_lo, s14
.LBB51_123:
	s_delay_alu instid0(SALU_CYCLE_1) | instskip(SKIP_2) | instid1(VALU_DEP_1)
	s_or_b32 exec_lo, exec_lo, s13
	v_trunc_f32_e32 v41, v23
	s_mov_b32 s13, exec_lo
	v_mul_f32_e64 v45, 0x2f800000, |v41|
	s_delay_alu instid0(VALU_DEP_1) | instskip(NEXT) | instid1(VALU_DEP_1)
	v_floor_f32_e32 v45, v45
	v_fma_f32 v46, 0xcf800000, v45, |v41|
	v_ashrrev_i32_e32 v41, 31, v41
	v_cvt_u32_f32_e32 v45, v45
	s_delay_alu instid0(VALU_DEP_3) | instskip(NEXT) | instid1(VALU_DEP_2)
	v_cvt_u32_f32_e32 v46, v46
	v_xor_b32_e32 v45, v45, v41
	s_delay_alu instid0(VALU_DEP_2) | instskip(NEXT) | instid1(VALU_DEP_1)
	v_xor_b32_e32 v46, v46, v41
	v_sub_co_u32 v47, vcc_lo, v46, v41
	s_delay_alu instid0(VALU_DEP_3) | instskip(SKIP_1) | instid1(VALU_DEP_2)
	v_sub_co_ci_u32_e32 v41, vcc_lo, v45, v41, vcc_lo
	v_cmp_class_f32_e64 vcc_lo, v23, 0x1f8
	v_dual_mov_b32 v23, 0 :: v_dual_cndmask_b32 v46, -1, v41
	s_delay_alu instid0(VALU_DEP_4) | instskip(NEXT) | instid1(VALU_DEP_1)
	v_cndmask_b32_e32 v45, -1, v47, vcc_lo
	v_cmpx_lt_i64_e32 -1, v[45:46]
	s_cbranch_execz .LBB51_135
; %bb.124:
	v_mov_b32_e32 v23, 1.0
	s_mov_b32 s14, exec_lo
	v_cmpx_lt_i64_e32 0, v[45:46]
	s_cbranch_execz .LBB51_134
; %bb.125:
	v_lshlrev_b32_e32 v41, 16, v42
	s_mov_b32 s10, exec_lo
	v_cmpx_ne_u64_e32 1, v[45:46]
	s_xor_b32 s16, exec_lo, s10
	s_cbranch_execz .LBB51_131
; %bb.126:
	v_mov_b32_e32 v23, 0x7fc00000
	s_mov_b32 s17, exec_lo
	v_cmpx_gt_u64_e32 0x81, v[45:46]
	s_cbranch_execz .LBB51_130
; %bb.127:
	v_add_f32_e32 v41, v41, v41
	v_lshlrev_b64 v[45:46], 1, v[45:46]
	v_mov_b32_e32 v47, 1.0
	s_mov_b64 s[10:11], 2
	s_mov_b32 s18, 0
	v_mov_b32_e32 v23, v41
	.p2align	6
.LBB51_128:                             ; =>This Inner Loop Header: Depth=1
	s_clz_i32_u32 s19, s11
	s_delay_alu instid0(SALU_CYCLE_1) | instskip(NEXT) | instid1(SALU_CYCLE_1)
	s_min_u32 s19, s19, 32
	s_lshl_b64 s[20:21], s[10:11], s19
	s_sub_i32 s19, 32, s19
	s_min_u32 s20, s20, 1
	s_delay_alu instid0(SALU_CYCLE_1) | instskip(SKIP_3) | instid1(SALU_CYCLE_1)
	s_or_b32 s20, s21, s20
	s_add_u32 s10, s10, 2
	v_cvt_f32_u32_e32 v48, s20
	s_addc_u32 s11, s11, 0
	v_cmp_ge_u64_e32 vcc_lo, s[10:11], v[45:46]
	s_delay_alu instid0(VALU_DEP_2) | instskip(SKIP_1) | instid1(VALU_DEP_1)
	v_ldexp_f32 v48, v48, s19
	s_or_b32 s18, vcc_lo, s18
	v_mul_f32_e32 v48, v47, v48
	v_mov_b32_e32 v47, v23
	s_delay_alu instid0(VALU_DEP_2)
	v_fma_f32 v23, v41, v23, -v48
	s_and_not1_b32 exec_lo, exec_lo, s18
	s_cbranch_execnz .LBB51_128
; %bb.129:
	s_or_b32 exec_lo, exec_lo, s18
.LBB51_130:
	s_delay_alu instid0(SALU_CYCLE_1)
	s_or_b32 exec_lo, exec_lo, s17
                                        ; implicit-def: $vgpr41
.LBB51_131:
	s_and_not1_saveexec_b32 s10, s16
; %bb.132:
	v_add_f32_e32 v23, v41, v41
; %bb.133:
	s_or_b32 exec_lo, exec_lo, s10
.LBB51_134:
	s_delay_alu instid0(SALU_CYCLE_1)
	s_or_b32 exec_lo, exec_lo, s14
.LBB51_135:
	s_delay_alu instid0(SALU_CYCLE_1) | instskip(SKIP_2) | instid1(VALU_DEP_1)
	s_or_b32 exec_lo, exec_lo, s13
	v_trunc_f32_e32 v41, v24
	s_mov_b32 s13, exec_lo
	v_mul_f32_e64 v45, 0x2f800000, |v41|
	s_delay_alu instid0(VALU_DEP_1) | instskip(NEXT) | instid1(VALU_DEP_1)
	v_floor_f32_e32 v45, v45
	v_fma_f32 v46, 0xcf800000, v45, |v41|
	v_ashrrev_i32_e32 v41, 31, v41
	v_cvt_u32_f32_e32 v45, v45
	s_delay_alu instid0(VALU_DEP_3) | instskip(NEXT) | instid1(VALU_DEP_2)
	v_cvt_u32_f32_e32 v46, v46
	v_xor_b32_e32 v45, v45, v41
	s_delay_alu instid0(VALU_DEP_2) | instskip(NEXT) | instid1(VALU_DEP_1)
	v_xor_b32_e32 v46, v46, v41
	v_sub_co_u32 v47, vcc_lo, v46, v41
	s_delay_alu instid0(VALU_DEP_3) | instskip(SKIP_2) | instid1(VALU_DEP_3)
	v_sub_co_ci_u32_e32 v41, vcc_lo, v45, v41, vcc_lo
	v_cmp_class_f32_e64 vcc_lo, v24, 0x1f8
	v_mov_b32_e32 v24, 0
	v_dual_cndmask_b32 v46, -1, v41 :: v_dual_cndmask_b32 v45, -1, v47
	s_delay_alu instid0(VALU_DEP_1)
	v_cmpx_lt_i64_e32 -1, v[45:46]
	s_cbranch_execz .LBB51_147
; %bb.136:
	v_mov_b32_e32 v24, 1.0
	s_mov_b32 s14, exec_lo
	v_cmpx_lt_i64_e32 0, v[45:46]
	s_cbranch_execz .LBB51_146
; %bb.137:
	v_and_b32_e32 v41, 0xffff0000, v42
	s_mov_b32 s10, exec_lo
	v_cmpx_ne_u64_e32 1, v[45:46]
	s_xor_b32 s16, exec_lo, s10
	s_cbranch_execz .LBB51_143
; %bb.138:
	v_mov_b32_e32 v24, 0x7fc00000
	s_mov_b32 s17, exec_lo
	v_cmpx_gt_u64_e32 0x81, v[45:46]
	s_cbranch_execz .LBB51_142
; %bb.139:
	v_add_f32_e32 v47, v41, v41
	v_lshlrev_b64 v[41:42], 1, v[45:46]
	v_mov_b32_e32 v45, 1.0
	s_mov_b64 s[10:11], 2
	s_mov_b32 s18, 0
	v_mov_b32_e32 v24, v47
	.p2align	6
.LBB51_140:                             ; =>This Inner Loop Header: Depth=1
	s_clz_i32_u32 s19, s11
	s_delay_alu instid0(SALU_CYCLE_1) | instskip(NEXT) | instid1(SALU_CYCLE_1)
	s_min_u32 s19, s19, 32
	s_lshl_b64 s[20:21], s[10:11], s19
	s_sub_i32 s19, 32, s19
	s_min_u32 s20, s20, 1
	s_delay_alu instid0(SALU_CYCLE_1) | instskip(SKIP_3) | instid1(SALU_CYCLE_1)
	s_or_b32 s20, s21, s20
	s_add_u32 s10, s10, 2
	v_cvt_f32_u32_e32 v46, s20
	s_addc_u32 s11, s11, 0
	v_cmp_ge_u64_e32 vcc_lo, s[10:11], v[41:42]
	s_delay_alu instid0(VALU_DEP_2) | instskip(SKIP_1) | instid1(VALU_DEP_1)
	v_ldexp_f32 v46, v46, s19
	s_or_b32 s18, vcc_lo, s18
	v_dual_mul_f32 v46, v45, v46 :: v_dual_mov_b32 v45, v24
	s_delay_alu instid0(VALU_DEP_1)
	v_fma_f32 v24, v47, v24, -v46
	s_and_not1_b32 exec_lo, exec_lo, s18
	s_cbranch_execnz .LBB51_140
; %bb.141:
	s_or_b32 exec_lo, exec_lo, s18
.LBB51_142:
	s_delay_alu instid0(SALU_CYCLE_1)
	s_or_b32 exec_lo, exec_lo, s17
                                        ; implicit-def: $vgpr41
.LBB51_143:
	s_and_not1_saveexec_b32 s10, s16
; %bb.144:
	v_add_f32_e32 v24, v41, v41
; %bb.145:
	s_or_b32 exec_lo, exec_lo, s10
.LBB51_146:
	s_delay_alu instid0(SALU_CYCLE_1)
	s_or_b32 exec_lo, exec_lo, s14
.LBB51_147:
	s_delay_alu instid0(SALU_CYCLE_1) | instskip(SKIP_3) | instid1(VALU_DEP_1)
	s_or_b32 exec_lo, exec_lo, s13
	s_waitcnt vmcnt(2)
	v_trunc_f32_e32 v41, v33
	s_mov_b32 s13, exec_lo
	v_mul_f32_e64 v42, 0x2f800000, |v41|
	s_delay_alu instid0(VALU_DEP_1) | instskip(NEXT) | instid1(VALU_DEP_1)
	v_floor_f32_e32 v42, v42
	v_fma_f32 v45, 0xcf800000, v42, |v41|
	v_ashrrev_i32_e32 v41, 31, v41
	v_cvt_u32_f32_e32 v42, v42
	s_delay_alu instid0(VALU_DEP_3) | instskip(NEXT) | instid1(VALU_DEP_2)
	v_cvt_u32_f32_e32 v45, v45
	v_xor_b32_e32 v42, v42, v41
	s_delay_alu instid0(VALU_DEP_2) | instskip(NEXT) | instid1(VALU_DEP_1)
	v_xor_b32_e32 v45, v45, v41
	v_sub_co_u32 v45, vcc_lo, v45, v41
	s_delay_alu instid0(VALU_DEP_3) | instskip(SKIP_1) | instid1(VALU_DEP_2)
	v_sub_co_ci_u32_e32 v41, vcc_lo, v42, v41, vcc_lo
	v_cmp_class_f32_e64 vcc_lo, v33, 0x1f8
	v_dual_mov_b32 v33, 0 :: v_dual_cndmask_b32 v42, -1, v41
	s_delay_alu instid0(VALU_DEP_4) | instskip(NEXT) | instid1(VALU_DEP_1)
	v_cndmask_b32_e32 v41, -1, v45, vcc_lo
	v_cmpx_lt_i64_e32 -1, v[41:42]
	s_cbranch_execz .LBB51_159
; %bb.148:
	v_mov_b32_e32 v33, 1.0
	s_mov_b32 s14, exec_lo
	v_cmpx_lt_i64_e32 0, v[41:42]
	s_cbranch_execz .LBB51_158
; %bb.149:
	v_lshlrev_b32_e32 v45, 16, v43
                                        ; implicit-def: $vgpr33
	s_mov_b32 s10, exec_lo
	v_cmpx_ne_u64_e32 1, v[41:42]
	s_xor_b32 s16, exec_lo, s10
	s_cbranch_execz .LBB51_155
; %bb.150:
	v_mov_b32_e32 v33, 0x7fc00000
	s_mov_b32 s17, exec_lo
	v_cmpx_gt_u64_e32 0x81, v[41:42]
	s_cbranch_execz .LBB51_154
; %bb.151:
	v_dual_add_f32 v45, v45, v45 :: v_dual_mov_b32 v46, 1.0
	v_lshlrev_b64 v[41:42], 1, v[41:42]
	s_mov_b64 s[10:11], 2
	s_mov_b32 s18, 0
	s_delay_alu instid0(VALU_DEP_2)
	v_mov_b32_e32 v33, v45
	.p2align	6
.LBB51_152:                             ; =>This Inner Loop Header: Depth=1
	s_clz_i32_u32 s19, s11
	s_delay_alu instid0(SALU_CYCLE_1) | instskip(NEXT) | instid1(SALU_CYCLE_1)
	s_min_u32 s19, s19, 32
	s_lshl_b64 s[20:21], s[10:11], s19
	s_sub_i32 s19, 32, s19
	s_min_u32 s20, s20, 1
	s_delay_alu instid0(SALU_CYCLE_1) | instskip(SKIP_3) | instid1(SALU_CYCLE_1)
	s_or_b32 s20, s21, s20
	s_add_u32 s10, s10, 2
	v_cvt_f32_u32_e32 v47, s20
	s_addc_u32 s11, s11, 0
	v_cmp_ge_u64_e32 vcc_lo, s[10:11], v[41:42]
	s_delay_alu instid0(VALU_DEP_2) | instskip(SKIP_1) | instid1(VALU_DEP_1)
	v_ldexp_f32 v47, v47, s19
	s_or_b32 s18, vcc_lo, s18
	v_dual_mul_f32 v47, v46, v47 :: v_dual_mov_b32 v46, v33
	s_delay_alu instid0(VALU_DEP_1)
	v_fma_f32 v33, v45, v33, -v47
	s_and_not1_b32 exec_lo, exec_lo, s18
	s_cbranch_execnz .LBB51_152
; %bb.153:
	s_or_b32 exec_lo, exec_lo, s18
.LBB51_154:
	s_delay_alu instid0(SALU_CYCLE_1)
	s_or_b32 exec_lo, exec_lo, s17
                                        ; implicit-def: $vgpr45
.LBB51_155:
	s_and_not1_saveexec_b32 s10, s16
; %bb.156:
	v_add_f32_e32 v33, v45, v45
; %bb.157:
	s_or_b32 exec_lo, exec_lo, s10
.LBB51_158:
	s_delay_alu instid0(SALU_CYCLE_1)
	s_or_b32 exec_lo, exec_lo, s14
.LBB51_159:
	s_delay_alu instid0(SALU_CYCLE_1) | instskip(SKIP_2) | instid1(VALU_DEP_1)
	s_or_b32 exec_lo, exec_lo, s13
	v_trunc_f32_e32 v41, v34
	s_mov_b32 s13, exec_lo
	v_mul_f32_e64 v42, 0x2f800000, |v41|
	s_delay_alu instid0(VALU_DEP_1) | instskip(NEXT) | instid1(VALU_DEP_1)
	v_floor_f32_e32 v42, v42
	v_fma_f32 v45, 0xcf800000, v42, |v41|
	v_ashrrev_i32_e32 v41, 31, v41
	v_cvt_u32_f32_e32 v42, v42
	s_delay_alu instid0(VALU_DEP_3) | instskip(NEXT) | instid1(VALU_DEP_2)
	v_cvt_u32_f32_e32 v45, v45
	v_xor_b32_e32 v42, v42, v41
	s_delay_alu instid0(VALU_DEP_2) | instskip(NEXT) | instid1(VALU_DEP_1)
	v_xor_b32_e32 v45, v45, v41
	v_sub_co_u32 v45, vcc_lo, v45, v41
	s_delay_alu instid0(VALU_DEP_3) | instskip(SKIP_2) | instid1(VALU_DEP_3)
	v_sub_co_ci_u32_e32 v41, vcc_lo, v42, v41, vcc_lo
	v_cmp_class_f32_e64 vcc_lo, v34, 0x1f8
	v_mov_b32_e32 v34, 0
	v_cndmask_b32_e32 v42, -1, v41, vcc_lo
	v_cndmask_b32_e32 v41, -1, v45, vcc_lo
	s_delay_alu instid0(VALU_DEP_1)
	v_cmpx_lt_i64_e32 -1, v[41:42]
	s_cbranch_execz .LBB51_171
; %bb.160:
	v_mov_b32_e32 v34, 1.0
	s_mov_b32 s14, exec_lo
	v_cmpx_lt_i64_e32 0, v[41:42]
	s_cbranch_execz .LBB51_170
; %bb.161:
	v_and_b32_e32 v43, 0xffff0000, v43
	s_mov_b32 s10, exec_lo
	v_cmpx_ne_u64_e32 1, v[41:42]
	s_xor_b32 s16, exec_lo, s10
	s_cbranch_execz .LBB51_167
; %bb.162:
	v_mov_b32_e32 v34, 0x7fc00000
	s_mov_b32 s17, exec_lo
	v_cmpx_gt_u64_e32 0x81, v[41:42]
	s_cbranch_execz .LBB51_166
; %bb.163:
	v_add_f32_e32 v43, v43, v43
	v_lshlrev_b64 v[41:42], 1, v[41:42]
	v_mov_b32_e32 v45, 1.0
	s_mov_b64 s[10:11], 2
	s_mov_b32 s18, 0
	v_mov_b32_e32 v34, v43
	.p2align	6
.LBB51_164:                             ; =>This Inner Loop Header: Depth=1
	s_clz_i32_u32 s19, s11
	s_delay_alu instid0(SALU_CYCLE_1) | instskip(NEXT) | instid1(SALU_CYCLE_1)
	s_min_u32 s19, s19, 32
	s_lshl_b64 s[20:21], s[10:11], s19
	s_sub_i32 s19, 32, s19
	s_min_u32 s20, s20, 1
	s_delay_alu instid0(SALU_CYCLE_1) | instskip(SKIP_3) | instid1(SALU_CYCLE_1)
	s_or_b32 s20, s21, s20
	s_add_u32 s10, s10, 2
	v_cvt_f32_u32_e32 v46, s20
	s_addc_u32 s11, s11, 0
	v_cmp_ge_u64_e32 vcc_lo, s[10:11], v[41:42]
	s_delay_alu instid0(VALU_DEP_2) | instskip(SKIP_1) | instid1(VALU_DEP_1)
	v_ldexp_f32 v46, v46, s19
	s_or_b32 s18, vcc_lo, s18
	v_dual_mul_f32 v46, v45, v46 :: v_dual_mov_b32 v45, v34
	s_delay_alu instid0(VALU_DEP_1)
	v_fma_f32 v34, v43, v34, -v46
	s_and_not1_b32 exec_lo, exec_lo, s18
	s_cbranch_execnz .LBB51_164
; %bb.165:
	s_or_b32 exec_lo, exec_lo, s18
.LBB51_166:
	s_delay_alu instid0(SALU_CYCLE_1)
	s_or_b32 exec_lo, exec_lo, s17
                                        ; implicit-def: $vgpr43
.LBB51_167:
	s_and_not1_saveexec_b32 s10, s16
; %bb.168:
	v_add_f32_e32 v34, v43, v43
; %bb.169:
	s_or_b32 exec_lo, exec_lo, s10
.LBB51_170:
	s_delay_alu instid0(SALU_CYCLE_1)
	s_or_b32 exec_lo, exec_lo, s14
.LBB51_171:
	s_delay_alu instid0(SALU_CYCLE_1) | instskip(SKIP_2) | instid1(VALU_DEP_1)
	s_or_b32 exec_lo, exec_lo, s13
	v_trunc_f32_e32 v41, v35
	s_mov_b32 s13, exec_lo
	v_mul_f32_e64 v42, 0x2f800000, |v41|
	s_delay_alu instid0(VALU_DEP_1) | instskip(NEXT) | instid1(VALU_DEP_1)
	v_floor_f32_e32 v42, v42
	v_fma_f32 v43, 0xcf800000, v42, |v41|
	v_ashrrev_i32_e32 v41, 31, v41
	v_cvt_u32_f32_e32 v42, v42
	s_delay_alu instid0(VALU_DEP_3) | instskip(NEXT) | instid1(VALU_DEP_2)
	v_cvt_u32_f32_e32 v43, v43
	v_xor_b32_e32 v42, v42, v41
	s_delay_alu instid0(VALU_DEP_2) | instskip(NEXT) | instid1(VALU_DEP_1)
	v_xor_b32_e32 v43, v43, v41
	v_sub_co_u32 v43, vcc_lo, v43, v41
	s_delay_alu instid0(VALU_DEP_3) | instskip(SKIP_1) | instid1(VALU_DEP_2)
	v_sub_co_ci_u32_e32 v41, vcc_lo, v42, v41, vcc_lo
	v_cmp_class_f32_e64 vcc_lo, v35, 0x1f8
	v_dual_mov_b32 v35, 0 :: v_dual_cndmask_b32 v42, -1, v41
	s_delay_alu instid0(VALU_DEP_4) | instskip(NEXT) | instid1(VALU_DEP_1)
	v_cndmask_b32_e32 v41, -1, v43, vcc_lo
	v_cmpx_lt_i64_e32 -1, v[41:42]
	s_cbranch_execz .LBB51_183
; %bb.172:
	v_mov_b32_e32 v35, 1.0
	s_mov_b32 s14, exec_lo
	v_cmpx_lt_i64_e32 0, v[41:42]
	s_cbranch_execz .LBB51_182
; %bb.173:
	v_lshlrev_b32_e32 v43, 16, v44
	s_mov_b32 s10, exec_lo
	v_cmpx_ne_u64_e32 1, v[41:42]
	s_xor_b32 s16, exec_lo, s10
	s_cbranch_execz .LBB51_179
; %bb.174:
	v_mov_b32_e32 v35, 0x7fc00000
	s_mov_b32 s17, exec_lo
	v_cmpx_gt_u64_e32 0x81, v[41:42]
	s_cbranch_execz .LBB51_178
; %bb.175:
	v_add_f32_e32 v43, v43, v43
	v_lshlrev_b64 v[41:42], 1, v[41:42]
	v_mov_b32_e32 v45, 1.0
	s_mov_b64 s[10:11], 2
	s_mov_b32 s18, 0
	v_mov_b32_e32 v35, v43
	.p2align	6
.LBB51_176:                             ; =>This Inner Loop Header: Depth=1
	s_clz_i32_u32 s19, s11
	s_delay_alu instid0(SALU_CYCLE_1) | instskip(NEXT) | instid1(SALU_CYCLE_1)
	s_min_u32 s19, s19, 32
	s_lshl_b64 s[20:21], s[10:11], s19
	s_sub_i32 s19, 32, s19
	s_min_u32 s20, s20, 1
	s_delay_alu instid0(SALU_CYCLE_1) | instskip(SKIP_3) | instid1(SALU_CYCLE_1)
	s_or_b32 s20, s21, s20
	s_add_u32 s10, s10, 2
	v_cvt_f32_u32_e32 v46, s20
	s_addc_u32 s11, s11, 0
	v_cmp_ge_u64_e32 vcc_lo, s[10:11], v[41:42]
	s_delay_alu instid0(VALU_DEP_2) | instskip(SKIP_1) | instid1(VALU_DEP_1)
	v_ldexp_f32 v46, v46, s19
	s_or_b32 s18, vcc_lo, s18
	v_dual_mul_f32 v46, v45, v46 :: v_dual_mov_b32 v45, v35
	s_delay_alu instid0(VALU_DEP_1)
	v_fma_f32 v35, v43, v35, -v46
	s_and_not1_b32 exec_lo, exec_lo, s18
	s_cbranch_execnz .LBB51_176
; %bb.177:
	s_or_b32 exec_lo, exec_lo, s18
.LBB51_178:
	s_delay_alu instid0(SALU_CYCLE_1)
	s_or_b32 exec_lo, exec_lo, s17
                                        ; implicit-def: $vgpr43
.LBB51_179:
	s_and_not1_saveexec_b32 s10, s16
; %bb.180:
	v_add_f32_e32 v35, v43, v43
; %bb.181:
	s_or_b32 exec_lo, exec_lo, s10
.LBB51_182:
	s_delay_alu instid0(SALU_CYCLE_1)
	s_or_b32 exec_lo, exec_lo, s14
.LBB51_183:
	s_delay_alu instid0(SALU_CYCLE_1) | instskip(SKIP_2) | instid1(VALU_DEP_1)
	s_or_b32 exec_lo, exec_lo, s13
	v_trunc_f32_e32 v41, v36
	s_mov_b32 s13, exec_lo
	v_mul_f32_e64 v42, 0x2f800000, |v41|
	s_delay_alu instid0(VALU_DEP_1) | instskip(NEXT) | instid1(VALU_DEP_1)
	v_floor_f32_e32 v42, v42
	v_fma_f32 v43, 0xcf800000, v42, |v41|
	v_ashrrev_i32_e32 v41, 31, v41
	v_cvt_u32_f32_e32 v42, v42
	s_delay_alu instid0(VALU_DEP_3) | instskip(NEXT) | instid1(VALU_DEP_2)
	v_cvt_u32_f32_e32 v43, v43
	v_xor_b32_e32 v42, v42, v41
	s_delay_alu instid0(VALU_DEP_2) | instskip(NEXT) | instid1(VALU_DEP_1)
	v_xor_b32_e32 v43, v43, v41
	v_sub_co_u32 v43, vcc_lo, v43, v41
	s_delay_alu instid0(VALU_DEP_3) | instskip(SKIP_2) | instid1(VALU_DEP_3)
	v_sub_co_ci_u32_e32 v41, vcc_lo, v42, v41, vcc_lo
	v_cmp_class_f32_e64 vcc_lo, v36, 0x1f8
	v_mov_b32_e32 v36, 0
	v_dual_cndmask_b32 v42, -1, v41 :: v_dual_cndmask_b32 v41, -1, v43
	s_delay_alu instid0(VALU_DEP_1)
	v_cmpx_lt_i64_e32 -1, v[41:42]
	s_cbranch_execz .LBB51_195
; %bb.184:
	v_mov_b32_e32 v36, 1.0
	s_mov_b32 s14, exec_lo
	v_cmpx_lt_i64_e32 0, v[41:42]
	s_cbranch_execz .LBB51_194
; %bb.185:
	v_and_b32_e32 v43, 0xffff0000, v44
	s_mov_b32 s10, exec_lo
	v_cmpx_ne_u64_e32 1, v[41:42]
	s_xor_b32 s16, exec_lo, s10
	s_cbranch_execz .LBB51_191
; %bb.186:
	v_mov_b32_e32 v36, 0x7fc00000
	s_mov_b32 s17, exec_lo
	v_cmpx_gt_u64_e32 0x81, v[41:42]
	s_cbranch_execz .LBB51_190
; %bb.187:
	v_dual_add_f32 v43, v43, v43 :: v_dual_mov_b32 v44, 1.0
	v_lshlrev_b64 v[41:42], 1, v[41:42]
	s_mov_b64 s[10:11], 2
	s_mov_b32 s18, 0
	s_delay_alu instid0(VALU_DEP_2)
	v_mov_b32_e32 v36, v43
	.p2align	6
.LBB51_188:                             ; =>This Inner Loop Header: Depth=1
	s_clz_i32_u32 s19, s11
	s_delay_alu instid0(SALU_CYCLE_1) | instskip(NEXT) | instid1(SALU_CYCLE_1)
	s_min_u32 s19, s19, 32
	s_lshl_b64 s[20:21], s[10:11], s19
	s_sub_i32 s19, 32, s19
	s_min_u32 s20, s20, 1
	s_delay_alu instid0(SALU_CYCLE_1) | instskip(SKIP_3) | instid1(SALU_CYCLE_1)
	s_or_b32 s20, s21, s20
	s_add_u32 s10, s10, 2
	v_cvt_f32_u32_e32 v45, s20
	s_addc_u32 s11, s11, 0
	v_cmp_ge_u64_e32 vcc_lo, s[10:11], v[41:42]
	s_delay_alu instid0(VALU_DEP_2) | instskip(SKIP_1) | instid1(VALU_DEP_1)
	v_ldexp_f32 v45, v45, s19
	s_or_b32 s18, vcc_lo, s18
	v_mul_f32_e32 v45, v44, v45
	v_mov_b32_e32 v44, v36
	s_delay_alu instid0(VALU_DEP_2)
	v_fma_f32 v36, v43, v36, -v45
	s_and_not1_b32 exec_lo, exec_lo, s18
	s_cbranch_execnz .LBB51_188
; %bb.189:
	s_or_b32 exec_lo, exec_lo, s18
.LBB51_190:
	s_delay_alu instid0(SALU_CYCLE_1)
	s_or_b32 exec_lo, exec_lo, s17
                                        ; implicit-def: $vgpr43
.LBB51_191:
	s_and_not1_saveexec_b32 s10, s16
; %bb.192:
	v_add_f32_e32 v36, v43, v43
; %bb.193:
	s_or_b32 exec_lo, exec_lo, s10
.LBB51_194:
	s_delay_alu instid0(SALU_CYCLE_1)
	s_or_b32 exec_lo, exec_lo, s14
.LBB51_195:
	s_delay_alu instid0(SALU_CYCLE_1) | instskip(SKIP_2) | instid1(VALU_DEP_1)
	s_or_b32 exec_lo, exec_lo, s13
	v_trunc_f32_e32 v41, v37
	s_mov_b32 s13, exec_lo
	v_mul_f32_e64 v42, 0x2f800000, |v41|
	s_delay_alu instid0(VALU_DEP_1) | instskip(NEXT) | instid1(VALU_DEP_1)
	v_floor_f32_e32 v42, v42
	v_fma_f32 v43, 0xcf800000, v42, |v41|
	v_ashrrev_i32_e32 v41, 31, v41
	v_cvt_u32_f32_e32 v42, v42
	s_delay_alu instid0(VALU_DEP_3) | instskip(NEXT) | instid1(VALU_DEP_2)
	v_cvt_u32_f32_e32 v43, v43
	v_xor_b32_e32 v42, v42, v41
	s_delay_alu instid0(VALU_DEP_2) | instskip(NEXT) | instid1(VALU_DEP_1)
	v_xor_b32_e32 v43, v43, v41
	v_sub_co_u32 v43, vcc_lo, v43, v41
	s_delay_alu instid0(VALU_DEP_3) | instskip(SKIP_1) | instid1(VALU_DEP_2)
	v_sub_co_ci_u32_e32 v41, vcc_lo, v42, v41, vcc_lo
	v_cmp_class_f32_e64 vcc_lo, v37, 0x1f8
	v_dual_mov_b32 v37, 0 :: v_dual_cndmask_b32 v42, -1, v41
	s_delay_alu instid0(VALU_DEP_4) | instskip(NEXT) | instid1(VALU_DEP_1)
	v_cndmask_b32_e32 v41, -1, v43, vcc_lo
	v_cmpx_lt_i64_e32 -1, v[41:42]
	s_cbranch_execz .LBB51_207
; %bb.196:
	v_mov_b32_e32 v37, 1.0
	s_mov_b32 s14, exec_lo
	v_cmpx_lt_i64_e32 0, v[41:42]
	s_cbranch_execz .LBB51_206
; %bb.197:
	v_lshlrev_b32_e32 v43, 16, v25
                                        ; implicit-def: $vgpr37
	s_mov_b32 s10, exec_lo
	v_cmpx_ne_u64_e32 1, v[41:42]
	s_xor_b32 s16, exec_lo, s10
	s_cbranch_execz .LBB51_203
; %bb.198:
	v_mov_b32_e32 v37, 0x7fc00000
	s_mov_b32 s17, exec_lo
	v_cmpx_gt_u64_e32 0x81, v[41:42]
	s_cbranch_execz .LBB51_202
; %bb.199:
	v_dual_add_f32 v43, v43, v43 :: v_dual_mov_b32 v44, 1.0
	v_lshlrev_b64 v[41:42], 1, v[41:42]
	s_mov_b64 s[10:11], 2
	s_mov_b32 s18, 0
	s_delay_alu instid0(VALU_DEP_2)
	v_mov_b32_e32 v37, v43
	.p2align	6
.LBB51_200:                             ; =>This Inner Loop Header: Depth=1
	s_clz_i32_u32 s19, s11
	s_delay_alu instid0(SALU_CYCLE_1) | instskip(NEXT) | instid1(SALU_CYCLE_1)
	s_min_u32 s19, s19, 32
	s_lshl_b64 s[20:21], s[10:11], s19
	s_sub_i32 s19, 32, s19
	s_min_u32 s20, s20, 1
	s_delay_alu instid0(SALU_CYCLE_1) | instskip(SKIP_3) | instid1(SALU_CYCLE_1)
	s_or_b32 s20, s21, s20
	s_add_u32 s10, s10, 2
	v_cvt_f32_u32_e32 v45, s20
	s_addc_u32 s11, s11, 0
	v_cmp_ge_u64_e32 vcc_lo, s[10:11], v[41:42]
	s_delay_alu instid0(VALU_DEP_2) | instskip(SKIP_1) | instid1(VALU_DEP_1)
	v_ldexp_f32 v45, v45, s19
	s_or_b32 s18, vcc_lo, s18
	v_dual_mul_f32 v45, v44, v45 :: v_dual_mov_b32 v44, v37
	s_delay_alu instid0(VALU_DEP_1)
	v_fma_f32 v37, v43, v37, -v45
	s_and_not1_b32 exec_lo, exec_lo, s18
	s_cbranch_execnz .LBB51_200
; %bb.201:
	s_or_b32 exec_lo, exec_lo, s18
.LBB51_202:
	s_delay_alu instid0(SALU_CYCLE_1)
	s_or_b32 exec_lo, exec_lo, s17
                                        ; implicit-def: $vgpr43
.LBB51_203:
	s_and_not1_saveexec_b32 s10, s16
; %bb.204:
	v_add_f32_e32 v37, v43, v43
; %bb.205:
	s_or_b32 exec_lo, exec_lo, s10
.LBB51_206:
	s_delay_alu instid0(SALU_CYCLE_1)
	s_or_b32 exec_lo, exec_lo, s14
.LBB51_207:
	s_delay_alu instid0(SALU_CYCLE_1) | instskip(SKIP_2) | instid1(VALU_DEP_1)
	s_or_b32 exec_lo, exec_lo, s13
	v_trunc_f32_e32 v41, v38
	s_mov_b32 s13, exec_lo
	v_mul_f32_e64 v42, 0x2f800000, |v41|
	s_delay_alu instid0(VALU_DEP_1) | instskip(NEXT) | instid1(VALU_DEP_1)
	v_floor_f32_e32 v42, v42
	v_fma_f32 v43, 0xcf800000, v42, |v41|
	v_ashrrev_i32_e32 v41, 31, v41
	v_cvt_u32_f32_e32 v42, v42
	s_delay_alu instid0(VALU_DEP_3) | instskip(NEXT) | instid1(VALU_DEP_2)
	v_cvt_u32_f32_e32 v43, v43
	v_xor_b32_e32 v42, v42, v41
	s_delay_alu instid0(VALU_DEP_2) | instskip(NEXT) | instid1(VALU_DEP_1)
	v_xor_b32_e32 v43, v43, v41
	v_sub_co_u32 v43, vcc_lo, v43, v41
	s_delay_alu instid0(VALU_DEP_3) | instskip(SKIP_2) | instid1(VALU_DEP_3)
	v_sub_co_ci_u32_e32 v41, vcc_lo, v42, v41, vcc_lo
	v_cmp_class_f32_e64 vcc_lo, v38, 0x1f8
	v_mov_b32_e32 v38, 0
	v_dual_cndmask_b32 v42, -1, v41 :: v_dual_cndmask_b32 v41, -1, v43
	s_delay_alu instid0(VALU_DEP_1)
	v_cmpx_lt_i64_e32 -1, v[41:42]
	s_cbranch_execz .LBB51_219
; %bb.208:
	v_mov_b32_e32 v38, 1.0
	s_mov_b32 s14, exec_lo
	v_cmpx_lt_i64_e32 0, v[41:42]
	s_cbranch_execz .LBB51_218
; %bb.209:
	v_and_b32_e32 v25, 0xffff0000, v25
	s_mov_b32 s10, exec_lo
	v_cmpx_ne_u64_e32 1, v[41:42]
	s_xor_b32 s16, exec_lo, s10
	s_cbranch_execz .LBB51_215
; %bb.210:
	v_mov_b32_e32 v38, 0x7fc00000
	s_mov_b32 s17, exec_lo
	v_cmpx_gt_u64_e32 0x81, v[41:42]
	s_cbranch_execz .LBB51_214
; %bb.211:
	v_add_f32_e32 v25, v25, v25
	v_lshlrev_b64 v[41:42], 1, v[41:42]
	v_mov_b32_e32 v43, 1.0
	s_mov_b64 s[10:11], 2
	s_mov_b32 s18, 0
	v_mov_b32_e32 v38, v25
	.p2align	6
.LBB51_212:                             ; =>This Inner Loop Header: Depth=1
	s_clz_i32_u32 s19, s11
	s_delay_alu instid0(SALU_CYCLE_1) | instskip(NEXT) | instid1(SALU_CYCLE_1)
	s_min_u32 s19, s19, 32
	s_lshl_b64 s[20:21], s[10:11], s19
	s_sub_i32 s19, 32, s19
	s_min_u32 s20, s20, 1
	s_delay_alu instid0(SALU_CYCLE_1) | instskip(SKIP_3) | instid1(SALU_CYCLE_1)
	s_or_b32 s20, s21, s20
	s_add_u32 s10, s10, 2
	v_cvt_f32_u32_e32 v44, s20
	s_addc_u32 s11, s11, 0
	v_cmp_ge_u64_e32 vcc_lo, s[10:11], v[41:42]
	s_delay_alu instid0(VALU_DEP_2) | instskip(SKIP_1) | instid1(VALU_DEP_1)
	v_ldexp_f32 v44, v44, s19
	s_or_b32 s18, vcc_lo, s18
	v_dual_mul_f32 v44, v43, v44 :: v_dual_mov_b32 v43, v38
	s_delay_alu instid0(VALU_DEP_1)
	v_fma_f32 v38, v25, v38, -v44
	s_and_not1_b32 exec_lo, exec_lo, s18
	s_cbranch_execnz .LBB51_212
; %bb.213:
	s_or_b32 exec_lo, exec_lo, s18
.LBB51_214:
	s_delay_alu instid0(SALU_CYCLE_1)
	s_or_b32 exec_lo, exec_lo, s17
                                        ; implicit-def: $vgpr25
.LBB51_215:
	s_and_not1_saveexec_b32 s10, s16
; %bb.216:
	v_add_f32_e32 v38, v25, v25
; %bb.217:
	s_or_b32 exec_lo, exec_lo, s10
.LBB51_218:
	s_delay_alu instid0(SALU_CYCLE_1)
	s_or_b32 exec_lo, exec_lo, s14
.LBB51_219:
	s_delay_alu instid0(SALU_CYCLE_1) | instskip(SKIP_2) | instid1(VALU_DEP_1)
	s_or_b32 exec_lo, exec_lo, s13
	v_trunc_f32_e32 v25, v39
	s_mov_b32 s13, exec_lo
	v_mul_f32_e64 v41, 0x2f800000, |v25|
	s_delay_alu instid0(VALU_DEP_1) | instskip(NEXT) | instid1(VALU_DEP_1)
	v_floor_f32_e32 v41, v41
	v_fma_f32 v42, 0xcf800000, v41, |v25|
	v_ashrrev_i32_e32 v25, 31, v25
	v_cvt_u32_f32_e32 v41, v41
	s_delay_alu instid0(VALU_DEP_3) | instskip(NEXT) | instid1(VALU_DEP_2)
	v_cvt_u32_f32_e32 v42, v42
	v_xor_b32_e32 v41, v41, v25
	s_delay_alu instid0(VALU_DEP_2) | instskip(NEXT) | instid1(VALU_DEP_1)
	v_xor_b32_e32 v42, v42, v25
	v_sub_co_u32 v43, vcc_lo, v42, v25
	s_delay_alu instid0(VALU_DEP_3) | instskip(SKIP_1) | instid1(VALU_DEP_2)
	v_sub_co_ci_u32_e32 v25, vcc_lo, v41, v25, vcc_lo
	v_cmp_class_f32_e64 vcc_lo, v39, 0x1f8
	v_dual_mov_b32 v39, 0 :: v_dual_cndmask_b32 v42, -1, v25
	s_delay_alu instid0(VALU_DEP_4) | instskip(NEXT) | instid1(VALU_DEP_1)
	v_cndmask_b32_e32 v41, -1, v43, vcc_lo
	v_cmpx_lt_i64_e32 -1, v[41:42]
	s_cbranch_execz .LBB51_231
; %bb.220:
	v_mov_b32_e32 v39, 1.0
	s_mov_b32 s14, exec_lo
	v_cmpx_lt_i64_e32 0, v[41:42]
	s_cbranch_execz .LBB51_230
; %bb.221:
	v_lshlrev_b32_e32 v25, 16, v26
	s_mov_b32 s10, exec_lo
	v_cmpx_ne_u64_e32 1, v[41:42]
	s_xor_b32 s16, exec_lo, s10
	s_cbranch_execz .LBB51_227
; %bb.222:
	v_mov_b32_e32 v39, 0x7fc00000
	s_mov_b32 s17, exec_lo
	v_cmpx_gt_u64_e32 0x81, v[41:42]
	s_cbranch_execz .LBB51_226
; %bb.223:
	v_add_f32_e32 v25, v25, v25
	v_lshlrev_b64 v[41:42], 1, v[41:42]
	v_mov_b32_e32 v43, 1.0
	s_mov_b64 s[10:11], 2
	s_mov_b32 s18, 0
	v_mov_b32_e32 v39, v25
	.p2align	6
.LBB51_224:                             ; =>This Inner Loop Header: Depth=1
	s_clz_i32_u32 s19, s11
	s_delay_alu instid0(SALU_CYCLE_1) | instskip(NEXT) | instid1(SALU_CYCLE_1)
	s_min_u32 s19, s19, 32
	s_lshl_b64 s[20:21], s[10:11], s19
	s_sub_i32 s19, 32, s19
	s_min_u32 s20, s20, 1
	s_delay_alu instid0(SALU_CYCLE_1) | instskip(SKIP_3) | instid1(SALU_CYCLE_1)
	s_or_b32 s20, s21, s20
	s_add_u32 s10, s10, 2
	v_cvt_f32_u32_e32 v44, s20
	s_addc_u32 s11, s11, 0
	v_cmp_ge_u64_e32 vcc_lo, s[10:11], v[41:42]
	s_delay_alu instid0(VALU_DEP_2) | instskip(SKIP_1) | instid1(VALU_DEP_1)
	v_ldexp_f32 v44, v44, s19
	s_or_b32 s18, vcc_lo, s18
	v_mul_f32_e32 v44, v43, v44
	v_mov_b32_e32 v43, v39
	s_delay_alu instid0(VALU_DEP_2)
	v_fma_f32 v39, v25, v39, -v44
	s_and_not1_b32 exec_lo, exec_lo, s18
	s_cbranch_execnz .LBB51_224
; %bb.225:
	s_or_b32 exec_lo, exec_lo, s18
.LBB51_226:
	s_delay_alu instid0(SALU_CYCLE_1)
	s_or_b32 exec_lo, exec_lo, s17
                                        ; implicit-def: $vgpr25
.LBB51_227:
	s_and_not1_saveexec_b32 s10, s16
; %bb.228:
	v_add_f32_e32 v39, v25, v25
; %bb.229:
	s_or_b32 exec_lo, exec_lo, s10
.LBB51_230:
	s_delay_alu instid0(SALU_CYCLE_1)
	s_or_b32 exec_lo, exec_lo, s14
.LBB51_231:
	s_delay_alu instid0(SALU_CYCLE_1) | instskip(SKIP_2) | instid1(VALU_DEP_1)
	s_or_b32 exec_lo, exec_lo, s13
	v_trunc_f32_e32 v25, v40
	s_mov_b32 s13, exec_lo
	v_mul_f32_e64 v41, 0x2f800000, |v25|
	s_delay_alu instid0(VALU_DEP_1) | instskip(NEXT) | instid1(VALU_DEP_1)
	v_floor_f32_e32 v41, v41
	v_fma_f32 v42, 0xcf800000, v41, |v25|
	v_ashrrev_i32_e32 v25, 31, v25
	v_cvt_u32_f32_e32 v41, v41
	s_delay_alu instid0(VALU_DEP_3) | instskip(NEXT) | instid1(VALU_DEP_2)
	v_cvt_u32_f32_e32 v42, v42
	v_xor_b32_e32 v41, v41, v25
	s_delay_alu instid0(VALU_DEP_2) | instskip(NEXT) | instid1(VALU_DEP_1)
	v_xor_b32_e32 v42, v42, v25
	v_sub_co_u32 v43, vcc_lo, v42, v25
	s_delay_alu instid0(VALU_DEP_3) | instskip(SKIP_2) | instid1(VALU_DEP_3)
	v_sub_co_ci_u32_e32 v25, vcc_lo, v41, v25, vcc_lo
	v_cmp_class_f32_e64 vcc_lo, v40, 0x1f8
	v_mov_b32_e32 v40, 0
	v_dual_cndmask_b32 v42, -1, v25 :: v_dual_cndmask_b32 v41, -1, v43
	s_delay_alu instid0(VALU_DEP_1)
	v_cmpx_lt_i64_e32 -1, v[41:42]
	s_cbranch_execz .LBB51_243
; %bb.232:
	v_mov_b32_e32 v40, 1.0
	s_mov_b32 s14, exec_lo
	v_cmpx_lt_i64_e32 0, v[41:42]
	s_cbranch_execz .LBB51_242
; %bb.233:
	v_and_b32_e32 v25, 0xffff0000, v26
	s_mov_b32 s10, exec_lo
	v_cmpx_ne_u64_e32 1, v[41:42]
	s_xor_b32 s16, exec_lo, s10
	s_cbranch_execz .LBB51_239
; %bb.234:
	v_mov_b32_e32 v40, 0x7fc00000
	s_mov_b32 s17, exec_lo
	v_cmpx_gt_u64_e32 0x81, v[41:42]
	s_cbranch_execz .LBB51_238
; %bb.235:
	v_add_f32_e32 v43, v25, v25
	v_lshlrev_b64 v[25:26], 1, v[41:42]
	v_mov_b32_e32 v41, 1.0
	s_mov_b64 s[10:11], 2
	s_mov_b32 s18, 0
	v_mov_b32_e32 v40, v43
	.p2align	6
.LBB51_236:                             ; =>This Inner Loop Header: Depth=1
	s_clz_i32_u32 s19, s11
	s_delay_alu instid0(SALU_CYCLE_1) | instskip(NEXT) | instid1(SALU_CYCLE_1)
	s_min_u32 s19, s19, 32
	s_lshl_b64 s[20:21], s[10:11], s19
	s_sub_i32 s19, 32, s19
	s_min_u32 s20, s20, 1
	s_delay_alu instid0(SALU_CYCLE_1) | instskip(SKIP_3) | instid1(SALU_CYCLE_1)
	s_or_b32 s20, s21, s20
	s_add_u32 s10, s10, 2
	v_cvt_f32_u32_e32 v42, s20
	s_addc_u32 s11, s11, 0
	v_cmp_ge_u64_e32 vcc_lo, s[10:11], v[25:26]
	s_delay_alu instid0(VALU_DEP_2) | instskip(SKIP_1) | instid1(VALU_DEP_1)
	v_ldexp_f32 v42, v42, s19
	s_or_b32 s18, vcc_lo, s18
	v_dual_mul_f32 v42, v41, v42 :: v_dual_mov_b32 v41, v40
	s_delay_alu instid0(VALU_DEP_1)
	v_fma_f32 v40, v43, v40, -v42
	s_and_not1_b32 exec_lo, exec_lo, s18
	s_cbranch_execnz .LBB51_236
; %bb.237:
	s_or_b32 exec_lo, exec_lo, s18
.LBB51_238:
	s_delay_alu instid0(SALU_CYCLE_1)
	s_or_b32 exec_lo, exec_lo, s17
                                        ; implicit-def: $vgpr25
.LBB51_239:
	s_and_not1_saveexec_b32 s10, s16
; %bb.240:
	v_add_f32_e32 v40, v25, v25
; %bb.241:
	s_or_b32 exec_lo, exec_lo, s10
.LBB51_242:
	s_delay_alu instid0(SALU_CYCLE_1)
	s_or_b32 exec_lo, exec_lo, s14
.LBB51_243:
	s_delay_alu instid0(SALU_CYCLE_1) | instskip(SKIP_2) | instid1(VALU_DEP_1)
	s_or_b32 exec_lo, exec_lo, s13
	v_trunc_f32_e32 v25, v29
	s_mov_b32 s13, exec_lo
	v_mul_f32_e64 v26, 0x2f800000, |v25|
	s_delay_alu instid0(VALU_DEP_1) | instskip(NEXT) | instid1(VALU_DEP_1)
	v_floor_f32_e32 v26, v26
	v_fma_f32 v41, 0xcf800000, v26, |v25|
	v_ashrrev_i32_e32 v25, 31, v25
	v_cvt_u32_f32_e32 v26, v26
	s_delay_alu instid0(VALU_DEP_3) | instskip(NEXT) | instid1(VALU_DEP_2)
	v_cvt_u32_f32_e32 v41, v41
	v_xor_b32_e32 v26, v26, v25
	s_delay_alu instid0(VALU_DEP_2) | instskip(NEXT) | instid1(VALU_DEP_1)
	v_xor_b32_e32 v41, v41, v25
	v_sub_co_u32 v41, vcc_lo, v41, v25
	s_delay_alu instid0(VALU_DEP_3) | instskip(SKIP_1) | instid1(VALU_DEP_2)
	v_sub_co_ci_u32_e32 v25, vcc_lo, v26, v25, vcc_lo
	v_cmp_class_f32_e64 vcc_lo, v29, 0x1f8
	v_dual_mov_b32 v29, 0 :: v_dual_cndmask_b32 v26, -1, v25
	s_delay_alu instid0(VALU_DEP_4) | instskip(NEXT) | instid1(VALU_DEP_1)
	v_cndmask_b32_e32 v25, -1, v41, vcc_lo
	v_cmpx_lt_i64_e32 -1, v[25:26]
	s_cbranch_execz .LBB51_255
; %bb.244:
	v_mov_b32_e32 v29, 1.0
	s_mov_b32 s14, exec_lo
	v_cmpx_lt_i64_e32 0, v[25:26]
	s_cbranch_execz .LBB51_254
; %bb.245:
	v_lshlrev_b32_e32 v41, 16, v27
                                        ; implicit-def: $vgpr29
	s_mov_b32 s10, exec_lo
	v_cmpx_ne_u64_e32 1, v[25:26]
	s_xor_b32 s16, exec_lo, s10
	s_cbranch_execz .LBB51_251
; %bb.246:
	v_mov_b32_e32 v29, 0x7fc00000
	s_mov_b32 s17, exec_lo
	v_cmpx_gt_u64_e32 0x81, v[25:26]
	s_cbranch_execz .LBB51_250
; %bb.247:
	v_dual_add_f32 v41, v41, v41 :: v_dual_mov_b32 v42, 1.0
	v_lshlrev_b64 v[25:26], 1, v[25:26]
	s_mov_b64 s[10:11], 2
	s_mov_b32 s18, 0
	s_delay_alu instid0(VALU_DEP_2)
	v_mov_b32_e32 v29, v41
	.p2align	6
.LBB51_248:                             ; =>This Inner Loop Header: Depth=1
	s_clz_i32_u32 s19, s11
	s_delay_alu instid0(SALU_CYCLE_1) | instskip(NEXT) | instid1(SALU_CYCLE_1)
	s_min_u32 s19, s19, 32
	s_lshl_b64 s[20:21], s[10:11], s19
	s_sub_i32 s19, 32, s19
	s_min_u32 s20, s20, 1
	s_delay_alu instid0(SALU_CYCLE_1) | instskip(SKIP_3) | instid1(SALU_CYCLE_1)
	s_or_b32 s20, s21, s20
	s_add_u32 s10, s10, 2
	v_cvt_f32_u32_e32 v43, s20
	s_addc_u32 s11, s11, 0
	v_cmp_ge_u64_e32 vcc_lo, s[10:11], v[25:26]
	s_delay_alu instid0(VALU_DEP_2) | instskip(SKIP_1) | instid1(VALU_DEP_1)
	v_ldexp_f32 v43, v43, s19
	s_or_b32 s18, vcc_lo, s18
	v_dual_mul_f32 v43, v42, v43 :: v_dual_mov_b32 v42, v29
	s_delay_alu instid0(VALU_DEP_1)
	v_fma_f32 v29, v41, v29, -v43
	s_and_not1_b32 exec_lo, exec_lo, s18
	s_cbranch_execnz .LBB51_248
; %bb.249:
	s_or_b32 exec_lo, exec_lo, s18
.LBB51_250:
	s_delay_alu instid0(SALU_CYCLE_1)
	s_or_b32 exec_lo, exec_lo, s17
                                        ; implicit-def: $vgpr41
.LBB51_251:
	s_and_not1_saveexec_b32 s10, s16
; %bb.252:
	v_add_f32_e32 v29, v41, v41
; %bb.253:
	s_or_b32 exec_lo, exec_lo, s10
.LBB51_254:
	s_delay_alu instid0(SALU_CYCLE_1)
	s_or_b32 exec_lo, exec_lo, s14
.LBB51_255:
	s_delay_alu instid0(SALU_CYCLE_1) | instskip(SKIP_2) | instid1(VALU_DEP_1)
	s_or_b32 exec_lo, exec_lo, s13
	v_trunc_f32_e32 v25, v30
	s_mov_b32 s13, exec_lo
	v_mul_f32_e64 v26, 0x2f800000, |v25|
	s_delay_alu instid0(VALU_DEP_1) | instskip(NEXT) | instid1(VALU_DEP_1)
	v_floor_f32_e32 v26, v26
	v_fma_f32 v41, 0xcf800000, v26, |v25|
	v_ashrrev_i32_e32 v25, 31, v25
	v_cvt_u32_f32_e32 v26, v26
	s_delay_alu instid0(VALU_DEP_3) | instskip(NEXT) | instid1(VALU_DEP_2)
	v_cvt_u32_f32_e32 v41, v41
	v_xor_b32_e32 v26, v26, v25
	s_delay_alu instid0(VALU_DEP_2) | instskip(NEXT) | instid1(VALU_DEP_1)
	v_xor_b32_e32 v41, v41, v25
	v_sub_co_u32 v41, vcc_lo, v41, v25
	s_delay_alu instid0(VALU_DEP_3) | instskip(SKIP_2) | instid1(VALU_DEP_3)
	v_sub_co_ci_u32_e32 v25, vcc_lo, v26, v25, vcc_lo
	v_cmp_class_f32_e64 vcc_lo, v30, 0x1f8
	v_mov_b32_e32 v30, 0
	v_cndmask_b32_e32 v26, -1, v25, vcc_lo
	v_cndmask_b32_e32 v25, -1, v41, vcc_lo
	s_delay_alu instid0(VALU_DEP_1)
	v_cmpx_lt_i64_e32 -1, v[25:26]
	s_cbranch_execz .LBB51_267
; %bb.256:
	v_mov_b32_e32 v30, 1.0
	s_mov_b32 s14, exec_lo
	v_cmpx_lt_i64_e32 0, v[25:26]
	s_cbranch_execz .LBB51_266
; %bb.257:
	v_and_b32_e32 v27, 0xffff0000, v27
	s_mov_b32 s10, exec_lo
	v_cmpx_ne_u64_e32 1, v[25:26]
	s_xor_b32 s16, exec_lo, s10
	s_cbranch_execz .LBB51_263
; %bb.258:
	v_mov_b32_e32 v30, 0x7fc00000
	s_mov_b32 s17, exec_lo
	v_cmpx_gt_u64_e32 0x81, v[25:26]
	s_cbranch_execz .LBB51_262
; %bb.259:
	v_add_f32_e32 v27, v27, v27
	v_lshlrev_b64 v[25:26], 1, v[25:26]
	v_mov_b32_e32 v41, 1.0
	s_mov_b64 s[10:11], 2
	s_mov_b32 s18, 0
	v_mov_b32_e32 v30, v27
	.p2align	6
.LBB51_260:                             ; =>This Inner Loop Header: Depth=1
	s_clz_i32_u32 s19, s11
	s_delay_alu instid0(SALU_CYCLE_1) | instskip(NEXT) | instid1(SALU_CYCLE_1)
	s_min_u32 s19, s19, 32
	s_lshl_b64 s[20:21], s[10:11], s19
	s_sub_i32 s19, 32, s19
	s_min_u32 s20, s20, 1
	s_delay_alu instid0(SALU_CYCLE_1) | instskip(SKIP_3) | instid1(SALU_CYCLE_1)
	s_or_b32 s20, s21, s20
	s_add_u32 s10, s10, 2
	v_cvt_f32_u32_e32 v42, s20
	s_addc_u32 s11, s11, 0
	v_cmp_ge_u64_e32 vcc_lo, s[10:11], v[25:26]
	s_delay_alu instid0(VALU_DEP_2) | instskip(SKIP_1) | instid1(VALU_DEP_1)
	v_ldexp_f32 v42, v42, s19
	s_or_b32 s18, vcc_lo, s18
	v_dual_mul_f32 v42, v41, v42 :: v_dual_mov_b32 v41, v30
	s_delay_alu instid0(VALU_DEP_1)
	v_fma_f32 v30, v27, v30, -v42
	s_and_not1_b32 exec_lo, exec_lo, s18
	s_cbranch_execnz .LBB51_260
; %bb.261:
	s_or_b32 exec_lo, exec_lo, s18
.LBB51_262:
	s_delay_alu instid0(SALU_CYCLE_1)
	s_or_b32 exec_lo, exec_lo, s17
                                        ; implicit-def: $vgpr27
.LBB51_263:
	s_and_not1_saveexec_b32 s10, s16
; %bb.264:
	v_add_f32_e32 v30, v27, v27
; %bb.265:
	s_or_b32 exec_lo, exec_lo, s10
.LBB51_266:
	s_delay_alu instid0(SALU_CYCLE_1)
	s_or_b32 exec_lo, exec_lo, s14
.LBB51_267:
	s_delay_alu instid0(SALU_CYCLE_1) | instskip(SKIP_2) | instid1(VALU_DEP_1)
	s_or_b32 exec_lo, exec_lo, s13
	v_trunc_f32_e32 v25, v31
	s_mov_b32 s13, exec_lo
	v_mul_f32_e64 v26, 0x2f800000, |v25|
	s_delay_alu instid0(VALU_DEP_1) | instskip(NEXT) | instid1(VALU_DEP_1)
	v_floor_f32_e32 v26, v26
	v_fma_f32 v27, 0xcf800000, v26, |v25|
	v_ashrrev_i32_e32 v25, 31, v25
	v_cvt_u32_f32_e32 v26, v26
	s_delay_alu instid0(VALU_DEP_3) | instskip(NEXT) | instid1(VALU_DEP_2)
	v_cvt_u32_f32_e32 v27, v27
	v_xor_b32_e32 v26, v26, v25
	s_delay_alu instid0(VALU_DEP_2) | instskip(NEXT) | instid1(VALU_DEP_1)
	v_xor_b32_e32 v27, v27, v25
	v_sub_co_u32 v27, vcc_lo, v27, v25
	s_delay_alu instid0(VALU_DEP_3) | instskip(SKIP_1) | instid1(VALU_DEP_2)
	v_sub_co_ci_u32_e32 v25, vcc_lo, v26, v25, vcc_lo
	v_cmp_class_f32_e64 vcc_lo, v31, 0x1f8
	v_dual_mov_b32 v31, 0 :: v_dual_cndmask_b32 v26, -1, v25
	s_delay_alu instid0(VALU_DEP_4) | instskip(NEXT) | instid1(VALU_DEP_1)
	v_cndmask_b32_e32 v25, -1, v27, vcc_lo
	v_cmpx_lt_i64_e32 -1, v[25:26]
	s_cbranch_execz .LBB51_279
; %bb.268:
	v_mov_b32_e32 v31, 1.0
	s_mov_b32 s14, exec_lo
	v_cmpx_lt_i64_e32 0, v[25:26]
	s_cbranch_execz .LBB51_278
; %bb.269:
	v_lshlrev_b32_e32 v27, 16, v28
	s_mov_b32 s10, exec_lo
	v_cmpx_ne_u64_e32 1, v[25:26]
	s_xor_b32 s16, exec_lo, s10
	s_cbranch_execz .LBB51_275
; %bb.270:
	v_mov_b32_e32 v31, 0x7fc00000
	s_mov_b32 s17, exec_lo
	v_cmpx_gt_u64_e32 0x81, v[25:26]
	s_cbranch_execz .LBB51_274
; %bb.271:
	v_add_f32_e32 v27, v27, v27
	v_lshlrev_b64 v[25:26], 1, v[25:26]
	v_mov_b32_e32 v41, 1.0
	s_mov_b64 s[10:11], 2
	s_mov_b32 s18, 0
	v_mov_b32_e32 v31, v27
	.p2align	6
.LBB51_272:                             ; =>This Inner Loop Header: Depth=1
	s_clz_i32_u32 s19, s11
	s_delay_alu instid0(SALU_CYCLE_1) | instskip(NEXT) | instid1(SALU_CYCLE_1)
	s_min_u32 s19, s19, 32
	s_lshl_b64 s[20:21], s[10:11], s19
	s_sub_i32 s19, 32, s19
	s_min_u32 s20, s20, 1
	s_delay_alu instid0(SALU_CYCLE_1) | instskip(SKIP_3) | instid1(SALU_CYCLE_1)
	s_or_b32 s20, s21, s20
	s_add_u32 s10, s10, 2
	v_cvt_f32_u32_e32 v42, s20
	s_addc_u32 s11, s11, 0
	v_cmp_ge_u64_e32 vcc_lo, s[10:11], v[25:26]
	s_delay_alu instid0(VALU_DEP_2) | instskip(SKIP_1) | instid1(VALU_DEP_1)
	v_ldexp_f32 v42, v42, s19
	s_or_b32 s18, vcc_lo, s18
	v_dual_mul_f32 v42, v41, v42 :: v_dual_mov_b32 v41, v31
	s_delay_alu instid0(VALU_DEP_1)
	v_fma_f32 v31, v27, v31, -v42
	s_and_not1_b32 exec_lo, exec_lo, s18
	s_cbranch_execnz .LBB51_272
; %bb.273:
	s_or_b32 exec_lo, exec_lo, s18
.LBB51_274:
	s_delay_alu instid0(SALU_CYCLE_1)
	s_or_b32 exec_lo, exec_lo, s17
                                        ; implicit-def: $vgpr27
.LBB51_275:
	s_and_not1_saveexec_b32 s10, s16
; %bb.276:
	v_add_f32_e32 v31, v27, v27
; %bb.277:
	s_or_b32 exec_lo, exec_lo, s10
.LBB51_278:
	s_delay_alu instid0(SALU_CYCLE_1)
	s_or_b32 exec_lo, exec_lo, s14
.LBB51_279:
	s_delay_alu instid0(SALU_CYCLE_1) | instskip(SKIP_2) | instid1(VALU_DEP_1)
	s_or_b32 exec_lo, exec_lo, s13
	v_trunc_f32_e32 v25, v32
	s_mov_b32 s13, exec_lo
	v_mul_f32_e64 v26, 0x2f800000, |v25|
	s_delay_alu instid0(VALU_DEP_1) | instskip(NEXT) | instid1(VALU_DEP_1)
	v_floor_f32_e32 v26, v26
	v_fma_f32 v27, 0xcf800000, v26, |v25|
	v_ashrrev_i32_e32 v25, 31, v25
	v_cvt_u32_f32_e32 v26, v26
	s_delay_alu instid0(VALU_DEP_3) | instskip(NEXT) | instid1(VALU_DEP_2)
	v_cvt_u32_f32_e32 v27, v27
	v_xor_b32_e32 v26, v26, v25
	s_delay_alu instid0(VALU_DEP_2) | instskip(NEXT) | instid1(VALU_DEP_1)
	v_xor_b32_e32 v27, v27, v25
	v_sub_co_u32 v27, vcc_lo, v27, v25
	s_delay_alu instid0(VALU_DEP_3) | instskip(SKIP_2) | instid1(VALU_DEP_3)
	v_sub_co_ci_u32_e32 v25, vcc_lo, v26, v25, vcc_lo
	v_cmp_class_f32_e64 vcc_lo, v32, 0x1f8
	v_mov_b32_e32 v32, 0
	v_dual_cndmask_b32 v26, -1, v25 :: v_dual_cndmask_b32 v25, -1, v27
	s_delay_alu instid0(VALU_DEP_1)
	v_cmpx_lt_i64_e32 -1, v[25:26]
	s_cbranch_execz .LBB51_291
; %bb.280:
	v_mov_b32_e32 v32, 1.0
	s_mov_b32 s14, exec_lo
	v_cmpx_lt_i64_e32 0, v[25:26]
	s_cbranch_execz .LBB51_290
; %bb.281:
	v_and_b32_e32 v27, 0xffff0000, v28
	s_mov_b32 s10, exec_lo
	v_cmpx_ne_u64_e32 1, v[25:26]
	s_xor_b32 s16, exec_lo, s10
	s_cbranch_execz .LBB51_287
; %bb.282:
	v_mov_b32_e32 v32, 0x7fc00000
	s_mov_b32 s17, exec_lo
	v_cmpx_gt_u64_e32 0x81, v[25:26]
	s_cbranch_execz .LBB51_286
; %bb.283:
	v_dual_add_f32 v27, v27, v27 :: v_dual_mov_b32 v28, 1.0
	v_lshlrev_b64 v[25:26], 1, v[25:26]
	s_mov_b64 s[10:11], 2
	s_mov_b32 s18, 0
	s_delay_alu instid0(VALU_DEP_2)
	v_mov_b32_e32 v32, v27
	.p2align	6
.LBB51_284:                             ; =>This Inner Loop Header: Depth=1
	s_clz_i32_u32 s19, s11
	s_delay_alu instid0(SALU_CYCLE_1) | instskip(NEXT) | instid1(SALU_CYCLE_1)
	s_min_u32 s19, s19, 32
	s_lshl_b64 s[20:21], s[10:11], s19
	s_sub_i32 s19, 32, s19
	s_min_u32 s20, s20, 1
	s_delay_alu instid0(SALU_CYCLE_1) | instskip(SKIP_3) | instid1(SALU_CYCLE_1)
	s_or_b32 s20, s21, s20
	s_add_u32 s10, s10, 2
	v_cvt_f32_u32_e32 v41, s20
	s_addc_u32 s11, s11, 0
	v_cmp_ge_u64_e32 vcc_lo, s[10:11], v[25:26]
	s_delay_alu instid0(VALU_DEP_2) | instskip(SKIP_1) | instid1(VALU_DEP_1)
	v_ldexp_f32 v41, v41, s19
	s_or_b32 s18, vcc_lo, s18
	v_mul_f32_e32 v41, v28, v41
	v_mov_b32_e32 v28, v32
	s_delay_alu instid0(VALU_DEP_2)
	v_fma_f32 v32, v27, v32, -v41
	s_and_not1_b32 exec_lo, exec_lo, s18
	s_cbranch_execnz .LBB51_284
; %bb.285:
	s_or_b32 exec_lo, exec_lo, s18
.LBB51_286:
	s_delay_alu instid0(SALU_CYCLE_1)
	s_or_b32 exec_lo, exec_lo, s17
                                        ; implicit-def: $vgpr27
.LBB51_287:
	s_and_not1_saveexec_b32 s10, s16
; %bb.288:
	v_add_f32_e32 v32, v27, v27
; %bb.289:
	s_or_b32 exec_lo, exec_lo, s10
.LBB51_290:
	s_delay_alu instid0(SALU_CYCLE_1)
	s_or_b32 exec_lo, exec_lo, s14
.LBB51_291:
	s_delay_alu instid0(SALU_CYCLE_1) | instskip(SKIP_3) | instid1(VALU_DEP_1)
	s_or_b32 exec_lo, exec_lo, s13
	s_waitcnt vmcnt(1)
	v_trunc_f32_e32 v25, v17
	s_mov_b32 s13, exec_lo
	v_mul_f32_e64 v26, 0x2f800000, |v25|
	s_delay_alu instid0(VALU_DEP_1) | instskip(NEXT) | instid1(VALU_DEP_1)
	v_floor_f32_e32 v26, v26
	v_fma_f32 v27, 0xcf800000, v26, |v25|
	v_ashrrev_i32_e32 v25, 31, v25
	v_cvt_u32_f32_e32 v26, v26
	s_delay_alu instid0(VALU_DEP_3) | instskip(NEXT) | instid1(VALU_DEP_2)
	v_cvt_u32_f32_e32 v27, v27
	v_xor_b32_e32 v26, v26, v25
	s_delay_alu instid0(VALU_DEP_2) | instskip(NEXT) | instid1(VALU_DEP_1)
	v_xor_b32_e32 v27, v27, v25
	v_sub_co_u32 v27, vcc_lo, v27, v25
	s_delay_alu instid0(VALU_DEP_3) | instskip(SKIP_1) | instid1(VALU_DEP_2)
	v_sub_co_ci_u32_e32 v25, vcc_lo, v26, v25, vcc_lo
	v_cmp_class_f32_e64 vcc_lo, v17, 0x1f8
	v_dual_mov_b32 v17, 0 :: v_dual_cndmask_b32 v26, -1, v25
	s_delay_alu instid0(VALU_DEP_4) | instskip(NEXT) | instid1(VALU_DEP_1)
	v_cndmask_b32_e32 v25, -1, v27, vcc_lo
	v_cmpx_lt_i64_e32 -1, v[25:26]
	s_cbranch_execz .LBB51_303
; %bb.292:
	v_mov_b32_e32 v17, 1.0
	s_mov_b32 s14, exec_lo
	v_cmpx_lt_i64_e32 0, v[25:26]
	s_cbranch_execz .LBB51_302
; %bb.293:
	v_lshlrev_b32_e32 v27, 16, v5
                                        ; implicit-def: $vgpr17
	s_mov_b32 s10, exec_lo
	v_cmpx_ne_u64_e32 1, v[25:26]
	s_xor_b32 s16, exec_lo, s10
	s_cbranch_execz .LBB51_299
; %bb.294:
	v_mov_b32_e32 v17, 0x7fc00000
	s_mov_b32 s17, exec_lo
	v_cmpx_gt_u64_e32 0x81, v[25:26]
	s_cbranch_execz .LBB51_298
; %bb.295:
	v_dual_add_f32 v27, v27, v27 :: v_dual_mov_b32 v28, 1.0
	v_lshlrev_b64 v[25:26], 1, v[25:26]
	s_mov_b64 s[10:11], 2
	s_mov_b32 s18, 0
	s_delay_alu instid0(VALU_DEP_2)
	v_mov_b32_e32 v17, v27
	.p2align	6
.LBB51_296:                             ; =>This Inner Loop Header: Depth=1
	s_clz_i32_u32 s19, s11
	s_delay_alu instid0(SALU_CYCLE_1) | instskip(NEXT) | instid1(SALU_CYCLE_1)
	s_min_u32 s19, s19, 32
	s_lshl_b64 s[20:21], s[10:11], s19
	s_sub_i32 s19, 32, s19
	s_min_u32 s20, s20, 1
	s_delay_alu instid0(SALU_CYCLE_1) | instskip(SKIP_3) | instid1(SALU_CYCLE_1)
	s_or_b32 s20, s21, s20
	s_add_u32 s10, s10, 2
	v_cvt_f32_u32_e32 v41, s20
	s_addc_u32 s11, s11, 0
	v_cmp_ge_u64_e32 vcc_lo, s[10:11], v[25:26]
	s_delay_alu instid0(VALU_DEP_2) | instskip(SKIP_1) | instid1(VALU_DEP_1)
	v_ldexp_f32 v41, v41, s19
	s_or_b32 s18, vcc_lo, s18
	v_dual_mul_f32 v41, v28, v41 :: v_dual_mov_b32 v28, v17
	s_delay_alu instid0(VALU_DEP_1)
	v_fma_f32 v17, v27, v17, -v41
	s_and_not1_b32 exec_lo, exec_lo, s18
	s_cbranch_execnz .LBB51_296
; %bb.297:
	s_or_b32 exec_lo, exec_lo, s18
.LBB51_298:
	s_delay_alu instid0(SALU_CYCLE_1)
	s_or_b32 exec_lo, exec_lo, s17
                                        ; implicit-def: $vgpr27
.LBB51_299:
	s_and_not1_saveexec_b32 s10, s16
; %bb.300:
	v_add_f32_e32 v17, v27, v27
; %bb.301:
	s_or_b32 exec_lo, exec_lo, s10
.LBB51_302:
	s_delay_alu instid0(SALU_CYCLE_1)
	s_or_b32 exec_lo, exec_lo, s14
.LBB51_303:
	s_delay_alu instid0(SALU_CYCLE_1) | instskip(SKIP_2) | instid1(VALU_DEP_1)
	s_or_b32 exec_lo, exec_lo, s13
	v_trunc_f32_e32 v25, v18
	s_mov_b32 s13, exec_lo
	v_mul_f32_e64 v26, 0x2f800000, |v25|
	s_delay_alu instid0(VALU_DEP_1) | instskip(NEXT) | instid1(VALU_DEP_1)
	v_floor_f32_e32 v26, v26
	v_fma_f32 v27, 0xcf800000, v26, |v25|
	v_ashrrev_i32_e32 v25, 31, v25
	v_cvt_u32_f32_e32 v26, v26
	s_delay_alu instid0(VALU_DEP_3) | instskip(NEXT) | instid1(VALU_DEP_2)
	v_cvt_u32_f32_e32 v27, v27
	v_xor_b32_e32 v26, v26, v25
	s_delay_alu instid0(VALU_DEP_2) | instskip(NEXT) | instid1(VALU_DEP_1)
	v_xor_b32_e32 v27, v27, v25
	v_sub_co_u32 v27, vcc_lo, v27, v25
	s_delay_alu instid0(VALU_DEP_3) | instskip(SKIP_2) | instid1(VALU_DEP_3)
	v_sub_co_ci_u32_e32 v25, vcc_lo, v26, v25, vcc_lo
	v_cmp_class_f32_e64 vcc_lo, v18, 0x1f8
	v_mov_b32_e32 v18, 0
	v_dual_cndmask_b32 v26, -1, v25 :: v_dual_cndmask_b32 v25, -1, v27
	s_delay_alu instid0(VALU_DEP_1)
	v_cmpx_lt_i64_e32 -1, v[25:26]
	s_cbranch_execz .LBB51_315
; %bb.304:
	v_mov_b32_e32 v18, 1.0
	s_mov_b32 s14, exec_lo
	v_cmpx_lt_i64_e32 0, v[25:26]
	s_cbranch_execz .LBB51_314
; %bb.305:
	v_and_b32_e32 v5, 0xffff0000, v5
	s_mov_b32 s10, exec_lo
	v_cmpx_ne_u64_e32 1, v[25:26]
	s_xor_b32 s16, exec_lo, s10
	s_cbranch_execz .LBB51_311
; %bb.306:
	v_mov_b32_e32 v18, 0x7fc00000
	s_mov_b32 s17, exec_lo
	v_cmpx_gt_u64_e32 0x81, v[25:26]
	s_cbranch_execz .LBB51_310
; %bb.307:
	v_add_f32_e32 v5, v5, v5
	v_lshlrev_b64 v[25:26], 1, v[25:26]
	v_mov_b32_e32 v27, 1.0
	s_mov_b64 s[10:11], 2
	s_mov_b32 s18, 0
	v_mov_b32_e32 v18, v5
	.p2align	6
.LBB51_308:                             ; =>This Inner Loop Header: Depth=1
	s_clz_i32_u32 s19, s11
	s_delay_alu instid0(SALU_CYCLE_1) | instskip(NEXT) | instid1(SALU_CYCLE_1)
	s_min_u32 s19, s19, 32
	s_lshl_b64 s[20:21], s[10:11], s19
	s_sub_i32 s19, 32, s19
	s_min_u32 s20, s20, 1
	s_delay_alu instid0(SALU_CYCLE_1) | instskip(SKIP_3) | instid1(SALU_CYCLE_1)
	s_or_b32 s20, s21, s20
	s_add_u32 s10, s10, 2
	v_cvt_f32_u32_e32 v28, s20
	s_addc_u32 s11, s11, 0
	v_cmp_ge_u64_e32 vcc_lo, s[10:11], v[25:26]
	s_delay_alu instid0(VALU_DEP_2) | instskip(SKIP_1) | instid1(VALU_DEP_1)
	v_ldexp_f32 v28, v28, s19
	s_or_b32 s18, vcc_lo, s18
	v_dual_mul_f32 v28, v27, v28 :: v_dual_mov_b32 v27, v18
	s_delay_alu instid0(VALU_DEP_1)
	v_fma_f32 v18, v5, v18, -v28
	s_and_not1_b32 exec_lo, exec_lo, s18
	s_cbranch_execnz .LBB51_308
; %bb.309:
	s_or_b32 exec_lo, exec_lo, s18
.LBB51_310:
	s_delay_alu instid0(SALU_CYCLE_1)
	s_or_b32 exec_lo, exec_lo, s17
                                        ; implicit-def: $vgpr5
.LBB51_311:
	s_and_not1_saveexec_b32 s10, s16
; %bb.312:
	v_add_f32_e32 v18, v5, v5
; %bb.313:
	s_or_b32 exec_lo, exec_lo, s10
.LBB51_314:
	s_delay_alu instid0(SALU_CYCLE_1)
	s_or_b32 exec_lo, exec_lo, s14
.LBB51_315:
	s_delay_alu instid0(SALU_CYCLE_1) | instskip(SKIP_2) | instid1(VALU_DEP_1)
	s_or_b32 exec_lo, exec_lo, s13
	v_trunc_f32_e32 v5, v19
	s_mov_b32 s13, exec_lo
	v_mul_f32_e64 v25, 0x2f800000, |v5|
	s_delay_alu instid0(VALU_DEP_1) | instskip(NEXT) | instid1(VALU_DEP_1)
	v_floor_f32_e32 v25, v25
	v_fma_f32 v26, 0xcf800000, v25, |v5|
	v_ashrrev_i32_e32 v5, 31, v5
	v_cvt_u32_f32_e32 v25, v25
	s_delay_alu instid0(VALU_DEP_3) | instskip(NEXT) | instid1(VALU_DEP_2)
	v_cvt_u32_f32_e32 v26, v26
	v_xor_b32_e32 v25, v25, v5
	s_delay_alu instid0(VALU_DEP_2) | instskip(NEXT) | instid1(VALU_DEP_1)
	v_xor_b32_e32 v26, v26, v5
	v_sub_co_u32 v27, vcc_lo, v26, v5
	s_delay_alu instid0(VALU_DEP_3) | instskip(SKIP_1) | instid1(VALU_DEP_2)
	v_sub_co_ci_u32_e32 v5, vcc_lo, v25, v5, vcc_lo
	v_cmp_class_f32_e64 vcc_lo, v19, 0x1f8
	v_dual_mov_b32 v19, 0 :: v_dual_cndmask_b32 v26, -1, v5
	s_delay_alu instid0(VALU_DEP_4) | instskip(NEXT) | instid1(VALU_DEP_1)
	v_cndmask_b32_e32 v25, -1, v27, vcc_lo
	v_cmpx_lt_i64_e32 -1, v[25:26]
	s_cbranch_execz .LBB51_327
; %bb.316:
	v_mov_b32_e32 v19, 1.0
	s_mov_b32 s14, exec_lo
	v_cmpx_lt_i64_e32 0, v[25:26]
	s_cbranch_execz .LBB51_326
; %bb.317:
	v_lshlrev_b32_e32 v5, 16, v6
	s_mov_b32 s10, exec_lo
	v_cmpx_ne_u64_e32 1, v[25:26]
	s_xor_b32 s16, exec_lo, s10
	s_cbranch_execz .LBB51_323
; %bb.318:
	v_mov_b32_e32 v19, 0x7fc00000
	s_mov_b32 s17, exec_lo
	v_cmpx_gt_u64_e32 0x81, v[25:26]
	s_cbranch_execz .LBB51_322
; %bb.319:
	v_add_f32_e32 v5, v5, v5
	v_lshlrev_b64 v[25:26], 1, v[25:26]
	v_mov_b32_e32 v27, 1.0
	s_mov_b64 s[10:11], 2
	s_mov_b32 s18, 0
	v_mov_b32_e32 v19, v5
	.p2align	6
.LBB51_320:                             ; =>This Inner Loop Header: Depth=1
	s_clz_i32_u32 s19, s11
	s_delay_alu instid0(SALU_CYCLE_1) | instskip(NEXT) | instid1(SALU_CYCLE_1)
	s_min_u32 s19, s19, 32
	s_lshl_b64 s[20:21], s[10:11], s19
	s_sub_i32 s19, 32, s19
	s_min_u32 s20, s20, 1
	s_delay_alu instid0(SALU_CYCLE_1) | instskip(SKIP_3) | instid1(SALU_CYCLE_1)
	s_or_b32 s20, s21, s20
	s_add_u32 s10, s10, 2
	v_cvt_f32_u32_e32 v28, s20
	s_addc_u32 s11, s11, 0
	v_cmp_ge_u64_e32 vcc_lo, s[10:11], v[25:26]
	s_delay_alu instid0(VALU_DEP_2) | instskip(SKIP_1) | instid1(VALU_DEP_1)
	v_ldexp_f32 v28, v28, s19
	s_or_b32 s18, vcc_lo, s18
	v_mul_f32_e32 v28, v27, v28
	v_mov_b32_e32 v27, v19
	s_delay_alu instid0(VALU_DEP_2)
	v_fma_f32 v19, v5, v19, -v28
	s_and_not1_b32 exec_lo, exec_lo, s18
	s_cbranch_execnz .LBB51_320
; %bb.321:
	s_or_b32 exec_lo, exec_lo, s18
.LBB51_322:
	s_delay_alu instid0(SALU_CYCLE_1)
	s_or_b32 exec_lo, exec_lo, s17
                                        ; implicit-def: $vgpr5
.LBB51_323:
	s_and_not1_saveexec_b32 s10, s16
; %bb.324:
	v_add_f32_e32 v19, v5, v5
; %bb.325:
	s_or_b32 exec_lo, exec_lo, s10
.LBB51_326:
	s_delay_alu instid0(SALU_CYCLE_1)
	s_or_b32 exec_lo, exec_lo, s14
.LBB51_327:
	s_delay_alu instid0(SALU_CYCLE_1) | instskip(SKIP_2) | instid1(VALU_DEP_1)
	s_or_b32 exec_lo, exec_lo, s13
	v_trunc_f32_e32 v5, v20
	s_mov_b32 s13, exec_lo
	v_mul_f32_e64 v25, 0x2f800000, |v5|
	s_delay_alu instid0(VALU_DEP_1) | instskip(NEXT) | instid1(VALU_DEP_1)
	v_floor_f32_e32 v25, v25
	v_fma_f32 v26, 0xcf800000, v25, |v5|
	v_ashrrev_i32_e32 v5, 31, v5
	v_cvt_u32_f32_e32 v25, v25
	s_delay_alu instid0(VALU_DEP_3) | instskip(NEXT) | instid1(VALU_DEP_2)
	v_cvt_u32_f32_e32 v26, v26
	v_xor_b32_e32 v25, v25, v5
	s_delay_alu instid0(VALU_DEP_2) | instskip(NEXT) | instid1(VALU_DEP_1)
	v_xor_b32_e32 v26, v26, v5
	v_sub_co_u32 v27, vcc_lo, v26, v5
	s_delay_alu instid0(VALU_DEP_3) | instskip(SKIP_2) | instid1(VALU_DEP_3)
	v_sub_co_ci_u32_e32 v5, vcc_lo, v25, v5, vcc_lo
	v_cmp_class_f32_e64 vcc_lo, v20, 0x1f8
	v_mov_b32_e32 v20, 0
	v_dual_cndmask_b32 v26, -1, v5 :: v_dual_cndmask_b32 v25, -1, v27
	s_delay_alu instid0(VALU_DEP_1)
	v_cmpx_lt_i64_e32 -1, v[25:26]
	s_cbranch_execz .LBB51_339
; %bb.328:
	v_mov_b32_e32 v20, 1.0
	s_mov_b32 s14, exec_lo
	v_cmpx_lt_i64_e32 0, v[25:26]
	s_cbranch_execz .LBB51_338
; %bb.329:
	v_and_b32_e32 v5, 0xffff0000, v6
	s_mov_b32 s10, exec_lo
	v_cmpx_ne_u64_e32 1, v[25:26]
	s_xor_b32 s16, exec_lo, s10
	s_cbranch_execz .LBB51_335
; %bb.330:
	v_mov_b32_e32 v20, 0x7fc00000
	s_mov_b32 s17, exec_lo
	v_cmpx_gt_u64_e32 0x81, v[25:26]
	s_cbranch_execz .LBB51_334
; %bb.331:
	v_add_f32_e32 v27, v5, v5
	v_lshlrev_b64 v[5:6], 1, v[25:26]
	v_mov_b32_e32 v25, 1.0
	s_mov_b64 s[10:11], 2
	s_mov_b32 s18, 0
	v_mov_b32_e32 v20, v27
	.p2align	6
.LBB51_332:                             ; =>This Inner Loop Header: Depth=1
	s_clz_i32_u32 s19, s11
	s_delay_alu instid0(SALU_CYCLE_1) | instskip(NEXT) | instid1(SALU_CYCLE_1)
	s_min_u32 s19, s19, 32
	s_lshl_b64 s[20:21], s[10:11], s19
	s_sub_i32 s19, 32, s19
	s_min_u32 s20, s20, 1
	s_delay_alu instid0(SALU_CYCLE_1) | instskip(SKIP_3) | instid1(SALU_CYCLE_1)
	s_or_b32 s20, s21, s20
	s_add_u32 s10, s10, 2
	v_cvt_f32_u32_e32 v26, s20
	s_addc_u32 s11, s11, 0
	v_cmp_ge_u64_e32 vcc_lo, s[10:11], v[5:6]
	s_delay_alu instid0(VALU_DEP_2) | instskip(SKIP_1) | instid1(VALU_DEP_1)
	v_ldexp_f32 v26, v26, s19
	s_or_b32 s18, vcc_lo, s18
	v_dual_mul_f32 v26, v25, v26 :: v_dual_mov_b32 v25, v20
	s_delay_alu instid0(VALU_DEP_1)
	v_fma_f32 v20, v27, v20, -v26
	s_and_not1_b32 exec_lo, exec_lo, s18
	s_cbranch_execnz .LBB51_332
; %bb.333:
	s_or_b32 exec_lo, exec_lo, s18
.LBB51_334:
	s_delay_alu instid0(SALU_CYCLE_1)
	s_or_b32 exec_lo, exec_lo, s17
                                        ; implicit-def: $vgpr5
.LBB51_335:
	s_and_not1_saveexec_b32 s10, s16
; %bb.336:
	v_add_f32_e32 v20, v5, v5
; %bb.337:
	s_or_b32 exec_lo, exec_lo, s10
.LBB51_338:
	s_delay_alu instid0(SALU_CYCLE_1)
	s_or_b32 exec_lo, exec_lo, s14
.LBB51_339:
	s_delay_alu instid0(SALU_CYCLE_1) | instskip(SKIP_3) | instid1(VALU_DEP_1)
	s_or_b32 exec_lo, exec_lo, s13
	s_waitcnt vmcnt(0)
	v_trunc_f32_e32 v5, v9
	s_mov_b32 s13, exec_lo
	v_mul_f32_e64 v6, 0x2f800000, |v5|
	s_delay_alu instid0(VALU_DEP_1) | instskip(NEXT) | instid1(VALU_DEP_1)
	v_floor_f32_e32 v6, v6
	v_fma_f32 v25, 0xcf800000, v6, |v5|
	v_ashrrev_i32_e32 v5, 31, v5
	v_cvt_u32_f32_e32 v6, v6
	s_delay_alu instid0(VALU_DEP_3) | instskip(NEXT) | instid1(VALU_DEP_2)
	v_cvt_u32_f32_e32 v25, v25
	v_xor_b32_e32 v6, v6, v5
	s_delay_alu instid0(VALU_DEP_2) | instskip(NEXT) | instid1(VALU_DEP_1)
	v_xor_b32_e32 v25, v25, v5
	v_sub_co_u32 v25, vcc_lo, v25, v5
	s_delay_alu instid0(VALU_DEP_3) | instskip(SKIP_1) | instid1(VALU_DEP_2)
	v_sub_co_ci_u32_e32 v5, vcc_lo, v6, v5, vcc_lo
	v_cmp_class_f32_e64 vcc_lo, v9, 0x1f8
	v_dual_mov_b32 v9, 0 :: v_dual_cndmask_b32 v6, -1, v5
	s_delay_alu instid0(VALU_DEP_4) | instskip(NEXT) | instid1(VALU_DEP_1)
	v_cndmask_b32_e32 v5, -1, v25, vcc_lo
	v_cmpx_lt_i64_e32 -1, v[5:6]
	s_cbranch_execz .LBB51_351
; %bb.340:
	v_mov_b32_e32 v9, 1.0
	s_mov_b32 s14, exec_lo
	v_cmpx_lt_i64_e32 0, v[5:6]
	s_cbranch_execz .LBB51_350
; %bb.341:
	v_lshlrev_b32_e32 v25, 16, v7
                                        ; implicit-def: $vgpr9
	s_mov_b32 s10, exec_lo
	v_cmpx_ne_u64_e32 1, v[5:6]
	s_xor_b32 s16, exec_lo, s10
	s_cbranch_execz .LBB51_347
; %bb.342:
	v_mov_b32_e32 v9, 0x7fc00000
	s_mov_b32 s17, exec_lo
	v_cmpx_gt_u64_e32 0x81, v[5:6]
	s_cbranch_execz .LBB51_346
; %bb.343:
	v_dual_add_f32 v25, v25, v25 :: v_dual_mov_b32 v26, 1.0
	v_lshlrev_b64 v[5:6], 1, v[5:6]
	s_mov_b64 s[10:11], 2
	s_mov_b32 s18, 0
	s_delay_alu instid0(VALU_DEP_2)
	v_mov_b32_e32 v9, v25
	.p2align	6
.LBB51_344:                             ; =>This Inner Loop Header: Depth=1
	s_clz_i32_u32 s19, s11
	s_delay_alu instid0(SALU_CYCLE_1) | instskip(NEXT) | instid1(SALU_CYCLE_1)
	s_min_u32 s19, s19, 32
	s_lshl_b64 s[20:21], s[10:11], s19
	s_sub_i32 s19, 32, s19
	s_min_u32 s20, s20, 1
	s_delay_alu instid0(SALU_CYCLE_1) | instskip(SKIP_3) | instid1(SALU_CYCLE_1)
	s_or_b32 s20, s21, s20
	s_add_u32 s10, s10, 2
	v_cvt_f32_u32_e32 v27, s20
	s_addc_u32 s11, s11, 0
	v_cmp_ge_u64_e32 vcc_lo, s[10:11], v[5:6]
	s_delay_alu instid0(VALU_DEP_2) | instskip(SKIP_1) | instid1(VALU_DEP_1)
	v_ldexp_f32 v27, v27, s19
	s_or_b32 s18, vcc_lo, s18
	v_dual_mul_f32 v27, v26, v27 :: v_dual_mov_b32 v26, v9
	s_delay_alu instid0(VALU_DEP_1)
	v_fma_f32 v9, v25, v9, -v27
	s_and_not1_b32 exec_lo, exec_lo, s18
	s_cbranch_execnz .LBB51_344
; %bb.345:
	s_or_b32 exec_lo, exec_lo, s18
.LBB51_346:
	s_delay_alu instid0(SALU_CYCLE_1)
	s_or_b32 exec_lo, exec_lo, s17
                                        ; implicit-def: $vgpr25
.LBB51_347:
	s_and_not1_saveexec_b32 s10, s16
; %bb.348:
	v_add_f32_e32 v9, v25, v25
; %bb.349:
	s_or_b32 exec_lo, exec_lo, s10
.LBB51_350:
	s_delay_alu instid0(SALU_CYCLE_1)
	s_or_b32 exec_lo, exec_lo, s14
.LBB51_351:
	s_delay_alu instid0(SALU_CYCLE_1) | instskip(SKIP_2) | instid1(VALU_DEP_1)
	s_or_b32 exec_lo, exec_lo, s13
	v_trunc_f32_e32 v5, v10
	s_mov_b32 s13, exec_lo
	v_mul_f32_e64 v6, 0x2f800000, |v5|
	s_delay_alu instid0(VALU_DEP_1) | instskip(NEXT) | instid1(VALU_DEP_1)
	v_floor_f32_e32 v6, v6
	v_fma_f32 v25, 0xcf800000, v6, |v5|
	v_ashrrev_i32_e32 v5, 31, v5
	v_cvt_u32_f32_e32 v6, v6
	s_delay_alu instid0(VALU_DEP_3) | instskip(NEXT) | instid1(VALU_DEP_2)
	v_cvt_u32_f32_e32 v25, v25
	v_xor_b32_e32 v6, v6, v5
	s_delay_alu instid0(VALU_DEP_2) | instskip(NEXT) | instid1(VALU_DEP_1)
	v_xor_b32_e32 v25, v25, v5
	v_sub_co_u32 v25, vcc_lo, v25, v5
	s_delay_alu instid0(VALU_DEP_3) | instskip(SKIP_2) | instid1(VALU_DEP_3)
	v_sub_co_ci_u32_e32 v5, vcc_lo, v6, v5, vcc_lo
	v_cmp_class_f32_e64 vcc_lo, v10, 0x1f8
	v_mov_b32_e32 v10, 0
	v_cndmask_b32_e32 v6, -1, v5, vcc_lo
	v_cndmask_b32_e32 v5, -1, v25, vcc_lo
	s_delay_alu instid0(VALU_DEP_1)
	v_cmpx_lt_i64_e32 -1, v[5:6]
	s_cbranch_execz .LBB51_363
; %bb.352:
	v_mov_b32_e32 v10, 1.0
	s_mov_b32 s14, exec_lo
	v_cmpx_lt_i64_e32 0, v[5:6]
	s_cbranch_execz .LBB51_362
; %bb.353:
	v_and_b32_e32 v7, 0xffff0000, v7
	s_mov_b32 s10, exec_lo
	v_cmpx_ne_u64_e32 1, v[5:6]
	s_xor_b32 s16, exec_lo, s10
	s_cbranch_execz .LBB51_359
; %bb.354:
	v_mov_b32_e32 v10, 0x7fc00000
	s_mov_b32 s17, exec_lo
	v_cmpx_gt_u64_e32 0x81, v[5:6]
	s_cbranch_execz .LBB51_358
; %bb.355:
	v_add_f32_e32 v7, v7, v7
	v_lshlrev_b64 v[5:6], 1, v[5:6]
	v_mov_b32_e32 v25, 1.0
	s_mov_b64 s[10:11], 2
	s_mov_b32 s18, 0
	v_mov_b32_e32 v10, v7
	.p2align	6
.LBB51_356:                             ; =>This Inner Loop Header: Depth=1
	s_clz_i32_u32 s19, s11
	s_delay_alu instid0(SALU_CYCLE_1) | instskip(NEXT) | instid1(SALU_CYCLE_1)
	s_min_u32 s19, s19, 32
	s_lshl_b64 s[20:21], s[10:11], s19
	s_sub_i32 s19, 32, s19
	s_min_u32 s20, s20, 1
	s_delay_alu instid0(SALU_CYCLE_1) | instskip(SKIP_3) | instid1(SALU_CYCLE_1)
	s_or_b32 s20, s21, s20
	s_add_u32 s10, s10, 2
	v_cvt_f32_u32_e32 v26, s20
	s_addc_u32 s11, s11, 0
	v_cmp_ge_u64_e32 vcc_lo, s[10:11], v[5:6]
	s_delay_alu instid0(VALU_DEP_2) | instskip(SKIP_1) | instid1(VALU_DEP_1)
	v_ldexp_f32 v26, v26, s19
	s_or_b32 s18, vcc_lo, s18
	v_dual_mul_f32 v26, v25, v26 :: v_dual_mov_b32 v25, v10
	s_delay_alu instid0(VALU_DEP_1)
	v_fma_f32 v10, v7, v10, -v26
	s_and_not1_b32 exec_lo, exec_lo, s18
	s_cbranch_execnz .LBB51_356
; %bb.357:
	s_or_b32 exec_lo, exec_lo, s18
.LBB51_358:
	s_delay_alu instid0(SALU_CYCLE_1)
	s_or_b32 exec_lo, exec_lo, s17
                                        ; implicit-def: $vgpr7
.LBB51_359:
	s_and_not1_saveexec_b32 s10, s16
; %bb.360:
	v_add_f32_e32 v10, v7, v7
; %bb.361:
	s_or_b32 exec_lo, exec_lo, s10
.LBB51_362:
	s_delay_alu instid0(SALU_CYCLE_1)
	s_or_b32 exec_lo, exec_lo, s14
.LBB51_363:
	s_delay_alu instid0(SALU_CYCLE_1) | instskip(SKIP_2) | instid1(VALU_DEP_1)
	s_or_b32 exec_lo, exec_lo, s13
	v_trunc_f32_e32 v5, v11
	s_mov_b32 s13, exec_lo
	v_mul_f32_e64 v6, 0x2f800000, |v5|
	s_delay_alu instid0(VALU_DEP_1) | instskip(NEXT) | instid1(VALU_DEP_1)
	v_floor_f32_e32 v6, v6
	v_fma_f32 v7, 0xcf800000, v6, |v5|
	v_ashrrev_i32_e32 v5, 31, v5
	v_cvt_u32_f32_e32 v6, v6
	s_delay_alu instid0(VALU_DEP_3) | instskip(NEXT) | instid1(VALU_DEP_2)
	v_cvt_u32_f32_e32 v7, v7
	v_xor_b32_e32 v6, v6, v5
	s_delay_alu instid0(VALU_DEP_2) | instskip(NEXT) | instid1(VALU_DEP_1)
	v_xor_b32_e32 v7, v7, v5
	v_sub_co_u32 v7, vcc_lo, v7, v5
	s_delay_alu instid0(VALU_DEP_3) | instskip(SKIP_1) | instid1(VALU_DEP_2)
	v_sub_co_ci_u32_e32 v5, vcc_lo, v6, v5, vcc_lo
	v_cmp_class_f32_e64 vcc_lo, v11, 0x1f8
	v_dual_mov_b32 v11, 0 :: v_dual_cndmask_b32 v6, -1, v5
	s_delay_alu instid0(VALU_DEP_4) | instskip(NEXT) | instid1(VALU_DEP_1)
	v_cndmask_b32_e32 v5, -1, v7, vcc_lo
	v_cmpx_lt_i64_e32 -1, v[5:6]
	s_cbranch_execz .LBB51_375
; %bb.364:
	v_mov_b32_e32 v11, 1.0
	s_mov_b32 s14, exec_lo
	v_cmpx_lt_i64_e32 0, v[5:6]
	s_cbranch_execz .LBB51_374
; %bb.365:
	v_lshlrev_b32_e32 v7, 16, v8
	s_mov_b32 s10, exec_lo
	v_cmpx_ne_u64_e32 1, v[5:6]
	s_xor_b32 s16, exec_lo, s10
	s_cbranch_execz .LBB51_371
; %bb.366:
	v_mov_b32_e32 v11, 0x7fc00000
	s_mov_b32 s17, exec_lo
	v_cmpx_gt_u64_e32 0x81, v[5:6]
	s_cbranch_execz .LBB51_370
; %bb.367:
	v_add_f32_e32 v7, v7, v7
	v_lshlrev_b64 v[5:6], 1, v[5:6]
	v_mov_b32_e32 v25, 1.0
	s_mov_b64 s[10:11], 2
	s_mov_b32 s18, 0
	v_mov_b32_e32 v11, v7
	.p2align	6
.LBB51_368:                             ; =>This Inner Loop Header: Depth=1
	s_clz_i32_u32 s19, s11
	s_delay_alu instid0(SALU_CYCLE_1) | instskip(NEXT) | instid1(SALU_CYCLE_1)
	s_min_u32 s19, s19, 32
	s_lshl_b64 s[20:21], s[10:11], s19
	s_sub_i32 s19, 32, s19
	s_min_u32 s20, s20, 1
	s_delay_alu instid0(SALU_CYCLE_1) | instskip(SKIP_3) | instid1(SALU_CYCLE_1)
	s_or_b32 s20, s21, s20
	s_add_u32 s10, s10, 2
	v_cvt_f32_u32_e32 v26, s20
	s_addc_u32 s11, s11, 0
	v_cmp_ge_u64_e32 vcc_lo, s[10:11], v[5:6]
	s_delay_alu instid0(VALU_DEP_2) | instskip(SKIP_1) | instid1(VALU_DEP_1)
	v_ldexp_f32 v26, v26, s19
	s_or_b32 s18, vcc_lo, s18
	v_dual_mul_f32 v26, v25, v26 :: v_dual_mov_b32 v25, v11
	s_delay_alu instid0(VALU_DEP_1)
	v_fma_f32 v11, v7, v11, -v26
	s_and_not1_b32 exec_lo, exec_lo, s18
	s_cbranch_execnz .LBB51_368
; %bb.369:
	s_or_b32 exec_lo, exec_lo, s18
.LBB51_370:
	s_delay_alu instid0(SALU_CYCLE_1)
	s_or_b32 exec_lo, exec_lo, s17
                                        ; implicit-def: $vgpr7
.LBB51_371:
	s_and_not1_saveexec_b32 s10, s16
; %bb.372:
	v_add_f32_e32 v11, v7, v7
; %bb.373:
	s_or_b32 exec_lo, exec_lo, s10
.LBB51_374:
	s_delay_alu instid0(SALU_CYCLE_1)
	s_or_b32 exec_lo, exec_lo, s14
.LBB51_375:
	s_delay_alu instid0(SALU_CYCLE_1) | instskip(SKIP_2) | instid1(VALU_DEP_1)
	s_or_b32 exec_lo, exec_lo, s13
	v_trunc_f32_e32 v5, v12
	s_mov_b32 s13, exec_lo
	v_mul_f32_e64 v6, 0x2f800000, |v5|
	s_delay_alu instid0(VALU_DEP_1) | instskip(NEXT) | instid1(VALU_DEP_1)
	v_floor_f32_e32 v6, v6
	v_fma_f32 v7, 0xcf800000, v6, |v5|
	v_ashrrev_i32_e32 v5, 31, v5
	v_cvt_u32_f32_e32 v6, v6
	s_delay_alu instid0(VALU_DEP_3) | instskip(NEXT) | instid1(VALU_DEP_2)
	v_cvt_u32_f32_e32 v7, v7
	v_xor_b32_e32 v6, v6, v5
	s_delay_alu instid0(VALU_DEP_2) | instskip(NEXT) | instid1(VALU_DEP_1)
	v_xor_b32_e32 v7, v7, v5
	v_sub_co_u32 v7, vcc_lo, v7, v5
	s_delay_alu instid0(VALU_DEP_3) | instskip(SKIP_2) | instid1(VALU_DEP_3)
	v_sub_co_ci_u32_e32 v5, vcc_lo, v6, v5, vcc_lo
	v_cmp_class_f32_e64 vcc_lo, v12, 0x1f8
	v_mov_b32_e32 v12, 0
	v_dual_cndmask_b32 v6, -1, v5 :: v_dual_cndmask_b32 v5, -1, v7
	s_delay_alu instid0(VALU_DEP_1)
	v_cmpx_lt_i64_e32 -1, v[5:6]
	s_cbranch_execz .LBB51_387
; %bb.376:
	v_mov_b32_e32 v12, 1.0
	s_mov_b32 s14, exec_lo
	v_cmpx_lt_i64_e32 0, v[5:6]
	s_cbranch_execz .LBB51_386
; %bb.377:
	v_and_b32_e32 v7, 0xffff0000, v8
	s_mov_b32 s10, exec_lo
	v_cmpx_ne_u64_e32 1, v[5:6]
	s_xor_b32 s16, exec_lo, s10
	s_cbranch_execz .LBB51_383
; %bb.378:
	v_mov_b32_e32 v12, 0x7fc00000
	s_mov_b32 s17, exec_lo
	v_cmpx_gt_u64_e32 0x81, v[5:6]
	s_cbranch_execz .LBB51_382
; %bb.379:
	v_dual_add_f32 v7, v7, v7 :: v_dual_mov_b32 v8, 1.0
	v_lshlrev_b64 v[5:6], 1, v[5:6]
	s_mov_b64 s[10:11], 2
	s_mov_b32 s18, 0
	s_delay_alu instid0(VALU_DEP_2)
	v_mov_b32_e32 v12, v7
	.p2align	6
.LBB51_380:                             ; =>This Inner Loop Header: Depth=1
	s_clz_i32_u32 s19, s11
	s_delay_alu instid0(SALU_CYCLE_1) | instskip(NEXT) | instid1(SALU_CYCLE_1)
	s_min_u32 s19, s19, 32
	s_lshl_b64 s[20:21], s[10:11], s19
	s_sub_i32 s19, 32, s19
	s_min_u32 s20, s20, 1
	s_delay_alu instid0(SALU_CYCLE_1) | instskip(SKIP_3) | instid1(SALU_CYCLE_1)
	s_or_b32 s20, s21, s20
	s_add_u32 s10, s10, 2
	v_cvt_f32_u32_e32 v25, s20
	s_addc_u32 s11, s11, 0
	v_cmp_ge_u64_e32 vcc_lo, s[10:11], v[5:6]
	s_delay_alu instid0(VALU_DEP_2) | instskip(SKIP_1) | instid1(VALU_DEP_1)
	v_ldexp_f32 v25, v25, s19
	s_or_b32 s18, vcc_lo, s18
	v_mul_f32_e32 v25, v8, v25
	v_mov_b32_e32 v8, v12
	s_delay_alu instid0(VALU_DEP_2)
	v_fma_f32 v12, v7, v12, -v25
	s_and_not1_b32 exec_lo, exec_lo, s18
	s_cbranch_execnz .LBB51_380
; %bb.381:
	s_or_b32 exec_lo, exec_lo, s18
.LBB51_382:
	s_delay_alu instid0(SALU_CYCLE_1)
	s_or_b32 exec_lo, exec_lo, s17
                                        ; implicit-def: $vgpr7
.LBB51_383:
	s_and_not1_saveexec_b32 s10, s16
; %bb.384:
	v_add_f32_e32 v12, v7, v7
; %bb.385:
	s_or_b32 exec_lo, exec_lo, s10
.LBB51_386:
	s_delay_alu instid0(SALU_CYCLE_1)
	s_or_b32 exec_lo, exec_lo, s14
.LBB51_387:
	s_delay_alu instid0(SALU_CYCLE_1) | instskip(SKIP_3) | instid1(VALU_DEP_1)
	s_or_b32 exec_lo, exec_lo, s13
	s_add_u32 s10, s4, s8
	s_addc_u32 s11, s5, s9
	v_add_co_u32 v5, s8, s10, v52
	v_add_co_ci_u32_e64 v6, null, s11, 0, s8
	s_clause 0x1
	global_store_b128 v52, v[1:4], s[10:11]
	global_store_b128 v52, v[13:16], s[10:11] offset:16
	v_add_co_u32 v1, vcc_lo, 0x4000, v5
	v_add_co_ci_u32_e32 v2, vcc_lo, 0, v6, vcc_lo
	v_add_co_u32 v3, vcc_lo, 0xc000, v5
	v_add_co_ci_u32_e32 v4, vcc_lo, 0, v6, vcc_lo
	s_clause 0x5
	global_store_b128 v[1:2], v[21:24], off
	global_store_b128 v[1:2], v[33:36], off offset:16
	global_store_b128 v51, v[37:40], s[10:11]
	global_store_b128 v51, v[29:32], s[10:11] offset:16
	global_store_b128 v[3:4], v[17:20], off
	global_store_b128 v[3:4], v[9:12], off offset:16
	s_branch .LBB51_2
.LBB51_388:
	s_clause 0x1
	s_load_b32 s10, s[0:1], 0x24
	s_load_b128 s[16:19], s[0:1], 0x28
	v_dual_mov_b32 v31, v0 :: v_dual_mov_b32 v0, s4
	v_dual_mov_b32 v1, s5 :: v_dual_mov_b32 v2, s6
	;; [unrolled: 1-line block ×4, first 2 shown]
	s_add_u32 s8, s0, 56
	s_addc_u32 s9, s1, 0
	s_mov_b32 s12, s15
	s_getpc_b64 s[0:1]
	s_add_u32 s0, s0, _ZN2at6native25elementwise_kernel_helperILb1ENS0_13BinaryFunctorIfffZZZNS0_12_GLOBAL__N_132hermite_polynomial_h_kernel_cudaERNS_18TensorIteratorBaseEENKUlvE_clEvENKUlvE0_clEvEUlffE_EENS0_6memory8policies11unroll_baseILi512ESt5arrayIPcLm3EE23TrivialOffsetCalculatorILi2EjESG_ILi1EjENSA_12LoadWithCastILi2EEENSA_13StoreWithCastILi1EEELi32ELi1EEEEEvT0_T1_@rel32@lo+4
	s_addc_u32 s1, s1, _ZN2at6native25elementwise_kernel_helperILb1ENS0_13BinaryFunctorIfffZZZNS0_12_GLOBAL__N_132hermite_polynomial_h_kernel_cudaERNS_18TensorIteratorBaseEENKUlvE_clEvENKUlvE0_clEvEUlffE_EENS0_6memory8policies11unroll_baseILi512ESt5arrayIPcLm3EE23TrivialOffsetCalculatorILi2EjESG_ILi1EjENSA_12LoadWithCastILi2EEENSA_13StoreWithCastILi1EEELi32ELi1EEEEEvT0_T1_@rel32@hi+12
	s_waitcnt lgkmcnt(0)
	v_lshrrev_b16 v8, 8, s10
	v_dual_mov_b32 v7, s10 :: v_dual_mov_b32 v10, s17
	v_dual_mov_b32 v9, s16 :: v_dual_mov_b32 v12, s19
	v_mov_b32_e32 v11, s18
	s_swappc_b64 s[30:31], s[0:1]
	s_endpgm
	.section	.rodata,"a",@progbits
	.p2align	6, 0x0
	.amdhsa_kernel _ZN2at6native39vectorized_templated_elementwise_kernelILi8ENS0_13BinaryFunctorIfffZZZNS0_12_GLOBAL__N_132hermite_polynomial_h_kernel_cudaERNS_18TensorIteratorBaseEENKUlvE_clEvENKUlvE0_clEvEUlffE_EESt5arrayIPcLm3EE23TrivialOffsetCalculatorILi2EjESD_ILi1EjENS0_6memory12LoadWithCastILi2EEENSG_13StoreWithCastILi1EEEfJN3c108BFloat16EfEEEviT0_T1_T2_T3_T4_T5_
		.amdhsa_group_segment_fixed_size 0
		.amdhsa_private_segment_fixed_size 272
		.amdhsa_kernarg_size 312
		.amdhsa_user_sgpr_count 15
		.amdhsa_user_sgpr_dispatch_ptr 0
		.amdhsa_user_sgpr_queue_ptr 0
		.amdhsa_user_sgpr_kernarg_segment_ptr 1
		.amdhsa_user_sgpr_dispatch_id 0
		.amdhsa_user_sgpr_private_segment_size 0
		.amdhsa_wavefront_size32 1
		.amdhsa_uses_dynamic_stack 0
		.amdhsa_enable_private_segment 1
		.amdhsa_system_sgpr_workgroup_id_x 1
		.amdhsa_system_sgpr_workgroup_id_y 0
		.amdhsa_system_sgpr_workgroup_id_z 0
		.amdhsa_system_sgpr_workgroup_info 0
		.amdhsa_system_vgpr_workitem_id 0
		.amdhsa_next_free_vgpr 68
		.amdhsa_next_free_sgpr 77
		.amdhsa_reserve_vcc 1
		.amdhsa_float_round_mode_32 0
		.amdhsa_float_round_mode_16_64 0
		.amdhsa_float_denorm_mode_32 3
		.amdhsa_float_denorm_mode_16_64 3
		.amdhsa_dx10_clamp 1
		.amdhsa_ieee_mode 1
		.amdhsa_fp16_overflow 0
		.amdhsa_workgroup_processor_mode 1
		.amdhsa_memory_ordered 1
		.amdhsa_forward_progress 0
		.amdhsa_shared_vgpr_count 0
		.amdhsa_exception_fp_ieee_invalid_op 0
		.amdhsa_exception_fp_denorm_src 0
		.amdhsa_exception_fp_ieee_div_zero 0
		.amdhsa_exception_fp_ieee_overflow 0
		.amdhsa_exception_fp_ieee_underflow 0
		.amdhsa_exception_fp_ieee_inexact 0
		.amdhsa_exception_int_div_zero 0
	.end_amdhsa_kernel
	.section	.text._ZN2at6native39vectorized_templated_elementwise_kernelILi8ENS0_13BinaryFunctorIfffZZZNS0_12_GLOBAL__N_132hermite_polynomial_h_kernel_cudaERNS_18TensorIteratorBaseEENKUlvE_clEvENKUlvE0_clEvEUlffE_EESt5arrayIPcLm3EE23TrivialOffsetCalculatorILi2EjESD_ILi1EjENS0_6memory12LoadWithCastILi2EEENSG_13StoreWithCastILi1EEEfJN3c108BFloat16EfEEEviT0_T1_T2_T3_T4_T5_,"axG",@progbits,_ZN2at6native39vectorized_templated_elementwise_kernelILi8ENS0_13BinaryFunctorIfffZZZNS0_12_GLOBAL__N_132hermite_polynomial_h_kernel_cudaERNS_18TensorIteratorBaseEENKUlvE_clEvENKUlvE0_clEvEUlffE_EESt5arrayIPcLm3EE23TrivialOffsetCalculatorILi2EjESD_ILi1EjENS0_6memory12LoadWithCastILi2EEENSG_13StoreWithCastILi1EEEfJN3c108BFloat16EfEEEviT0_T1_T2_T3_T4_T5_,comdat
.Lfunc_end51:
	.size	_ZN2at6native39vectorized_templated_elementwise_kernelILi8ENS0_13BinaryFunctorIfffZZZNS0_12_GLOBAL__N_132hermite_polynomial_h_kernel_cudaERNS_18TensorIteratorBaseEENKUlvE_clEvENKUlvE0_clEvEUlffE_EESt5arrayIPcLm3EE23TrivialOffsetCalculatorILi2EjESD_ILi1EjENS0_6memory12LoadWithCastILi2EEENSG_13StoreWithCastILi1EEEfJN3c108BFloat16EfEEEviT0_T1_T2_T3_T4_T5_, .Lfunc_end51-_ZN2at6native39vectorized_templated_elementwise_kernelILi8ENS0_13BinaryFunctorIfffZZZNS0_12_GLOBAL__N_132hermite_polynomial_h_kernel_cudaERNS_18TensorIteratorBaseEENKUlvE_clEvENKUlvE0_clEvEUlffE_EESt5arrayIPcLm3EE23TrivialOffsetCalculatorILi2EjESD_ILi1EjENS0_6memory12LoadWithCastILi2EEENSG_13StoreWithCastILi1EEEfJN3c108BFloat16EfEEEviT0_T1_T2_T3_T4_T5_
                                        ; -- End function
	.section	.AMDGPU.csdata,"",@progbits
; Kernel info:
; codeLenInByte = 11644
; NumSgprs: 79
; NumVgprs: 68
; ScratchSize: 272
; MemoryBound: 0
; FloatMode: 240
; IeeeMode: 1
; LDSByteSize: 0 bytes/workgroup (compile time only)
; SGPRBlocks: 9
; VGPRBlocks: 8
; NumSGPRsForWavesPerEU: 79
; NumVGPRsForWavesPerEU: 68
; Occupancy: 16
; WaveLimiterHint : 0
; COMPUTE_PGM_RSRC2:SCRATCH_EN: 1
; COMPUTE_PGM_RSRC2:USER_SGPR: 15
; COMPUTE_PGM_RSRC2:TRAP_HANDLER: 0
; COMPUTE_PGM_RSRC2:TGID_X_EN: 1
; COMPUTE_PGM_RSRC2:TGID_Y_EN: 0
; COMPUTE_PGM_RSRC2:TGID_Z_EN: 0
; COMPUTE_PGM_RSRC2:TIDIG_COMP_CNT: 0
	.section	.text._ZN2at6native39vectorized_templated_elementwise_kernelILi4ENS0_13BinaryFunctorIfffZZZNS0_12_GLOBAL__N_132hermite_polynomial_h_kernel_cudaERNS_18TensorIteratorBaseEENKUlvE_clEvENKUlvE0_clEvEUlffE_EESt5arrayIPcLm3EE23TrivialOffsetCalculatorILi2EjESD_ILi1EjENS0_6memory12LoadWithCastILi2EEENSG_13StoreWithCastILi1EEEfJN3c108BFloat16EfEEEviT0_T1_T2_T3_T4_T5_,"axG",@progbits,_ZN2at6native39vectorized_templated_elementwise_kernelILi4ENS0_13BinaryFunctorIfffZZZNS0_12_GLOBAL__N_132hermite_polynomial_h_kernel_cudaERNS_18TensorIteratorBaseEENKUlvE_clEvENKUlvE0_clEvEUlffE_EESt5arrayIPcLm3EE23TrivialOffsetCalculatorILi2EjESD_ILi1EjENS0_6memory12LoadWithCastILi2EEENSG_13StoreWithCastILi1EEEfJN3c108BFloat16EfEEEviT0_T1_T2_T3_T4_T5_,comdat
	.globl	_ZN2at6native39vectorized_templated_elementwise_kernelILi4ENS0_13BinaryFunctorIfffZZZNS0_12_GLOBAL__N_132hermite_polynomial_h_kernel_cudaERNS_18TensorIteratorBaseEENKUlvE_clEvENKUlvE0_clEvEUlffE_EESt5arrayIPcLm3EE23TrivialOffsetCalculatorILi2EjESD_ILi1EjENS0_6memory12LoadWithCastILi2EEENSG_13StoreWithCastILi1EEEfJN3c108BFloat16EfEEEviT0_T1_T2_T3_T4_T5_ ; -- Begin function _ZN2at6native39vectorized_templated_elementwise_kernelILi4ENS0_13BinaryFunctorIfffZZZNS0_12_GLOBAL__N_132hermite_polynomial_h_kernel_cudaERNS_18TensorIteratorBaseEENKUlvE_clEvENKUlvE0_clEvEUlffE_EESt5arrayIPcLm3EE23TrivialOffsetCalculatorILi2EjESD_ILi1EjENS0_6memory12LoadWithCastILi2EEENSG_13StoreWithCastILi1EEEfJN3c108BFloat16EfEEEviT0_T1_T2_T3_T4_T5_
	.p2align	8
	.type	_ZN2at6native39vectorized_templated_elementwise_kernelILi4ENS0_13BinaryFunctorIfffZZZNS0_12_GLOBAL__N_132hermite_polynomial_h_kernel_cudaERNS_18TensorIteratorBaseEENKUlvE_clEvENKUlvE0_clEvEUlffE_EESt5arrayIPcLm3EE23TrivialOffsetCalculatorILi2EjESD_ILi1EjENS0_6memory12LoadWithCastILi2EEENSG_13StoreWithCastILi1EEEfJN3c108BFloat16EfEEEviT0_T1_T2_T3_T4_T5_,@function
_ZN2at6native39vectorized_templated_elementwise_kernelILi4ENS0_13BinaryFunctorIfffZZZNS0_12_GLOBAL__N_132hermite_polynomial_h_kernel_cudaERNS_18TensorIteratorBaseEENKUlvE_clEvENKUlvE0_clEvEUlffE_EESt5arrayIPcLm3EE23TrivialOffsetCalculatorILi2EjESD_ILi1EjENS0_6memory12LoadWithCastILi2EEENSG_13StoreWithCastILi1EEEfJN3c108BFloat16EfEEEviT0_T1_T2_T3_T4_T5_: ; @_ZN2at6native39vectorized_templated_elementwise_kernelILi4ENS0_13BinaryFunctorIfffZZZNS0_12_GLOBAL__N_132hermite_polynomial_h_kernel_cudaERNS_18TensorIteratorBaseEENKUlvE_clEvENKUlvE0_clEvEUlffE_EESt5arrayIPcLm3EE23TrivialOffsetCalculatorILi2EjESD_ILi1EjENS0_6memory12LoadWithCastILi2EEENSG_13StoreWithCastILi1EEEfJN3c108BFloat16EfEEEviT0_T1_T2_T3_T4_T5_
; %bb.0:
	s_clause 0x3
	s_load_b32 s8, s[0:1], 0x38
	s_load_b32 s9, s[0:1], 0x0
	s_load_b64 s[2:3], s[0:1], 0x18
	s_load_b128 s[4:7], s[0:1], 0x8
	s_not_b32 s10, s15
	s_mov_b32 s32, 0
	s_waitcnt lgkmcnt(0)
	s_add_i32 s8, s8, s10
	s_delay_alu instid0(SALU_CYCLE_1) | instskip(NEXT) | instid1(SALU_CYCLE_1)
	s_lshl_b32 s8, s8, 14
	s_sub_i32 s12, s9, s8
	s_mov_b32 s9, -1
	s_cmpk_gt_i32 s12, 0x3fff
	s_cbranch_scc1 .LBB52_3
; %bb.1:
	s_and_b32 vcc_lo, exec_lo, s9
	s_cbranch_vccnz .LBB52_388
.LBB52_2:
	s_nop 0
	s_sendmsg sendmsg(MSG_DEALLOC_VGPRS)
	s_endpgm
.LBB52_3:
	s_ashr_i32 s9, s8, 31
	v_lshlrev_b32_e32 v9, 3, v0
	s_lshl_b64 s[10:11], s[8:9], 1
	v_or_b32_e32 v13, 0x400, v0
	s_add_u32 s10, s6, s10
	s_addc_u32 s11, s7, s11
	v_add_co_u32 v10, s13, s10, v9
	s_delay_alu instid0(VALU_DEP_1) | instskip(SKIP_1) | instid1(VALU_DEP_2)
	v_add_co_ci_u32_e64 v11, null, s11, 0, s13
	s_lshl_b64 s[8:9], s[8:9], 2
	v_add_co_u32 v5, vcc_lo, 0x1000, v10
	v_lshlrev_b32_e32 v53, 4, v0
	s_delay_alu instid0(VALU_DEP_3)
	v_add_co_ci_u32_e32 v6, vcc_lo, 0, v11, vcc_lo
	v_add_co_u32 v7, vcc_lo, 0x3000, v10
	s_add_u32 s16, s2, s8
	v_lshlrev_b32_e32 v12, 3, v13
	s_addc_u32 s17, s3, s9
	v_add_co_ci_u32_e32 v8, vcc_lo, 0, v11, vcc_lo
	global_load_b128 v[1:4], v53, s[16:17]
	s_clause 0x3
	global_load_b64 v[47:48], v9, s[10:11]
	global_load_b64 v[45:46], v[5:6], off
	global_load_b64 v[43:44], v12, s[10:11]
	global_load_b64 v[41:42], v[7:8], off
	v_or_b32_e32 v14, 0x800, v0
	v_add_co_u32 v5, vcc_lo, 0x5000, v10
	v_or_b32_e32 v15, 0xc00, v0
	v_add_co_u32 v17, s13, s16, v53
	v_add_co_ci_u32_e32 v6, vcc_lo, 0, v11, vcc_lo
	v_add_co_ci_u32_e64 v18, null, s17, 0, s13
	v_add_co_u32 v7, vcc_lo, 0x7000, v10
	v_lshlrev_b32_e32 v12, 3, v14
	v_add_co_ci_u32_e32 v8, vcc_lo, 0, v11, vcc_lo
	v_lshlrev_b32_e32 v16, 3, v15
	v_add_co_u32 v9, vcc_lo, 0x2000, v17
	v_add_co_ci_u32_e32 v10, vcc_lo, 0, v18, vcc_lo
	s_clause 0x3
	global_load_b64 v[39:40], v12, s[10:11]
	global_load_b64 v[37:38], v[5:6], off
	global_load_b64 v[35:36], v16, s[10:11]
	global_load_b64 v[33:34], v[7:8], off
	global_load_b128 v[9:12], v[9:10], off
	v_add_co_u32 v5, vcc_lo, 0x6000, v17
	v_add_co_ci_u32_e32 v6, vcc_lo, 0, v18, vcc_lo
	v_lshlrev_b32_e32 v54, 4, v13
	v_add_co_u32 v7, vcc_lo, 0xa000, v17
	v_lshlrev_b32_e32 v51, 4, v14
	v_add_co_ci_u32_e32 v8, vcc_lo, 0, v18, vcc_lo
	v_add_co_u32 v49, vcc_lo, 0xe000, v17
	v_lshlrev_b32_e32 v52, 4, v15
	v_add_co_ci_u32_e32 v50, vcc_lo, 0, v18, vcc_lo
	s_clause 0x5
	global_load_b128 v[17:20], v54, s[16:17]
	global_load_b128 v[25:28], v[5:6], off
	global_load_b128 v[29:32], v51, s[16:17]
	global_load_b128 v[21:24], v[7:8], off
	;; [unrolled: 2-line block ×3, first 2 shown]
	s_mov_b32 s13, exec_lo
	s_waitcnt vmcnt(15)
	v_trunc_f32_e32 v49, v1
	s_delay_alu instid0(VALU_DEP_1) | instskip(NEXT) | instid1(VALU_DEP_1)
	v_mul_f32_e64 v50, 0x2f800000, |v49|
	v_floor_f32_e32 v50, v50
	s_delay_alu instid0(VALU_DEP_1) | instskip(SKIP_2) | instid1(VALU_DEP_3)
	v_fma_f32 v55, 0xcf800000, v50, |v49|
	v_ashrrev_i32_e32 v49, 31, v49
	v_cvt_u32_f32_e32 v50, v50
	v_cvt_u32_f32_e32 v55, v55
	s_delay_alu instid0(VALU_DEP_2) | instskip(NEXT) | instid1(VALU_DEP_2)
	v_xor_b32_e32 v50, v50, v49
	v_xor_b32_e32 v55, v55, v49
	s_delay_alu instid0(VALU_DEP_1) | instskip(NEXT) | instid1(VALU_DEP_3)
	v_sub_co_u32 v55, vcc_lo, v55, v49
	v_sub_co_ci_u32_e32 v49, vcc_lo, v50, v49, vcc_lo
	v_cmp_class_f32_e64 vcc_lo, v1, 0x1f8
	s_delay_alu instid0(VALU_DEP_2) | instskip(NEXT) | instid1(VALU_DEP_4)
	v_dual_mov_b32 v1, 0 :: v_dual_cndmask_b32 v50, -1, v49
	v_cndmask_b32_e32 v49, -1, v55, vcc_lo
	s_delay_alu instid0(VALU_DEP_1)
	v_cmpx_lt_i64_e32 -1, v[49:50]
	s_cbranch_execz .LBB52_15
; %bb.4:
	v_mov_b32_e32 v1, 1.0
	s_mov_b32 s14, exec_lo
	v_cmpx_lt_i64_e32 0, v[49:50]
	s_cbranch_execz .LBB52_14
; %bb.5:
	s_waitcnt vmcnt(14)
	v_lshlrev_b32_e32 v55, 16, v47
                                        ; implicit-def: $vgpr1
	s_mov_b32 s10, exec_lo
	v_cmpx_ne_u64_e32 1, v[49:50]
	s_xor_b32 s16, exec_lo, s10
	s_cbranch_execz .LBB52_11
; %bb.6:
	v_mov_b32_e32 v1, 0x7fc00000
	s_mov_b32 s17, exec_lo
	v_cmpx_gt_u64_e32 0x81, v[49:50]
	s_cbranch_execz .LBB52_10
; %bb.7:
	v_dual_add_f32 v55, v55, v55 :: v_dual_mov_b32 v56, 1.0
	v_lshlrev_b64 v[49:50], 1, v[49:50]
	s_mov_b64 s[10:11], 2
	s_mov_b32 s18, 0
	s_delay_alu instid0(VALU_DEP_2)
	v_mov_b32_e32 v1, v55
	.p2align	6
.LBB52_8:                               ; =>This Inner Loop Header: Depth=1
	s_clz_i32_u32 s19, s11
	s_delay_alu instid0(SALU_CYCLE_1) | instskip(NEXT) | instid1(SALU_CYCLE_1)
	s_min_u32 s19, s19, 32
	s_lshl_b64 s[20:21], s[10:11], s19
	s_sub_i32 s19, 32, s19
	s_min_u32 s20, s20, 1
	s_delay_alu instid0(SALU_CYCLE_1) | instskip(SKIP_3) | instid1(SALU_CYCLE_1)
	s_or_b32 s20, s21, s20
	s_add_u32 s10, s10, 2
	v_cvt_f32_u32_e32 v57, s20
	s_addc_u32 s11, s11, 0
	v_cmp_ge_u64_e32 vcc_lo, s[10:11], v[49:50]
	s_delay_alu instid0(VALU_DEP_2) | instskip(SKIP_1) | instid1(VALU_DEP_1)
	v_ldexp_f32 v57, v57, s19
	s_or_b32 s18, vcc_lo, s18
	v_dual_mul_f32 v57, v56, v57 :: v_dual_mov_b32 v56, v1
	s_delay_alu instid0(VALU_DEP_1)
	v_fma_f32 v1, v55, v1, -v57
	s_and_not1_b32 exec_lo, exec_lo, s18
	s_cbranch_execnz .LBB52_8
; %bb.9:
	s_or_b32 exec_lo, exec_lo, s18
.LBB52_10:
	s_delay_alu instid0(SALU_CYCLE_1)
	s_or_b32 exec_lo, exec_lo, s17
                                        ; implicit-def: $vgpr55
.LBB52_11:
	s_and_not1_saveexec_b32 s10, s16
; %bb.12:
	v_add_f32_e32 v1, v55, v55
; %bb.13:
	s_or_b32 exec_lo, exec_lo, s10
.LBB52_14:
	s_delay_alu instid0(SALU_CYCLE_1)
	s_or_b32 exec_lo, exec_lo, s14
.LBB52_15:
	s_delay_alu instid0(SALU_CYCLE_1) | instskip(SKIP_2) | instid1(VALU_DEP_1)
	s_or_b32 exec_lo, exec_lo, s13
	v_trunc_f32_e32 v49, v2
	s_mov_b32 s13, exec_lo
	v_mul_f32_e64 v50, 0x2f800000, |v49|
	s_delay_alu instid0(VALU_DEP_1) | instskip(NEXT) | instid1(VALU_DEP_1)
	v_floor_f32_e32 v50, v50
	v_fma_f32 v55, 0xcf800000, v50, |v49|
	v_ashrrev_i32_e32 v49, 31, v49
	v_cvt_u32_f32_e32 v50, v50
	s_delay_alu instid0(VALU_DEP_3) | instskip(NEXT) | instid1(VALU_DEP_2)
	v_cvt_u32_f32_e32 v55, v55
	v_xor_b32_e32 v50, v50, v49
	s_delay_alu instid0(VALU_DEP_2) | instskip(NEXT) | instid1(VALU_DEP_1)
	v_xor_b32_e32 v55, v55, v49
	v_sub_co_u32 v55, vcc_lo, v55, v49
	s_delay_alu instid0(VALU_DEP_3) | instskip(SKIP_2) | instid1(VALU_DEP_3)
	v_sub_co_ci_u32_e32 v49, vcc_lo, v50, v49, vcc_lo
	v_cmp_class_f32_e64 vcc_lo, v2, 0x1f8
	v_mov_b32_e32 v2, 0
	v_dual_cndmask_b32 v50, -1, v49 :: v_dual_cndmask_b32 v49, -1, v55
	s_delay_alu instid0(VALU_DEP_1)
	v_cmpx_lt_i64_e32 -1, v[49:50]
	s_cbranch_execz .LBB52_27
; %bb.16:
	v_mov_b32_e32 v2, 1.0
	s_mov_b32 s14, exec_lo
	v_cmpx_lt_i64_e32 0, v[49:50]
	s_cbranch_execz .LBB52_26
; %bb.17:
	s_waitcnt vmcnt(14)
	v_and_b32_e32 v47, 0xffff0000, v47
	s_mov_b32 s10, exec_lo
	v_cmpx_ne_u64_e32 1, v[49:50]
	s_xor_b32 s16, exec_lo, s10
	s_cbranch_execz .LBB52_23
; %bb.18:
	v_mov_b32_e32 v2, 0x7fc00000
	s_mov_b32 s17, exec_lo
	v_cmpx_gt_u64_e32 0x81, v[49:50]
	s_cbranch_execz .LBB52_22
; %bb.19:
	v_add_f32_e32 v47, v47, v47
	v_lshlrev_b64 v[49:50], 1, v[49:50]
	v_mov_b32_e32 v55, 1.0
	s_mov_b64 s[10:11], 2
	s_mov_b32 s18, 0
	v_mov_b32_e32 v2, v47
	.p2align	6
.LBB52_20:                              ; =>This Inner Loop Header: Depth=1
	s_clz_i32_u32 s19, s11
	s_delay_alu instid0(SALU_CYCLE_1) | instskip(NEXT) | instid1(SALU_CYCLE_1)
	s_min_u32 s19, s19, 32
	s_lshl_b64 s[20:21], s[10:11], s19
	s_sub_i32 s19, 32, s19
	s_min_u32 s20, s20, 1
	s_delay_alu instid0(SALU_CYCLE_1) | instskip(SKIP_3) | instid1(SALU_CYCLE_1)
	s_or_b32 s20, s21, s20
	s_add_u32 s10, s10, 2
	v_cvt_f32_u32_e32 v56, s20
	s_addc_u32 s11, s11, 0
	v_cmp_ge_u64_e32 vcc_lo, s[10:11], v[49:50]
	s_delay_alu instid0(VALU_DEP_2) | instskip(SKIP_1) | instid1(VALU_DEP_1)
	v_ldexp_f32 v56, v56, s19
	s_or_b32 s18, vcc_lo, s18
	v_dual_mul_f32 v56, v55, v56 :: v_dual_mov_b32 v55, v2
	s_delay_alu instid0(VALU_DEP_1)
	v_fma_f32 v2, v47, v2, -v56
	s_and_not1_b32 exec_lo, exec_lo, s18
	s_cbranch_execnz .LBB52_20
; %bb.21:
	s_or_b32 exec_lo, exec_lo, s18
.LBB52_22:
	s_delay_alu instid0(SALU_CYCLE_1)
	s_or_b32 exec_lo, exec_lo, s17
                                        ; implicit-def: $vgpr47
.LBB52_23:
	s_and_not1_saveexec_b32 s10, s16
; %bb.24:
	v_add_f32_e32 v2, v47, v47
; %bb.25:
	s_or_b32 exec_lo, exec_lo, s10
.LBB52_26:
	s_delay_alu instid0(SALU_CYCLE_1)
	s_or_b32 exec_lo, exec_lo, s14
.LBB52_27:
	s_delay_alu instid0(SALU_CYCLE_1) | instskip(SKIP_3) | instid1(VALU_DEP_1)
	s_or_b32 exec_lo, exec_lo, s13
	s_waitcnt vmcnt(14)
	v_trunc_f32_e32 v47, v3
	s_mov_b32 s13, exec_lo
	v_mul_f32_e64 v49, 0x2f800000, |v47|
	s_delay_alu instid0(VALU_DEP_1) | instskip(NEXT) | instid1(VALU_DEP_1)
	v_floor_f32_e32 v49, v49
	v_fma_f32 v50, 0xcf800000, v49, |v47|
	v_ashrrev_i32_e32 v47, 31, v47
	v_cvt_u32_f32_e32 v49, v49
	s_delay_alu instid0(VALU_DEP_3) | instskip(NEXT) | instid1(VALU_DEP_2)
	v_cvt_u32_f32_e32 v50, v50
	v_xor_b32_e32 v49, v49, v47
	s_delay_alu instid0(VALU_DEP_2) | instskip(NEXT) | instid1(VALU_DEP_1)
	v_xor_b32_e32 v50, v50, v47
	v_sub_co_u32 v55, vcc_lo, v50, v47
	s_delay_alu instid0(VALU_DEP_3) | instskip(SKIP_1) | instid1(VALU_DEP_2)
	v_sub_co_ci_u32_e32 v47, vcc_lo, v49, v47, vcc_lo
	v_cmp_class_f32_e64 vcc_lo, v3, 0x1f8
	v_dual_mov_b32 v3, 0 :: v_dual_cndmask_b32 v50, -1, v47
	s_delay_alu instid0(VALU_DEP_4) | instskip(NEXT) | instid1(VALU_DEP_1)
	v_cndmask_b32_e32 v49, -1, v55, vcc_lo
	v_cmpx_lt_i64_e32 -1, v[49:50]
	s_cbranch_execz .LBB52_39
; %bb.28:
	v_mov_b32_e32 v3, 1.0
	s_mov_b32 s14, exec_lo
	v_cmpx_lt_i64_e32 0, v[49:50]
	s_cbranch_execz .LBB52_38
; %bb.29:
	v_lshlrev_b32_e32 v47, 16, v48
	s_mov_b32 s10, exec_lo
	v_cmpx_ne_u64_e32 1, v[49:50]
	s_xor_b32 s16, exec_lo, s10
	s_cbranch_execz .LBB52_35
; %bb.30:
	v_mov_b32_e32 v3, 0x7fc00000
	s_mov_b32 s17, exec_lo
	v_cmpx_gt_u64_e32 0x81, v[49:50]
	s_cbranch_execz .LBB52_34
; %bb.31:
	v_add_f32_e32 v47, v47, v47
	v_lshlrev_b64 v[49:50], 1, v[49:50]
	v_mov_b32_e32 v55, 1.0
	s_mov_b64 s[10:11], 2
	s_mov_b32 s18, 0
	v_mov_b32_e32 v3, v47
	.p2align	6
.LBB52_32:                              ; =>This Inner Loop Header: Depth=1
	s_clz_i32_u32 s19, s11
	s_delay_alu instid0(SALU_CYCLE_1) | instskip(NEXT) | instid1(SALU_CYCLE_1)
	s_min_u32 s19, s19, 32
	s_lshl_b64 s[20:21], s[10:11], s19
	s_sub_i32 s19, 32, s19
	s_min_u32 s20, s20, 1
	s_delay_alu instid0(SALU_CYCLE_1) | instskip(SKIP_3) | instid1(SALU_CYCLE_1)
	s_or_b32 s20, s21, s20
	s_add_u32 s10, s10, 2
	v_cvt_f32_u32_e32 v56, s20
	s_addc_u32 s11, s11, 0
	v_cmp_ge_u64_e32 vcc_lo, s[10:11], v[49:50]
	s_delay_alu instid0(VALU_DEP_2) | instskip(SKIP_1) | instid1(VALU_DEP_1)
	v_ldexp_f32 v56, v56, s19
	s_or_b32 s18, vcc_lo, s18
	v_mul_f32_e32 v56, v55, v56
	v_mov_b32_e32 v55, v3
	s_delay_alu instid0(VALU_DEP_2)
	v_fma_f32 v3, v47, v3, -v56
	s_and_not1_b32 exec_lo, exec_lo, s18
	s_cbranch_execnz .LBB52_32
; %bb.33:
	s_or_b32 exec_lo, exec_lo, s18
.LBB52_34:
	s_delay_alu instid0(SALU_CYCLE_1)
	s_or_b32 exec_lo, exec_lo, s17
                                        ; implicit-def: $vgpr47
.LBB52_35:
	s_and_not1_saveexec_b32 s10, s16
; %bb.36:
	v_add_f32_e32 v3, v47, v47
; %bb.37:
	s_or_b32 exec_lo, exec_lo, s10
.LBB52_38:
	s_delay_alu instid0(SALU_CYCLE_1)
	s_or_b32 exec_lo, exec_lo, s14
.LBB52_39:
	s_delay_alu instid0(SALU_CYCLE_1) | instskip(SKIP_2) | instid1(VALU_DEP_1)
	s_or_b32 exec_lo, exec_lo, s13
	v_trunc_f32_e32 v47, v4
	s_mov_b32 s13, exec_lo
	v_mul_f32_e64 v49, 0x2f800000, |v47|
	s_delay_alu instid0(VALU_DEP_1) | instskip(NEXT) | instid1(VALU_DEP_1)
	v_floor_f32_e32 v49, v49
	v_fma_f32 v50, 0xcf800000, v49, |v47|
	v_ashrrev_i32_e32 v47, 31, v47
	v_cvt_u32_f32_e32 v49, v49
	s_delay_alu instid0(VALU_DEP_3) | instskip(NEXT) | instid1(VALU_DEP_2)
	v_cvt_u32_f32_e32 v50, v50
	v_xor_b32_e32 v49, v49, v47
	s_delay_alu instid0(VALU_DEP_2) | instskip(NEXT) | instid1(VALU_DEP_1)
	v_xor_b32_e32 v50, v50, v47
	v_sub_co_u32 v55, vcc_lo, v50, v47
	s_delay_alu instid0(VALU_DEP_3) | instskip(SKIP_2) | instid1(VALU_DEP_3)
	v_sub_co_ci_u32_e32 v47, vcc_lo, v49, v47, vcc_lo
	v_cmp_class_f32_e64 vcc_lo, v4, 0x1f8
	v_mov_b32_e32 v4, 0
	v_cndmask_b32_e32 v50, -1, v47, vcc_lo
	v_cndmask_b32_e32 v49, -1, v55, vcc_lo
	s_delay_alu instid0(VALU_DEP_1)
	v_cmpx_lt_i64_e32 -1, v[49:50]
	s_cbranch_execz .LBB52_51
; %bb.40:
	v_mov_b32_e32 v4, 1.0
	s_mov_b32 s14, exec_lo
	v_cmpx_lt_i64_e32 0, v[49:50]
	s_cbranch_execz .LBB52_50
; %bb.41:
	v_and_b32_e32 v47, 0xffff0000, v48
	s_mov_b32 s10, exec_lo
	v_cmpx_ne_u64_e32 1, v[49:50]
	s_xor_b32 s16, exec_lo, s10
	s_cbranch_execz .LBB52_47
; %bb.42:
	v_mov_b32_e32 v4, 0x7fc00000
	s_mov_b32 s17, exec_lo
	v_cmpx_gt_u64_e32 0x81, v[49:50]
	s_cbranch_execz .LBB52_46
; %bb.43:
	v_add_f32_e32 v55, v47, v47
	v_lshlrev_b64 v[47:48], 1, v[49:50]
	v_mov_b32_e32 v49, 1.0
	s_mov_b64 s[10:11], 2
	s_mov_b32 s18, 0
	v_mov_b32_e32 v4, v55
	.p2align	6
.LBB52_44:                              ; =>This Inner Loop Header: Depth=1
	s_clz_i32_u32 s19, s11
	s_delay_alu instid0(SALU_CYCLE_1) | instskip(NEXT) | instid1(SALU_CYCLE_1)
	s_min_u32 s19, s19, 32
	s_lshl_b64 s[20:21], s[10:11], s19
	s_sub_i32 s19, 32, s19
	s_min_u32 s20, s20, 1
	s_delay_alu instid0(SALU_CYCLE_1) | instskip(SKIP_3) | instid1(SALU_CYCLE_1)
	s_or_b32 s20, s21, s20
	s_add_u32 s10, s10, 2
	v_cvt_f32_u32_e32 v50, s20
	s_addc_u32 s11, s11, 0
	v_cmp_ge_u64_e32 vcc_lo, s[10:11], v[47:48]
	s_delay_alu instid0(VALU_DEP_2) | instskip(SKIP_1) | instid1(VALU_DEP_1)
	v_ldexp_f32 v50, v50, s19
	s_or_b32 s18, vcc_lo, s18
	v_dual_mul_f32 v50, v49, v50 :: v_dual_mov_b32 v49, v4
	s_delay_alu instid0(VALU_DEP_1)
	v_fma_f32 v4, v55, v4, -v50
	s_and_not1_b32 exec_lo, exec_lo, s18
	s_cbranch_execnz .LBB52_44
; %bb.45:
	s_or_b32 exec_lo, exec_lo, s18
.LBB52_46:
	s_delay_alu instid0(SALU_CYCLE_1)
	s_or_b32 exec_lo, exec_lo, s17
                                        ; implicit-def: $vgpr47
.LBB52_47:
	s_and_not1_saveexec_b32 s10, s16
; %bb.48:
	v_add_f32_e32 v4, v47, v47
; %bb.49:
	s_or_b32 exec_lo, exec_lo, s10
.LBB52_50:
	s_delay_alu instid0(SALU_CYCLE_1)
	s_or_b32 exec_lo, exec_lo, s14
.LBB52_51:
	s_delay_alu instid0(SALU_CYCLE_1) | instskip(SKIP_3) | instid1(VALU_DEP_1)
	s_or_b32 exec_lo, exec_lo, s13
	s_waitcnt vmcnt(6)
	v_trunc_f32_e32 v47, v9
	s_mov_b32 s13, exec_lo
	v_mul_f32_e64 v48, 0x2f800000, |v47|
	s_delay_alu instid0(VALU_DEP_1) | instskip(NEXT) | instid1(VALU_DEP_1)
	v_floor_f32_e32 v48, v48
	v_fma_f32 v49, 0xcf800000, v48, |v47|
	v_ashrrev_i32_e32 v47, 31, v47
	v_cvt_u32_f32_e32 v48, v48
	s_delay_alu instid0(VALU_DEP_3) | instskip(NEXT) | instid1(VALU_DEP_2)
	v_cvt_u32_f32_e32 v49, v49
	v_xor_b32_e32 v48, v48, v47
	s_delay_alu instid0(VALU_DEP_2) | instskip(NEXT) | instid1(VALU_DEP_1)
	v_xor_b32_e32 v49, v49, v47
	v_sub_co_u32 v49, vcc_lo, v49, v47
	s_delay_alu instid0(VALU_DEP_3) | instskip(SKIP_1) | instid1(VALU_DEP_2)
	v_sub_co_ci_u32_e32 v47, vcc_lo, v48, v47, vcc_lo
	v_cmp_class_f32_e64 vcc_lo, v9, 0x1f8
	v_dual_mov_b32 v9, 0 :: v_dual_cndmask_b32 v48, -1, v47
	s_delay_alu instid0(VALU_DEP_4) | instskip(NEXT) | instid1(VALU_DEP_1)
	v_cndmask_b32_e32 v47, -1, v49, vcc_lo
	v_cmpx_lt_i64_e32 -1, v[47:48]
	s_cbranch_execz .LBB52_63
; %bb.52:
	v_mov_b32_e32 v9, 1.0
	s_mov_b32 s14, exec_lo
	v_cmpx_lt_i64_e32 0, v[47:48]
	s_cbranch_execz .LBB52_62
; %bb.53:
	v_lshlrev_b32_e32 v49, 16, v45
                                        ; implicit-def: $vgpr9
	s_mov_b32 s10, exec_lo
	v_cmpx_ne_u64_e32 1, v[47:48]
	s_xor_b32 s16, exec_lo, s10
	s_cbranch_execz .LBB52_59
; %bb.54:
	v_mov_b32_e32 v9, 0x7fc00000
	s_mov_b32 s17, exec_lo
	v_cmpx_gt_u64_e32 0x81, v[47:48]
	s_cbranch_execz .LBB52_58
; %bb.55:
	v_dual_add_f32 v49, v49, v49 :: v_dual_mov_b32 v50, 1.0
	v_lshlrev_b64 v[47:48], 1, v[47:48]
	s_mov_b64 s[10:11], 2
	s_mov_b32 s18, 0
	s_delay_alu instid0(VALU_DEP_2)
	v_mov_b32_e32 v9, v49
	.p2align	6
.LBB52_56:                              ; =>This Inner Loop Header: Depth=1
	s_clz_i32_u32 s19, s11
	s_delay_alu instid0(SALU_CYCLE_1) | instskip(NEXT) | instid1(SALU_CYCLE_1)
	s_min_u32 s19, s19, 32
	s_lshl_b64 s[20:21], s[10:11], s19
	s_sub_i32 s19, 32, s19
	s_min_u32 s20, s20, 1
	s_delay_alu instid0(SALU_CYCLE_1) | instskip(SKIP_3) | instid1(SALU_CYCLE_1)
	s_or_b32 s20, s21, s20
	s_add_u32 s10, s10, 2
	v_cvt_f32_u32_e32 v55, s20
	s_addc_u32 s11, s11, 0
	v_cmp_ge_u64_e32 vcc_lo, s[10:11], v[47:48]
	s_delay_alu instid0(VALU_DEP_2) | instskip(SKIP_1) | instid1(VALU_DEP_1)
	v_ldexp_f32 v55, v55, s19
	s_or_b32 s18, vcc_lo, s18
	v_dual_mul_f32 v55, v50, v55 :: v_dual_mov_b32 v50, v9
	s_delay_alu instid0(VALU_DEP_1)
	v_fma_f32 v9, v49, v9, -v55
	s_and_not1_b32 exec_lo, exec_lo, s18
	s_cbranch_execnz .LBB52_56
; %bb.57:
	s_or_b32 exec_lo, exec_lo, s18
.LBB52_58:
	s_delay_alu instid0(SALU_CYCLE_1)
	s_or_b32 exec_lo, exec_lo, s17
                                        ; implicit-def: $vgpr49
.LBB52_59:
	s_and_not1_saveexec_b32 s10, s16
; %bb.60:
	v_add_f32_e32 v9, v49, v49
; %bb.61:
	s_or_b32 exec_lo, exec_lo, s10
.LBB52_62:
	s_delay_alu instid0(SALU_CYCLE_1)
	s_or_b32 exec_lo, exec_lo, s14
.LBB52_63:
	s_delay_alu instid0(SALU_CYCLE_1) | instskip(SKIP_2) | instid1(VALU_DEP_1)
	s_or_b32 exec_lo, exec_lo, s13
	v_trunc_f32_e32 v47, v10
	s_mov_b32 s13, exec_lo
	v_mul_f32_e64 v48, 0x2f800000, |v47|
	s_delay_alu instid0(VALU_DEP_1) | instskip(NEXT) | instid1(VALU_DEP_1)
	v_floor_f32_e32 v48, v48
	v_fma_f32 v49, 0xcf800000, v48, |v47|
	v_ashrrev_i32_e32 v47, 31, v47
	v_cvt_u32_f32_e32 v48, v48
	s_delay_alu instid0(VALU_DEP_3) | instskip(NEXT) | instid1(VALU_DEP_2)
	v_cvt_u32_f32_e32 v49, v49
	v_xor_b32_e32 v48, v48, v47
	s_delay_alu instid0(VALU_DEP_2) | instskip(NEXT) | instid1(VALU_DEP_1)
	v_xor_b32_e32 v49, v49, v47
	v_sub_co_u32 v49, vcc_lo, v49, v47
	s_delay_alu instid0(VALU_DEP_3) | instskip(SKIP_2) | instid1(VALU_DEP_3)
	v_sub_co_ci_u32_e32 v47, vcc_lo, v48, v47, vcc_lo
	v_cmp_class_f32_e64 vcc_lo, v10, 0x1f8
	v_mov_b32_e32 v10, 0
	v_dual_cndmask_b32 v48, -1, v47 :: v_dual_cndmask_b32 v47, -1, v49
	s_delay_alu instid0(VALU_DEP_1)
	v_cmpx_lt_i64_e32 -1, v[47:48]
	s_cbranch_execz .LBB52_75
; %bb.64:
	v_mov_b32_e32 v10, 1.0
	s_mov_b32 s14, exec_lo
	v_cmpx_lt_i64_e32 0, v[47:48]
	s_cbranch_execz .LBB52_74
; %bb.65:
	v_and_b32_e32 v45, 0xffff0000, v45
	s_mov_b32 s10, exec_lo
	v_cmpx_ne_u64_e32 1, v[47:48]
	s_xor_b32 s16, exec_lo, s10
	s_cbranch_execz .LBB52_71
; %bb.66:
	v_mov_b32_e32 v10, 0x7fc00000
	s_mov_b32 s17, exec_lo
	v_cmpx_gt_u64_e32 0x81, v[47:48]
	s_cbranch_execz .LBB52_70
; %bb.67:
	v_add_f32_e32 v45, v45, v45
	v_lshlrev_b64 v[47:48], 1, v[47:48]
	v_mov_b32_e32 v49, 1.0
	s_mov_b64 s[10:11], 2
	s_mov_b32 s18, 0
	v_mov_b32_e32 v10, v45
	.p2align	6
.LBB52_68:                              ; =>This Inner Loop Header: Depth=1
	s_clz_i32_u32 s19, s11
	s_delay_alu instid0(SALU_CYCLE_1) | instskip(NEXT) | instid1(SALU_CYCLE_1)
	s_min_u32 s19, s19, 32
	s_lshl_b64 s[20:21], s[10:11], s19
	s_sub_i32 s19, 32, s19
	s_min_u32 s20, s20, 1
	s_delay_alu instid0(SALU_CYCLE_1) | instskip(SKIP_3) | instid1(SALU_CYCLE_1)
	s_or_b32 s20, s21, s20
	s_add_u32 s10, s10, 2
	v_cvt_f32_u32_e32 v50, s20
	s_addc_u32 s11, s11, 0
	v_cmp_ge_u64_e32 vcc_lo, s[10:11], v[47:48]
	s_delay_alu instid0(VALU_DEP_2) | instskip(SKIP_1) | instid1(VALU_DEP_1)
	v_ldexp_f32 v50, v50, s19
	s_or_b32 s18, vcc_lo, s18
	v_dual_mul_f32 v50, v49, v50 :: v_dual_mov_b32 v49, v10
	s_delay_alu instid0(VALU_DEP_1)
	v_fma_f32 v10, v45, v10, -v50
	s_and_not1_b32 exec_lo, exec_lo, s18
	s_cbranch_execnz .LBB52_68
; %bb.69:
	s_or_b32 exec_lo, exec_lo, s18
.LBB52_70:
	s_delay_alu instid0(SALU_CYCLE_1)
	s_or_b32 exec_lo, exec_lo, s17
                                        ; implicit-def: $vgpr45
.LBB52_71:
	s_and_not1_saveexec_b32 s10, s16
; %bb.72:
	v_add_f32_e32 v10, v45, v45
; %bb.73:
	s_or_b32 exec_lo, exec_lo, s10
.LBB52_74:
	s_delay_alu instid0(SALU_CYCLE_1)
	s_or_b32 exec_lo, exec_lo, s14
.LBB52_75:
	s_delay_alu instid0(SALU_CYCLE_1) | instskip(SKIP_2) | instid1(VALU_DEP_1)
	s_or_b32 exec_lo, exec_lo, s13
	v_trunc_f32_e32 v45, v11
	s_mov_b32 s13, exec_lo
	v_mul_f32_e64 v47, 0x2f800000, |v45|
	s_delay_alu instid0(VALU_DEP_1) | instskip(NEXT) | instid1(VALU_DEP_1)
	v_floor_f32_e32 v47, v47
	v_fma_f32 v48, 0xcf800000, v47, |v45|
	v_ashrrev_i32_e32 v45, 31, v45
	v_cvt_u32_f32_e32 v47, v47
	s_delay_alu instid0(VALU_DEP_3) | instskip(NEXT) | instid1(VALU_DEP_2)
	v_cvt_u32_f32_e32 v48, v48
	v_xor_b32_e32 v47, v47, v45
	s_delay_alu instid0(VALU_DEP_2) | instskip(NEXT) | instid1(VALU_DEP_1)
	v_xor_b32_e32 v48, v48, v45
	v_sub_co_u32 v49, vcc_lo, v48, v45
	s_delay_alu instid0(VALU_DEP_3) | instskip(SKIP_1) | instid1(VALU_DEP_2)
	v_sub_co_ci_u32_e32 v45, vcc_lo, v47, v45, vcc_lo
	v_cmp_class_f32_e64 vcc_lo, v11, 0x1f8
	v_dual_mov_b32 v11, 0 :: v_dual_cndmask_b32 v48, -1, v45
	s_delay_alu instid0(VALU_DEP_4) | instskip(NEXT) | instid1(VALU_DEP_1)
	v_cndmask_b32_e32 v47, -1, v49, vcc_lo
	v_cmpx_lt_i64_e32 -1, v[47:48]
	s_cbranch_execz .LBB52_87
; %bb.76:
	v_mov_b32_e32 v11, 1.0
	s_mov_b32 s14, exec_lo
	v_cmpx_lt_i64_e32 0, v[47:48]
	s_cbranch_execz .LBB52_86
; %bb.77:
	v_lshlrev_b32_e32 v45, 16, v46
	s_mov_b32 s10, exec_lo
	v_cmpx_ne_u64_e32 1, v[47:48]
	s_xor_b32 s16, exec_lo, s10
	s_cbranch_execz .LBB52_83
; %bb.78:
	v_mov_b32_e32 v11, 0x7fc00000
	s_mov_b32 s17, exec_lo
	v_cmpx_gt_u64_e32 0x81, v[47:48]
	s_cbranch_execz .LBB52_82
; %bb.79:
	v_add_f32_e32 v45, v45, v45
	v_lshlrev_b64 v[47:48], 1, v[47:48]
	v_mov_b32_e32 v49, 1.0
	s_mov_b64 s[10:11], 2
	s_mov_b32 s18, 0
	v_mov_b32_e32 v11, v45
	.p2align	6
.LBB52_80:                              ; =>This Inner Loop Header: Depth=1
	s_clz_i32_u32 s19, s11
	s_delay_alu instid0(SALU_CYCLE_1) | instskip(NEXT) | instid1(SALU_CYCLE_1)
	s_min_u32 s19, s19, 32
	s_lshl_b64 s[20:21], s[10:11], s19
	s_sub_i32 s19, 32, s19
	s_min_u32 s20, s20, 1
	s_delay_alu instid0(SALU_CYCLE_1) | instskip(SKIP_3) | instid1(SALU_CYCLE_1)
	s_or_b32 s20, s21, s20
	s_add_u32 s10, s10, 2
	v_cvt_f32_u32_e32 v50, s20
	s_addc_u32 s11, s11, 0
	v_cmp_ge_u64_e32 vcc_lo, s[10:11], v[47:48]
	s_delay_alu instid0(VALU_DEP_2) | instskip(SKIP_1) | instid1(VALU_DEP_1)
	v_ldexp_f32 v50, v50, s19
	s_or_b32 s18, vcc_lo, s18
	v_dual_mul_f32 v50, v49, v50 :: v_dual_mov_b32 v49, v11
	s_delay_alu instid0(VALU_DEP_1)
	v_fma_f32 v11, v45, v11, -v50
	s_and_not1_b32 exec_lo, exec_lo, s18
	s_cbranch_execnz .LBB52_80
; %bb.81:
	s_or_b32 exec_lo, exec_lo, s18
.LBB52_82:
	s_delay_alu instid0(SALU_CYCLE_1)
	s_or_b32 exec_lo, exec_lo, s17
                                        ; implicit-def: $vgpr45
.LBB52_83:
	s_and_not1_saveexec_b32 s10, s16
; %bb.84:
	v_add_f32_e32 v11, v45, v45
; %bb.85:
	s_or_b32 exec_lo, exec_lo, s10
.LBB52_86:
	s_delay_alu instid0(SALU_CYCLE_1)
	s_or_b32 exec_lo, exec_lo, s14
.LBB52_87:
	s_delay_alu instid0(SALU_CYCLE_1) | instskip(SKIP_2) | instid1(VALU_DEP_1)
	s_or_b32 exec_lo, exec_lo, s13
	v_trunc_f32_e32 v45, v12
	s_mov_b32 s13, exec_lo
	v_mul_f32_e64 v47, 0x2f800000, |v45|
	s_delay_alu instid0(VALU_DEP_1) | instskip(NEXT) | instid1(VALU_DEP_1)
	v_floor_f32_e32 v47, v47
	v_fma_f32 v48, 0xcf800000, v47, |v45|
	v_ashrrev_i32_e32 v45, 31, v45
	v_cvt_u32_f32_e32 v47, v47
	s_delay_alu instid0(VALU_DEP_3) | instskip(NEXT) | instid1(VALU_DEP_2)
	v_cvt_u32_f32_e32 v48, v48
	v_xor_b32_e32 v47, v47, v45
	s_delay_alu instid0(VALU_DEP_2) | instskip(NEXT) | instid1(VALU_DEP_1)
	v_xor_b32_e32 v48, v48, v45
	v_sub_co_u32 v49, vcc_lo, v48, v45
	s_delay_alu instid0(VALU_DEP_3) | instskip(SKIP_2) | instid1(VALU_DEP_3)
	v_sub_co_ci_u32_e32 v45, vcc_lo, v47, v45, vcc_lo
	v_cmp_class_f32_e64 vcc_lo, v12, 0x1f8
	v_mov_b32_e32 v12, 0
	v_cndmask_b32_e32 v48, -1, v45, vcc_lo
	v_cndmask_b32_e32 v47, -1, v49, vcc_lo
	s_delay_alu instid0(VALU_DEP_1)
	v_cmpx_lt_i64_e32 -1, v[47:48]
	s_cbranch_execz .LBB52_99
; %bb.88:
	v_mov_b32_e32 v12, 1.0
	s_mov_b32 s14, exec_lo
	v_cmpx_lt_i64_e32 0, v[47:48]
	s_cbranch_execz .LBB52_98
; %bb.89:
	v_and_b32_e32 v45, 0xffff0000, v46
	s_mov_b32 s10, exec_lo
	v_cmpx_ne_u64_e32 1, v[47:48]
	s_xor_b32 s16, exec_lo, s10
	s_cbranch_execz .LBB52_95
; %bb.90:
	v_mov_b32_e32 v12, 0x7fc00000
	s_mov_b32 s17, exec_lo
	v_cmpx_gt_u64_e32 0x81, v[47:48]
	s_cbranch_execz .LBB52_94
; %bb.91:
	v_add_f32_e32 v49, v45, v45
	v_lshlrev_b64 v[45:46], 1, v[47:48]
	v_mov_b32_e32 v47, 1.0
	s_mov_b64 s[10:11], 2
	s_mov_b32 s18, 0
	v_mov_b32_e32 v12, v49
	.p2align	6
.LBB52_92:                              ; =>This Inner Loop Header: Depth=1
	s_clz_i32_u32 s19, s11
	s_delay_alu instid0(SALU_CYCLE_1) | instskip(NEXT) | instid1(SALU_CYCLE_1)
	s_min_u32 s19, s19, 32
	s_lshl_b64 s[20:21], s[10:11], s19
	s_sub_i32 s19, 32, s19
	s_min_u32 s20, s20, 1
	s_delay_alu instid0(SALU_CYCLE_1) | instskip(SKIP_3) | instid1(SALU_CYCLE_1)
	s_or_b32 s20, s21, s20
	s_add_u32 s10, s10, 2
	v_cvt_f32_u32_e32 v48, s20
	s_addc_u32 s11, s11, 0
	v_cmp_ge_u64_e32 vcc_lo, s[10:11], v[45:46]
	s_delay_alu instid0(VALU_DEP_2) | instskip(SKIP_1) | instid1(VALU_DEP_1)
	v_ldexp_f32 v48, v48, s19
	s_or_b32 s18, vcc_lo, s18
	v_dual_mul_f32 v48, v47, v48 :: v_dual_mov_b32 v47, v12
	s_delay_alu instid0(VALU_DEP_1)
	v_fma_f32 v12, v49, v12, -v48
	s_and_not1_b32 exec_lo, exec_lo, s18
	s_cbranch_execnz .LBB52_92
; %bb.93:
	s_or_b32 exec_lo, exec_lo, s18
.LBB52_94:
	s_delay_alu instid0(SALU_CYCLE_1)
	s_or_b32 exec_lo, exec_lo, s17
                                        ; implicit-def: $vgpr45
.LBB52_95:
	s_and_not1_saveexec_b32 s10, s16
; %bb.96:
	v_add_f32_e32 v12, v45, v45
; %bb.97:
	s_or_b32 exec_lo, exec_lo, s10
.LBB52_98:
	s_delay_alu instid0(SALU_CYCLE_1)
	s_or_b32 exec_lo, exec_lo, s14
.LBB52_99:
	s_delay_alu instid0(SALU_CYCLE_1) | instskip(SKIP_3) | instid1(VALU_DEP_1)
	s_or_b32 exec_lo, exec_lo, s13
	s_waitcnt vmcnt(5)
	v_trunc_f32_e32 v45, v17
	s_mov_b32 s13, exec_lo
	v_mul_f32_e64 v46, 0x2f800000, |v45|
	s_delay_alu instid0(VALU_DEP_1) | instskip(NEXT) | instid1(VALU_DEP_1)
	v_floor_f32_e32 v46, v46
	v_fma_f32 v47, 0xcf800000, v46, |v45|
	v_ashrrev_i32_e32 v45, 31, v45
	v_cvt_u32_f32_e32 v46, v46
	s_delay_alu instid0(VALU_DEP_3) | instskip(NEXT) | instid1(VALU_DEP_2)
	v_cvt_u32_f32_e32 v47, v47
	v_xor_b32_e32 v46, v46, v45
	s_delay_alu instid0(VALU_DEP_2) | instskip(NEXT) | instid1(VALU_DEP_1)
	v_xor_b32_e32 v47, v47, v45
	v_sub_co_u32 v47, vcc_lo, v47, v45
	s_delay_alu instid0(VALU_DEP_3) | instskip(SKIP_1) | instid1(VALU_DEP_2)
	v_sub_co_ci_u32_e32 v45, vcc_lo, v46, v45, vcc_lo
	v_cmp_class_f32_e64 vcc_lo, v17, 0x1f8
	v_dual_mov_b32 v17, 0 :: v_dual_cndmask_b32 v46, -1, v45
	s_delay_alu instid0(VALU_DEP_4) | instskip(NEXT) | instid1(VALU_DEP_1)
	v_cndmask_b32_e32 v45, -1, v47, vcc_lo
	v_cmpx_lt_i64_e32 -1, v[45:46]
	s_cbranch_execz .LBB52_111
; %bb.100:
	v_mov_b32_e32 v17, 1.0
	s_mov_b32 s14, exec_lo
	v_cmpx_lt_i64_e32 0, v[45:46]
	s_cbranch_execz .LBB52_110
; %bb.101:
	v_lshlrev_b32_e32 v47, 16, v43
                                        ; implicit-def: $vgpr17
	s_mov_b32 s10, exec_lo
	v_cmpx_ne_u64_e32 1, v[45:46]
	s_xor_b32 s16, exec_lo, s10
	s_cbranch_execz .LBB52_107
; %bb.102:
	v_mov_b32_e32 v17, 0x7fc00000
	s_mov_b32 s17, exec_lo
	v_cmpx_gt_u64_e32 0x81, v[45:46]
	s_cbranch_execz .LBB52_106
; %bb.103:
	v_dual_add_f32 v47, v47, v47 :: v_dual_mov_b32 v48, 1.0
	v_lshlrev_b64 v[45:46], 1, v[45:46]
	s_mov_b64 s[10:11], 2
	s_mov_b32 s18, 0
	s_delay_alu instid0(VALU_DEP_2)
	v_mov_b32_e32 v17, v47
	.p2align	6
.LBB52_104:                             ; =>This Inner Loop Header: Depth=1
	s_clz_i32_u32 s19, s11
	s_delay_alu instid0(SALU_CYCLE_1) | instskip(NEXT) | instid1(SALU_CYCLE_1)
	s_min_u32 s19, s19, 32
	s_lshl_b64 s[20:21], s[10:11], s19
	s_sub_i32 s19, 32, s19
	s_min_u32 s20, s20, 1
	s_delay_alu instid0(SALU_CYCLE_1) | instskip(SKIP_3) | instid1(SALU_CYCLE_1)
	s_or_b32 s20, s21, s20
	s_add_u32 s10, s10, 2
	v_cvt_f32_u32_e32 v49, s20
	s_addc_u32 s11, s11, 0
	v_cmp_ge_u64_e32 vcc_lo, s[10:11], v[45:46]
	s_delay_alu instid0(VALU_DEP_2) | instskip(SKIP_1) | instid1(VALU_DEP_1)
	v_ldexp_f32 v49, v49, s19
	s_or_b32 s18, vcc_lo, s18
	v_dual_mul_f32 v49, v48, v49 :: v_dual_mov_b32 v48, v17
	s_delay_alu instid0(VALU_DEP_1)
	v_fma_f32 v17, v47, v17, -v49
	s_and_not1_b32 exec_lo, exec_lo, s18
	s_cbranch_execnz .LBB52_104
; %bb.105:
	s_or_b32 exec_lo, exec_lo, s18
.LBB52_106:
	s_delay_alu instid0(SALU_CYCLE_1)
	s_or_b32 exec_lo, exec_lo, s17
                                        ; implicit-def: $vgpr47
.LBB52_107:
	s_and_not1_saveexec_b32 s10, s16
; %bb.108:
	v_add_f32_e32 v17, v47, v47
; %bb.109:
	s_or_b32 exec_lo, exec_lo, s10
.LBB52_110:
	s_delay_alu instid0(SALU_CYCLE_1)
	s_or_b32 exec_lo, exec_lo, s14
.LBB52_111:
	s_delay_alu instid0(SALU_CYCLE_1) | instskip(SKIP_2) | instid1(VALU_DEP_1)
	s_or_b32 exec_lo, exec_lo, s13
	v_trunc_f32_e32 v45, v18
	s_mov_b32 s13, exec_lo
	v_mul_f32_e64 v46, 0x2f800000, |v45|
	s_delay_alu instid0(VALU_DEP_1) | instskip(NEXT) | instid1(VALU_DEP_1)
	v_floor_f32_e32 v46, v46
	v_fma_f32 v47, 0xcf800000, v46, |v45|
	v_ashrrev_i32_e32 v45, 31, v45
	v_cvt_u32_f32_e32 v46, v46
	s_delay_alu instid0(VALU_DEP_3) | instskip(NEXT) | instid1(VALU_DEP_2)
	v_cvt_u32_f32_e32 v47, v47
	v_xor_b32_e32 v46, v46, v45
	s_delay_alu instid0(VALU_DEP_2) | instskip(NEXT) | instid1(VALU_DEP_1)
	v_xor_b32_e32 v47, v47, v45
	v_sub_co_u32 v47, vcc_lo, v47, v45
	s_delay_alu instid0(VALU_DEP_3) | instskip(SKIP_2) | instid1(VALU_DEP_3)
	v_sub_co_ci_u32_e32 v45, vcc_lo, v46, v45, vcc_lo
	v_cmp_class_f32_e64 vcc_lo, v18, 0x1f8
	v_mov_b32_e32 v18, 0
	v_dual_cndmask_b32 v46, -1, v45 :: v_dual_cndmask_b32 v45, -1, v47
	s_delay_alu instid0(VALU_DEP_1)
	v_cmpx_lt_i64_e32 -1, v[45:46]
	s_cbranch_execz .LBB52_123
; %bb.112:
	v_mov_b32_e32 v18, 1.0
	s_mov_b32 s14, exec_lo
	v_cmpx_lt_i64_e32 0, v[45:46]
	s_cbranch_execz .LBB52_122
; %bb.113:
	v_and_b32_e32 v43, 0xffff0000, v43
	s_mov_b32 s10, exec_lo
	v_cmpx_ne_u64_e32 1, v[45:46]
	s_xor_b32 s16, exec_lo, s10
	s_cbranch_execz .LBB52_119
; %bb.114:
	v_mov_b32_e32 v18, 0x7fc00000
	s_mov_b32 s17, exec_lo
	v_cmpx_gt_u64_e32 0x81, v[45:46]
	s_cbranch_execz .LBB52_118
; %bb.115:
	v_add_f32_e32 v43, v43, v43
	v_lshlrev_b64 v[45:46], 1, v[45:46]
	v_mov_b32_e32 v47, 1.0
	s_mov_b64 s[10:11], 2
	s_mov_b32 s18, 0
	v_mov_b32_e32 v18, v43
	.p2align	6
.LBB52_116:                             ; =>This Inner Loop Header: Depth=1
	s_clz_i32_u32 s19, s11
	s_delay_alu instid0(SALU_CYCLE_1) | instskip(NEXT) | instid1(SALU_CYCLE_1)
	s_min_u32 s19, s19, 32
	s_lshl_b64 s[20:21], s[10:11], s19
	s_sub_i32 s19, 32, s19
	s_min_u32 s20, s20, 1
	s_delay_alu instid0(SALU_CYCLE_1) | instskip(SKIP_3) | instid1(SALU_CYCLE_1)
	s_or_b32 s20, s21, s20
	s_add_u32 s10, s10, 2
	v_cvt_f32_u32_e32 v48, s20
	s_addc_u32 s11, s11, 0
	v_cmp_ge_u64_e32 vcc_lo, s[10:11], v[45:46]
	s_delay_alu instid0(VALU_DEP_2) | instskip(SKIP_1) | instid1(VALU_DEP_1)
	v_ldexp_f32 v48, v48, s19
	s_or_b32 s18, vcc_lo, s18
	v_dual_mul_f32 v48, v47, v48 :: v_dual_mov_b32 v47, v18
	s_delay_alu instid0(VALU_DEP_1)
	v_fma_f32 v18, v43, v18, -v48
	s_and_not1_b32 exec_lo, exec_lo, s18
	s_cbranch_execnz .LBB52_116
; %bb.117:
	s_or_b32 exec_lo, exec_lo, s18
.LBB52_118:
	s_delay_alu instid0(SALU_CYCLE_1)
	s_or_b32 exec_lo, exec_lo, s17
                                        ; implicit-def: $vgpr43
.LBB52_119:
	s_and_not1_saveexec_b32 s10, s16
; %bb.120:
	v_add_f32_e32 v18, v43, v43
; %bb.121:
	s_or_b32 exec_lo, exec_lo, s10
.LBB52_122:
	s_delay_alu instid0(SALU_CYCLE_1)
	s_or_b32 exec_lo, exec_lo, s14
.LBB52_123:
	s_delay_alu instid0(SALU_CYCLE_1) | instskip(SKIP_2) | instid1(VALU_DEP_1)
	s_or_b32 exec_lo, exec_lo, s13
	v_trunc_f32_e32 v43, v19
	s_mov_b32 s13, exec_lo
	v_mul_f32_e64 v45, 0x2f800000, |v43|
	s_delay_alu instid0(VALU_DEP_1) | instskip(NEXT) | instid1(VALU_DEP_1)
	v_floor_f32_e32 v45, v45
	v_fma_f32 v46, 0xcf800000, v45, |v43|
	v_ashrrev_i32_e32 v43, 31, v43
	v_cvt_u32_f32_e32 v45, v45
	s_delay_alu instid0(VALU_DEP_3) | instskip(NEXT) | instid1(VALU_DEP_2)
	v_cvt_u32_f32_e32 v46, v46
	v_xor_b32_e32 v45, v45, v43
	s_delay_alu instid0(VALU_DEP_2) | instskip(NEXT) | instid1(VALU_DEP_1)
	v_xor_b32_e32 v46, v46, v43
	v_sub_co_u32 v47, vcc_lo, v46, v43
	s_delay_alu instid0(VALU_DEP_3) | instskip(SKIP_1) | instid1(VALU_DEP_2)
	v_sub_co_ci_u32_e32 v43, vcc_lo, v45, v43, vcc_lo
	v_cmp_class_f32_e64 vcc_lo, v19, 0x1f8
	v_dual_mov_b32 v19, 0 :: v_dual_cndmask_b32 v46, -1, v43
	s_delay_alu instid0(VALU_DEP_4) | instskip(NEXT) | instid1(VALU_DEP_1)
	v_cndmask_b32_e32 v45, -1, v47, vcc_lo
	v_cmpx_lt_i64_e32 -1, v[45:46]
	s_cbranch_execz .LBB52_135
; %bb.124:
	v_mov_b32_e32 v19, 1.0
	s_mov_b32 s14, exec_lo
	v_cmpx_lt_i64_e32 0, v[45:46]
	s_cbranch_execz .LBB52_134
; %bb.125:
	v_lshlrev_b32_e32 v43, 16, v44
	s_mov_b32 s10, exec_lo
	v_cmpx_ne_u64_e32 1, v[45:46]
	s_xor_b32 s16, exec_lo, s10
	s_cbranch_execz .LBB52_131
; %bb.126:
	v_mov_b32_e32 v19, 0x7fc00000
	s_mov_b32 s17, exec_lo
	v_cmpx_gt_u64_e32 0x81, v[45:46]
	s_cbranch_execz .LBB52_130
; %bb.127:
	v_add_f32_e32 v43, v43, v43
	v_lshlrev_b64 v[45:46], 1, v[45:46]
	v_mov_b32_e32 v47, 1.0
	s_mov_b64 s[10:11], 2
	s_mov_b32 s18, 0
	v_mov_b32_e32 v19, v43
	.p2align	6
.LBB52_128:                             ; =>This Inner Loop Header: Depth=1
	s_clz_i32_u32 s19, s11
	s_delay_alu instid0(SALU_CYCLE_1) | instskip(NEXT) | instid1(SALU_CYCLE_1)
	s_min_u32 s19, s19, 32
	s_lshl_b64 s[20:21], s[10:11], s19
	s_sub_i32 s19, 32, s19
	s_min_u32 s20, s20, 1
	s_delay_alu instid0(SALU_CYCLE_1) | instskip(SKIP_3) | instid1(SALU_CYCLE_1)
	s_or_b32 s20, s21, s20
	s_add_u32 s10, s10, 2
	v_cvt_f32_u32_e32 v48, s20
	s_addc_u32 s11, s11, 0
	v_cmp_ge_u64_e32 vcc_lo, s[10:11], v[45:46]
	s_delay_alu instid0(VALU_DEP_2) | instskip(SKIP_1) | instid1(VALU_DEP_1)
	v_ldexp_f32 v48, v48, s19
	s_or_b32 s18, vcc_lo, s18
	v_mul_f32_e32 v48, v47, v48
	v_mov_b32_e32 v47, v19
	s_delay_alu instid0(VALU_DEP_2)
	v_fma_f32 v19, v43, v19, -v48
	s_and_not1_b32 exec_lo, exec_lo, s18
	s_cbranch_execnz .LBB52_128
; %bb.129:
	s_or_b32 exec_lo, exec_lo, s18
.LBB52_130:
	s_delay_alu instid0(SALU_CYCLE_1)
	s_or_b32 exec_lo, exec_lo, s17
                                        ; implicit-def: $vgpr43
.LBB52_131:
	s_and_not1_saveexec_b32 s10, s16
; %bb.132:
	v_add_f32_e32 v19, v43, v43
; %bb.133:
	s_or_b32 exec_lo, exec_lo, s10
.LBB52_134:
	s_delay_alu instid0(SALU_CYCLE_1)
	s_or_b32 exec_lo, exec_lo, s14
.LBB52_135:
	s_delay_alu instid0(SALU_CYCLE_1) | instskip(SKIP_2) | instid1(VALU_DEP_1)
	s_or_b32 exec_lo, exec_lo, s13
	v_trunc_f32_e32 v43, v20
	s_mov_b32 s13, exec_lo
	v_mul_f32_e64 v45, 0x2f800000, |v43|
	s_delay_alu instid0(VALU_DEP_1) | instskip(NEXT) | instid1(VALU_DEP_1)
	v_floor_f32_e32 v45, v45
	v_fma_f32 v46, 0xcf800000, v45, |v43|
	v_ashrrev_i32_e32 v43, 31, v43
	v_cvt_u32_f32_e32 v45, v45
	s_delay_alu instid0(VALU_DEP_3) | instskip(NEXT) | instid1(VALU_DEP_2)
	v_cvt_u32_f32_e32 v46, v46
	v_xor_b32_e32 v45, v45, v43
	s_delay_alu instid0(VALU_DEP_2) | instskip(NEXT) | instid1(VALU_DEP_1)
	v_xor_b32_e32 v46, v46, v43
	v_sub_co_u32 v47, vcc_lo, v46, v43
	s_delay_alu instid0(VALU_DEP_3) | instskip(SKIP_2) | instid1(VALU_DEP_3)
	v_sub_co_ci_u32_e32 v43, vcc_lo, v45, v43, vcc_lo
	v_cmp_class_f32_e64 vcc_lo, v20, 0x1f8
	v_mov_b32_e32 v20, 0
	v_cndmask_b32_e32 v46, -1, v43, vcc_lo
	v_cndmask_b32_e32 v45, -1, v47, vcc_lo
	s_delay_alu instid0(VALU_DEP_1)
	v_cmpx_lt_i64_e32 -1, v[45:46]
	s_cbranch_execz .LBB52_147
; %bb.136:
	v_mov_b32_e32 v20, 1.0
	s_mov_b32 s14, exec_lo
	v_cmpx_lt_i64_e32 0, v[45:46]
	s_cbranch_execz .LBB52_146
; %bb.137:
	v_and_b32_e32 v43, 0xffff0000, v44
	s_mov_b32 s10, exec_lo
	v_cmpx_ne_u64_e32 1, v[45:46]
	s_xor_b32 s16, exec_lo, s10
	s_cbranch_execz .LBB52_143
; %bb.138:
	v_mov_b32_e32 v20, 0x7fc00000
	s_mov_b32 s17, exec_lo
	v_cmpx_gt_u64_e32 0x81, v[45:46]
	s_cbranch_execz .LBB52_142
; %bb.139:
	v_add_f32_e32 v47, v43, v43
	v_lshlrev_b64 v[43:44], 1, v[45:46]
	v_mov_b32_e32 v45, 1.0
	s_mov_b64 s[10:11], 2
	s_mov_b32 s18, 0
	v_mov_b32_e32 v20, v47
	.p2align	6
.LBB52_140:                             ; =>This Inner Loop Header: Depth=1
	s_clz_i32_u32 s19, s11
	s_delay_alu instid0(SALU_CYCLE_1) | instskip(NEXT) | instid1(SALU_CYCLE_1)
	s_min_u32 s19, s19, 32
	s_lshl_b64 s[20:21], s[10:11], s19
	s_sub_i32 s19, 32, s19
	s_min_u32 s20, s20, 1
	s_delay_alu instid0(SALU_CYCLE_1) | instskip(SKIP_3) | instid1(SALU_CYCLE_1)
	s_or_b32 s20, s21, s20
	s_add_u32 s10, s10, 2
	v_cvt_f32_u32_e32 v46, s20
	s_addc_u32 s11, s11, 0
	v_cmp_ge_u64_e32 vcc_lo, s[10:11], v[43:44]
	s_delay_alu instid0(VALU_DEP_2) | instskip(SKIP_1) | instid1(VALU_DEP_1)
	v_ldexp_f32 v46, v46, s19
	s_or_b32 s18, vcc_lo, s18
	v_dual_mul_f32 v46, v45, v46 :: v_dual_mov_b32 v45, v20
	s_delay_alu instid0(VALU_DEP_1)
	v_fma_f32 v20, v47, v20, -v46
	s_and_not1_b32 exec_lo, exec_lo, s18
	s_cbranch_execnz .LBB52_140
; %bb.141:
	s_or_b32 exec_lo, exec_lo, s18
.LBB52_142:
	s_delay_alu instid0(SALU_CYCLE_1)
	s_or_b32 exec_lo, exec_lo, s17
                                        ; implicit-def: $vgpr43
.LBB52_143:
	s_and_not1_saveexec_b32 s10, s16
; %bb.144:
	v_add_f32_e32 v20, v43, v43
; %bb.145:
	s_or_b32 exec_lo, exec_lo, s10
.LBB52_146:
	s_delay_alu instid0(SALU_CYCLE_1)
	s_or_b32 exec_lo, exec_lo, s14
.LBB52_147:
	s_delay_alu instid0(SALU_CYCLE_1) | instskip(SKIP_3) | instid1(VALU_DEP_1)
	s_or_b32 exec_lo, exec_lo, s13
	s_waitcnt vmcnt(4)
	v_trunc_f32_e32 v43, v25
	s_mov_b32 s13, exec_lo
	v_mul_f32_e64 v44, 0x2f800000, |v43|
	s_delay_alu instid0(VALU_DEP_1) | instskip(NEXT) | instid1(VALU_DEP_1)
	v_floor_f32_e32 v44, v44
	v_fma_f32 v45, 0xcf800000, v44, |v43|
	v_ashrrev_i32_e32 v43, 31, v43
	v_cvt_u32_f32_e32 v44, v44
	s_delay_alu instid0(VALU_DEP_3) | instskip(NEXT) | instid1(VALU_DEP_2)
	v_cvt_u32_f32_e32 v45, v45
	v_xor_b32_e32 v44, v44, v43
	s_delay_alu instid0(VALU_DEP_2) | instskip(NEXT) | instid1(VALU_DEP_1)
	v_xor_b32_e32 v45, v45, v43
	v_sub_co_u32 v45, vcc_lo, v45, v43
	s_delay_alu instid0(VALU_DEP_3) | instskip(SKIP_1) | instid1(VALU_DEP_2)
	v_sub_co_ci_u32_e32 v43, vcc_lo, v44, v43, vcc_lo
	v_cmp_class_f32_e64 vcc_lo, v25, 0x1f8
	v_dual_mov_b32 v25, 0 :: v_dual_cndmask_b32 v44, -1, v43
	s_delay_alu instid0(VALU_DEP_4) | instskip(NEXT) | instid1(VALU_DEP_1)
	v_cndmask_b32_e32 v43, -1, v45, vcc_lo
	v_cmpx_lt_i64_e32 -1, v[43:44]
	s_cbranch_execz .LBB52_159
; %bb.148:
	v_mov_b32_e32 v25, 1.0
	s_mov_b32 s14, exec_lo
	v_cmpx_lt_i64_e32 0, v[43:44]
	s_cbranch_execz .LBB52_158
; %bb.149:
	v_lshlrev_b32_e32 v45, 16, v41
                                        ; implicit-def: $vgpr25
	s_mov_b32 s10, exec_lo
	v_cmpx_ne_u64_e32 1, v[43:44]
	s_xor_b32 s16, exec_lo, s10
	s_cbranch_execz .LBB52_155
; %bb.150:
	v_mov_b32_e32 v25, 0x7fc00000
	s_mov_b32 s17, exec_lo
	v_cmpx_gt_u64_e32 0x81, v[43:44]
	s_cbranch_execz .LBB52_154
; %bb.151:
	v_dual_add_f32 v45, v45, v45 :: v_dual_mov_b32 v46, 1.0
	v_lshlrev_b64 v[43:44], 1, v[43:44]
	s_mov_b64 s[10:11], 2
	s_mov_b32 s18, 0
	s_delay_alu instid0(VALU_DEP_2)
	v_mov_b32_e32 v25, v45
	.p2align	6
.LBB52_152:                             ; =>This Inner Loop Header: Depth=1
	s_clz_i32_u32 s19, s11
	s_delay_alu instid0(SALU_CYCLE_1) | instskip(NEXT) | instid1(SALU_CYCLE_1)
	s_min_u32 s19, s19, 32
	s_lshl_b64 s[20:21], s[10:11], s19
	s_sub_i32 s19, 32, s19
	s_min_u32 s20, s20, 1
	s_delay_alu instid0(SALU_CYCLE_1) | instskip(SKIP_3) | instid1(SALU_CYCLE_1)
	s_or_b32 s20, s21, s20
	s_add_u32 s10, s10, 2
	v_cvt_f32_u32_e32 v47, s20
	s_addc_u32 s11, s11, 0
	v_cmp_ge_u64_e32 vcc_lo, s[10:11], v[43:44]
	s_delay_alu instid0(VALU_DEP_2) | instskip(SKIP_1) | instid1(VALU_DEP_1)
	v_ldexp_f32 v47, v47, s19
	s_or_b32 s18, vcc_lo, s18
	v_dual_mul_f32 v47, v46, v47 :: v_dual_mov_b32 v46, v25
	s_delay_alu instid0(VALU_DEP_1)
	v_fma_f32 v25, v45, v25, -v47
	s_and_not1_b32 exec_lo, exec_lo, s18
	s_cbranch_execnz .LBB52_152
; %bb.153:
	s_or_b32 exec_lo, exec_lo, s18
.LBB52_154:
	s_delay_alu instid0(SALU_CYCLE_1)
	s_or_b32 exec_lo, exec_lo, s17
                                        ; implicit-def: $vgpr45
.LBB52_155:
	s_and_not1_saveexec_b32 s10, s16
; %bb.156:
	v_add_f32_e32 v25, v45, v45
; %bb.157:
	s_or_b32 exec_lo, exec_lo, s10
.LBB52_158:
	s_delay_alu instid0(SALU_CYCLE_1)
	s_or_b32 exec_lo, exec_lo, s14
.LBB52_159:
	s_delay_alu instid0(SALU_CYCLE_1) | instskip(SKIP_2) | instid1(VALU_DEP_1)
	s_or_b32 exec_lo, exec_lo, s13
	v_trunc_f32_e32 v43, v26
	s_mov_b32 s13, exec_lo
	v_mul_f32_e64 v44, 0x2f800000, |v43|
	s_delay_alu instid0(VALU_DEP_1) | instskip(NEXT) | instid1(VALU_DEP_1)
	v_floor_f32_e32 v44, v44
	v_fma_f32 v45, 0xcf800000, v44, |v43|
	v_ashrrev_i32_e32 v43, 31, v43
	v_cvt_u32_f32_e32 v44, v44
	s_delay_alu instid0(VALU_DEP_3) | instskip(NEXT) | instid1(VALU_DEP_2)
	v_cvt_u32_f32_e32 v45, v45
	v_xor_b32_e32 v44, v44, v43
	s_delay_alu instid0(VALU_DEP_2) | instskip(NEXT) | instid1(VALU_DEP_1)
	v_xor_b32_e32 v45, v45, v43
	v_sub_co_u32 v45, vcc_lo, v45, v43
	s_delay_alu instid0(VALU_DEP_3) | instskip(SKIP_2) | instid1(VALU_DEP_3)
	v_sub_co_ci_u32_e32 v43, vcc_lo, v44, v43, vcc_lo
	v_cmp_class_f32_e64 vcc_lo, v26, 0x1f8
	v_mov_b32_e32 v26, 0
	v_dual_cndmask_b32 v44, -1, v43 :: v_dual_cndmask_b32 v43, -1, v45
	s_delay_alu instid0(VALU_DEP_1)
	v_cmpx_lt_i64_e32 -1, v[43:44]
	s_cbranch_execz .LBB52_171
; %bb.160:
	v_mov_b32_e32 v26, 1.0
	s_mov_b32 s14, exec_lo
	v_cmpx_lt_i64_e32 0, v[43:44]
	s_cbranch_execz .LBB52_170
; %bb.161:
	v_and_b32_e32 v41, 0xffff0000, v41
	s_mov_b32 s10, exec_lo
	v_cmpx_ne_u64_e32 1, v[43:44]
	s_xor_b32 s16, exec_lo, s10
	s_cbranch_execz .LBB52_167
; %bb.162:
	v_mov_b32_e32 v26, 0x7fc00000
	s_mov_b32 s17, exec_lo
	v_cmpx_gt_u64_e32 0x81, v[43:44]
	s_cbranch_execz .LBB52_166
; %bb.163:
	v_add_f32_e32 v41, v41, v41
	v_lshlrev_b64 v[43:44], 1, v[43:44]
	v_mov_b32_e32 v45, 1.0
	s_mov_b64 s[10:11], 2
	s_mov_b32 s18, 0
	v_mov_b32_e32 v26, v41
	.p2align	6
.LBB52_164:                             ; =>This Inner Loop Header: Depth=1
	s_clz_i32_u32 s19, s11
	s_delay_alu instid0(SALU_CYCLE_1) | instskip(NEXT) | instid1(SALU_CYCLE_1)
	s_min_u32 s19, s19, 32
	s_lshl_b64 s[20:21], s[10:11], s19
	s_sub_i32 s19, 32, s19
	s_min_u32 s20, s20, 1
	s_delay_alu instid0(SALU_CYCLE_1) | instskip(SKIP_3) | instid1(SALU_CYCLE_1)
	s_or_b32 s20, s21, s20
	s_add_u32 s10, s10, 2
	v_cvt_f32_u32_e32 v46, s20
	s_addc_u32 s11, s11, 0
	v_cmp_ge_u64_e32 vcc_lo, s[10:11], v[43:44]
	s_delay_alu instid0(VALU_DEP_2) | instskip(SKIP_1) | instid1(VALU_DEP_1)
	v_ldexp_f32 v46, v46, s19
	s_or_b32 s18, vcc_lo, s18
	v_dual_mul_f32 v46, v45, v46 :: v_dual_mov_b32 v45, v26
	s_delay_alu instid0(VALU_DEP_1)
	v_fma_f32 v26, v41, v26, -v46
	s_and_not1_b32 exec_lo, exec_lo, s18
	s_cbranch_execnz .LBB52_164
; %bb.165:
	s_or_b32 exec_lo, exec_lo, s18
.LBB52_166:
	s_delay_alu instid0(SALU_CYCLE_1)
	s_or_b32 exec_lo, exec_lo, s17
                                        ; implicit-def: $vgpr41
.LBB52_167:
	s_and_not1_saveexec_b32 s10, s16
; %bb.168:
	v_add_f32_e32 v26, v41, v41
; %bb.169:
	s_or_b32 exec_lo, exec_lo, s10
.LBB52_170:
	s_delay_alu instid0(SALU_CYCLE_1)
	s_or_b32 exec_lo, exec_lo, s14
.LBB52_171:
	s_delay_alu instid0(SALU_CYCLE_1) | instskip(SKIP_2) | instid1(VALU_DEP_1)
	s_or_b32 exec_lo, exec_lo, s13
	v_trunc_f32_e32 v41, v27
	s_mov_b32 s13, exec_lo
	v_mul_f32_e64 v43, 0x2f800000, |v41|
	s_delay_alu instid0(VALU_DEP_1) | instskip(NEXT) | instid1(VALU_DEP_1)
	v_floor_f32_e32 v43, v43
	v_fma_f32 v44, 0xcf800000, v43, |v41|
	v_ashrrev_i32_e32 v41, 31, v41
	v_cvt_u32_f32_e32 v43, v43
	s_delay_alu instid0(VALU_DEP_3) | instskip(NEXT) | instid1(VALU_DEP_2)
	v_cvt_u32_f32_e32 v44, v44
	v_xor_b32_e32 v43, v43, v41
	s_delay_alu instid0(VALU_DEP_2) | instskip(NEXT) | instid1(VALU_DEP_1)
	v_xor_b32_e32 v44, v44, v41
	v_sub_co_u32 v45, vcc_lo, v44, v41
	s_delay_alu instid0(VALU_DEP_3) | instskip(SKIP_1) | instid1(VALU_DEP_2)
	v_sub_co_ci_u32_e32 v41, vcc_lo, v43, v41, vcc_lo
	v_cmp_class_f32_e64 vcc_lo, v27, 0x1f8
	v_dual_mov_b32 v27, 0 :: v_dual_cndmask_b32 v44, -1, v41
	s_delay_alu instid0(VALU_DEP_4) | instskip(NEXT) | instid1(VALU_DEP_1)
	v_cndmask_b32_e32 v43, -1, v45, vcc_lo
	v_cmpx_lt_i64_e32 -1, v[43:44]
	s_cbranch_execz .LBB52_183
; %bb.172:
	v_mov_b32_e32 v27, 1.0
	s_mov_b32 s14, exec_lo
	v_cmpx_lt_i64_e32 0, v[43:44]
	s_cbranch_execz .LBB52_182
; %bb.173:
	v_lshlrev_b32_e32 v41, 16, v42
	s_mov_b32 s10, exec_lo
	v_cmpx_ne_u64_e32 1, v[43:44]
	s_xor_b32 s16, exec_lo, s10
	s_cbranch_execz .LBB52_179
; %bb.174:
	v_mov_b32_e32 v27, 0x7fc00000
	s_mov_b32 s17, exec_lo
	v_cmpx_gt_u64_e32 0x81, v[43:44]
	s_cbranch_execz .LBB52_178
; %bb.175:
	v_add_f32_e32 v41, v41, v41
	v_lshlrev_b64 v[43:44], 1, v[43:44]
	v_mov_b32_e32 v45, 1.0
	s_mov_b64 s[10:11], 2
	s_mov_b32 s18, 0
	v_mov_b32_e32 v27, v41
	.p2align	6
.LBB52_176:                             ; =>This Inner Loop Header: Depth=1
	s_clz_i32_u32 s19, s11
	s_delay_alu instid0(SALU_CYCLE_1) | instskip(NEXT) | instid1(SALU_CYCLE_1)
	s_min_u32 s19, s19, 32
	s_lshl_b64 s[20:21], s[10:11], s19
	s_sub_i32 s19, 32, s19
	s_min_u32 s20, s20, 1
	s_delay_alu instid0(SALU_CYCLE_1) | instskip(SKIP_3) | instid1(SALU_CYCLE_1)
	s_or_b32 s20, s21, s20
	s_add_u32 s10, s10, 2
	v_cvt_f32_u32_e32 v46, s20
	s_addc_u32 s11, s11, 0
	v_cmp_ge_u64_e32 vcc_lo, s[10:11], v[43:44]
	s_delay_alu instid0(VALU_DEP_2) | instskip(SKIP_1) | instid1(VALU_DEP_1)
	v_ldexp_f32 v46, v46, s19
	s_or_b32 s18, vcc_lo, s18
	v_dual_mul_f32 v46, v45, v46 :: v_dual_mov_b32 v45, v27
	s_delay_alu instid0(VALU_DEP_1)
	v_fma_f32 v27, v41, v27, -v46
	s_and_not1_b32 exec_lo, exec_lo, s18
	s_cbranch_execnz .LBB52_176
; %bb.177:
	s_or_b32 exec_lo, exec_lo, s18
.LBB52_178:
	s_delay_alu instid0(SALU_CYCLE_1)
	s_or_b32 exec_lo, exec_lo, s17
                                        ; implicit-def: $vgpr41
.LBB52_179:
	s_and_not1_saveexec_b32 s10, s16
; %bb.180:
	v_add_f32_e32 v27, v41, v41
; %bb.181:
	s_or_b32 exec_lo, exec_lo, s10
.LBB52_182:
	s_delay_alu instid0(SALU_CYCLE_1)
	s_or_b32 exec_lo, exec_lo, s14
.LBB52_183:
	s_delay_alu instid0(SALU_CYCLE_1) | instskip(SKIP_2) | instid1(VALU_DEP_1)
	s_or_b32 exec_lo, exec_lo, s13
	v_trunc_f32_e32 v41, v28
	s_mov_b32 s13, exec_lo
	v_mul_f32_e64 v43, 0x2f800000, |v41|
	s_delay_alu instid0(VALU_DEP_1) | instskip(NEXT) | instid1(VALU_DEP_1)
	v_floor_f32_e32 v43, v43
	v_fma_f32 v44, 0xcf800000, v43, |v41|
	v_ashrrev_i32_e32 v41, 31, v41
	v_cvt_u32_f32_e32 v43, v43
	s_delay_alu instid0(VALU_DEP_3) | instskip(NEXT) | instid1(VALU_DEP_2)
	v_cvt_u32_f32_e32 v44, v44
	v_xor_b32_e32 v43, v43, v41
	s_delay_alu instid0(VALU_DEP_2) | instskip(NEXT) | instid1(VALU_DEP_1)
	v_xor_b32_e32 v44, v44, v41
	v_sub_co_u32 v45, vcc_lo, v44, v41
	s_delay_alu instid0(VALU_DEP_3) | instskip(SKIP_2) | instid1(VALU_DEP_3)
	v_sub_co_ci_u32_e32 v41, vcc_lo, v43, v41, vcc_lo
	v_cmp_class_f32_e64 vcc_lo, v28, 0x1f8
	v_mov_b32_e32 v28, 0
	v_cndmask_b32_e32 v44, -1, v41, vcc_lo
	v_cndmask_b32_e32 v43, -1, v45, vcc_lo
	s_delay_alu instid0(VALU_DEP_1)
	v_cmpx_lt_i64_e32 -1, v[43:44]
	s_cbranch_execz .LBB52_195
; %bb.184:
	v_mov_b32_e32 v28, 1.0
	s_mov_b32 s14, exec_lo
	v_cmpx_lt_i64_e32 0, v[43:44]
	s_cbranch_execz .LBB52_194
; %bb.185:
	v_and_b32_e32 v41, 0xffff0000, v42
	s_mov_b32 s10, exec_lo
	v_cmpx_ne_u64_e32 1, v[43:44]
	s_xor_b32 s16, exec_lo, s10
	s_cbranch_execz .LBB52_191
; %bb.186:
	v_mov_b32_e32 v28, 0x7fc00000
	s_mov_b32 s17, exec_lo
	v_cmpx_gt_u64_e32 0x81, v[43:44]
	s_cbranch_execz .LBB52_190
; %bb.187:
	v_add_f32_e32 v45, v41, v41
	v_lshlrev_b64 v[41:42], 1, v[43:44]
	v_mov_b32_e32 v43, 1.0
	s_mov_b64 s[10:11], 2
	s_mov_b32 s18, 0
	v_mov_b32_e32 v28, v45
	.p2align	6
.LBB52_188:                             ; =>This Inner Loop Header: Depth=1
	s_clz_i32_u32 s19, s11
	s_delay_alu instid0(SALU_CYCLE_1) | instskip(NEXT) | instid1(SALU_CYCLE_1)
	s_min_u32 s19, s19, 32
	s_lshl_b64 s[20:21], s[10:11], s19
	s_sub_i32 s19, 32, s19
	s_min_u32 s20, s20, 1
	s_delay_alu instid0(SALU_CYCLE_1) | instskip(SKIP_3) | instid1(SALU_CYCLE_1)
	s_or_b32 s20, s21, s20
	s_add_u32 s10, s10, 2
	v_cvt_f32_u32_e32 v44, s20
	s_addc_u32 s11, s11, 0
	v_cmp_ge_u64_e32 vcc_lo, s[10:11], v[41:42]
	s_delay_alu instid0(VALU_DEP_2) | instskip(SKIP_1) | instid1(VALU_DEP_1)
	v_ldexp_f32 v44, v44, s19
	s_or_b32 s18, vcc_lo, s18
	v_dual_mul_f32 v44, v43, v44 :: v_dual_mov_b32 v43, v28
	s_delay_alu instid0(VALU_DEP_1)
	v_fma_f32 v28, v45, v28, -v44
	s_and_not1_b32 exec_lo, exec_lo, s18
	s_cbranch_execnz .LBB52_188
; %bb.189:
	s_or_b32 exec_lo, exec_lo, s18
.LBB52_190:
	s_delay_alu instid0(SALU_CYCLE_1)
	s_or_b32 exec_lo, exec_lo, s17
                                        ; implicit-def: $vgpr41
.LBB52_191:
	s_and_not1_saveexec_b32 s10, s16
; %bb.192:
	v_add_f32_e32 v28, v41, v41
; %bb.193:
	s_or_b32 exec_lo, exec_lo, s10
.LBB52_194:
	s_delay_alu instid0(SALU_CYCLE_1)
	s_or_b32 exec_lo, exec_lo, s14
.LBB52_195:
	s_delay_alu instid0(SALU_CYCLE_1) | instskip(SKIP_3) | instid1(VALU_DEP_1)
	s_or_b32 exec_lo, exec_lo, s13
	s_waitcnt vmcnt(3)
	v_trunc_f32_e32 v41, v29
	s_mov_b32 s13, exec_lo
	v_mul_f32_e64 v42, 0x2f800000, |v41|
	s_delay_alu instid0(VALU_DEP_1) | instskip(NEXT) | instid1(VALU_DEP_1)
	v_floor_f32_e32 v42, v42
	v_fma_f32 v43, 0xcf800000, v42, |v41|
	v_ashrrev_i32_e32 v41, 31, v41
	v_cvt_u32_f32_e32 v42, v42
	s_delay_alu instid0(VALU_DEP_3) | instskip(NEXT) | instid1(VALU_DEP_2)
	v_cvt_u32_f32_e32 v43, v43
	v_xor_b32_e32 v42, v42, v41
	s_delay_alu instid0(VALU_DEP_2) | instskip(NEXT) | instid1(VALU_DEP_1)
	v_xor_b32_e32 v43, v43, v41
	v_sub_co_u32 v43, vcc_lo, v43, v41
	s_delay_alu instid0(VALU_DEP_3) | instskip(SKIP_1) | instid1(VALU_DEP_2)
	v_sub_co_ci_u32_e32 v41, vcc_lo, v42, v41, vcc_lo
	v_cmp_class_f32_e64 vcc_lo, v29, 0x1f8
	v_dual_mov_b32 v29, 0 :: v_dual_cndmask_b32 v42, -1, v41
	s_delay_alu instid0(VALU_DEP_4) | instskip(NEXT) | instid1(VALU_DEP_1)
	v_cndmask_b32_e32 v41, -1, v43, vcc_lo
	v_cmpx_lt_i64_e32 -1, v[41:42]
	s_cbranch_execz .LBB52_207
; %bb.196:
	v_mov_b32_e32 v29, 1.0
	s_mov_b32 s14, exec_lo
	v_cmpx_lt_i64_e32 0, v[41:42]
	s_cbranch_execz .LBB52_206
; %bb.197:
	v_lshlrev_b32_e32 v43, 16, v39
                                        ; implicit-def: $vgpr29
	s_mov_b32 s10, exec_lo
	v_cmpx_ne_u64_e32 1, v[41:42]
	s_xor_b32 s16, exec_lo, s10
	s_cbranch_execz .LBB52_203
; %bb.198:
	v_mov_b32_e32 v29, 0x7fc00000
	s_mov_b32 s17, exec_lo
	v_cmpx_gt_u64_e32 0x81, v[41:42]
	s_cbranch_execz .LBB52_202
; %bb.199:
	v_dual_add_f32 v43, v43, v43 :: v_dual_mov_b32 v44, 1.0
	v_lshlrev_b64 v[41:42], 1, v[41:42]
	s_mov_b64 s[10:11], 2
	s_mov_b32 s18, 0
	s_delay_alu instid0(VALU_DEP_2)
	v_mov_b32_e32 v29, v43
	.p2align	6
.LBB52_200:                             ; =>This Inner Loop Header: Depth=1
	s_clz_i32_u32 s19, s11
	s_delay_alu instid0(SALU_CYCLE_1) | instskip(NEXT) | instid1(SALU_CYCLE_1)
	s_min_u32 s19, s19, 32
	s_lshl_b64 s[20:21], s[10:11], s19
	s_sub_i32 s19, 32, s19
	s_min_u32 s20, s20, 1
	s_delay_alu instid0(SALU_CYCLE_1) | instskip(SKIP_3) | instid1(SALU_CYCLE_1)
	s_or_b32 s20, s21, s20
	s_add_u32 s10, s10, 2
	v_cvt_f32_u32_e32 v45, s20
	s_addc_u32 s11, s11, 0
	v_cmp_ge_u64_e32 vcc_lo, s[10:11], v[41:42]
	s_delay_alu instid0(VALU_DEP_2) | instskip(SKIP_1) | instid1(VALU_DEP_1)
	v_ldexp_f32 v45, v45, s19
	s_or_b32 s18, vcc_lo, s18
	v_dual_mul_f32 v45, v44, v45 :: v_dual_mov_b32 v44, v29
	s_delay_alu instid0(VALU_DEP_1)
	v_fma_f32 v29, v43, v29, -v45
	s_and_not1_b32 exec_lo, exec_lo, s18
	s_cbranch_execnz .LBB52_200
; %bb.201:
	s_or_b32 exec_lo, exec_lo, s18
.LBB52_202:
	s_delay_alu instid0(SALU_CYCLE_1)
	s_or_b32 exec_lo, exec_lo, s17
                                        ; implicit-def: $vgpr43
.LBB52_203:
	s_and_not1_saveexec_b32 s10, s16
; %bb.204:
	v_add_f32_e32 v29, v43, v43
; %bb.205:
	s_or_b32 exec_lo, exec_lo, s10
.LBB52_206:
	s_delay_alu instid0(SALU_CYCLE_1)
	s_or_b32 exec_lo, exec_lo, s14
.LBB52_207:
	s_delay_alu instid0(SALU_CYCLE_1) | instskip(SKIP_2) | instid1(VALU_DEP_1)
	s_or_b32 exec_lo, exec_lo, s13
	v_trunc_f32_e32 v41, v30
	s_mov_b32 s13, exec_lo
	v_mul_f32_e64 v42, 0x2f800000, |v41|
	s_delay_alu instid0(VALU_DEP_1) | instskip(NEXT) | instid1(VALU_DEP_1)
	v_floor_f32_e32 v42, v42
	v_fma_f32 v43, 0xcf800000, v42, |v41|
	v_ashrrev_i32_e32 v41, 31, v41
	v_cvt_u32_f32_e32 v42, v42
	s_delay_alu instid0(VALU_DEP_3) | instskip(NEXT) | instid1(VALU_DEP_2)
	v_cvt_u32_f32_e32 v43, v43
	v_xor_b32_e32 v42, v42, v41
	s_delay_alu instid0(VALU_DEP_2) | instskip(NEXT) | instid1(VALU_DEP_1)
	v_xor_b32_e32 v43, v43, v41
	v_sub_co_u32 v43, vcc_lo, v43, v41
	s_delay_alu instid0(VALU_DEP_3) | instskip(SKIP_2) | instid1(VALU_DEP_3)
	v_sub_co_ci_u32_e32 v41, vcc_lo, v42, v41, vcc_lo
	v_cmp_class_f32_e64 vcc_lo, v30, 0x1f8
	v_mov_b32_e32 v30, 0
	v_dual_cndmask_b32 v42, -1, v41 :: v_dual_cndmask_b32 v41, -1, v43
	s_delay_alu instid0(VALU_DEP_1)
	v_cmpx_lt_i64_e32 -1, v[41:42]
	s_cbranch_execz .LBB52_219
; %bb.208:
	v_mov_b32_e32 v30, 1.0
	s_mov_b32 s14, exec_lo
	v_cmpx_lt_i64_e32 0, v[41:42]
	s_cbranch_execz .LBB52_218
; %bb.209:
	v_and_b32_e32 v39, 0xffff0000, v39
	s_mov_b32 s10, exec_lo
	v_cmpx_ne_u64_e32 1, v[41:42]
	s_xor_b32 s16, exec_lo, s10
	s_cbranch_execz .LBB52_215
; %bb.210:
	v_mov_b32_e32 v30, 0x7fc00000
	s_mov_b32 s17, exec_lo
	v_cmpx_gt_u64_e32 0x81, v[41:42]
	s_cbranch_execz .LBB52_214
; %bb.211:
	v_add_f32_e32 v39, v39, v39
	v_lshlrev_b64 v[41:42], 1, v[41:42]
	v_mov_b32_e32 v43, 1.0
	s_mov_b64 s[10:11], 2
	s_mov_b32 s18, 0
	v_mov_b32_e32 v30, v39
	.p2align	6
.LBB52_212:                             ; =>This Inner Loop Header: Depth=1
	s_clz_i32_u32 s19, s11
	s_delay_alu instid0(SALU_CYCLE_1) | instskip(NEXT) | instid1(SALU_CYCLE_1)
	s_min_u32 s19, s19, 32
	s_lshl_b64 s[20:21], s[10:11], s19
	s_sub_i32 s19, 32, s19
	s_min_u32 s20, s20, 1
	s_delay_alu instid0(SALU_CYCLE_1) | instskip(SKIP_3) | instid1(SALU_CYCLE_1)
	s_or_b32 s20, s21, s20
	s_add_u32 s10, s10, 2
	v_cvt_f32_u32_e32 v44, s20
	s_addc_u32 s11, s11, 0
	v_cmp_ge_u64_e32 vcc_lo, s[10:11], v[41:42]
	s_delay_alu instid0(VALU_DEP_2) | instskip(SKIP_1) | instid1(VALU_DEP_1)
	v_ldexp_f32 v44, v44, s19
	s_or_b32 s18, vcc_lo, s18
	v_dual_mul_f32 v44, v43, v44 :: v_dual_mov_b32 v43, v30
	s_delay_alu instid0(VALU_DEP_1)
	v_fma_f32 v30, v39, v30, -v44
	s_and_not1_b32 exec_lo, exec_lo, s18
	s_cbranch_execnz .LBB52_212
; %bb.213:
	s_or_b32 exec_lo, exec_lo, s18
.LBB52_214:
	s_delay_alu instid0(SALU_CYCLE_1)
	s_or_b32 exec_lo, exec_lo, s17
                                        ; implicit-def: $vgpr39
.LBB52_215:
	s_and_not1_saveexec_b32 s10, s16
; %bb.216:
	v_add_f32_e32 v30, v39, v39
; %bb.217:
	s_or_b32 exec_lo, exec_lo, s10
.LBB52_218:
	s_delay_alu instid0(SALU_CYCLE_1)
	s_or_b32 exec_lo, exec_lo, s14
.LBB52_219:
	s_delay_alu instid0(SALU_CYCLE_1) | instskip(SKIP_2) | instid1(VALU_DEP_1)
	s_or_b32 exec_lo, exec_lo, s13
	v_trunc_f32_e32 v39, v31
	s_mov_b32 s13, exec_lo
	v_mul_f32_e64 v41, 0x2f800000, |v39|
	s_delay_alu instid0(VALU_DEP_1) | instskip(NEXT) | instid1(VALU_DEP_1)
	v_floor_f32_e32 v41, v41
	v_fma_f32 v42, 0xcf800000, v41, |v39|
	v_ashrrev_i32_e32 v39, 31, v39
	v_cvt_u32_f32_e32 v41, v41
	s_delay_alu instid0(VALU_DEP_3) | instskip(NEXT) | instid1(VALU_DEP_2)
	v_cvt_u32_f32_e32 v42, v42
	v_xor_b32_e32 v41, v41, v39
	s_delay_alu instid0(VALU_DEP_2) | instskip(NEXT) | instid1(VALU_DEP_1)
	v_xor_b32_e32 v42, v42, v39
	v_sub_co_u32 v43, vcc_lo, v42, v39
	s_delay_alu instid0(VALU_DEP_3) | instskip(SKIP_1) | instid1(VALU_DEP_2)
	v_sub_co_ci_u32_e32 v39, vcc_lo, v41, v39, vcc_lo
	v_cmp_class_f32_e64 vcc_lo, v31, 0x1f8
	v_dual_mov_b32 v31, 0 :: v_dual_cndmask_b32 v42, -1, v39
	s_delay_alu instid0(VALU_DEP_4) | instskip(NEXT) | instid1(VALU_DEP_1)
	v_cndmask_b32_e32 v41, -1, v43, vcc_lo
	v_cmpx_lt_i64_e32 -1, v[41:42]
	s_cbranch_execz .LBB52_231
; %bb.220:
	v_mov_b32_e32 v31, 1.0
	s_mov_b32 s14, exec_lo
	v_cmpx_lt_i64_e32 0, v[41:42]
	s_cbranch_execz .LBB52_230
; %bb.221:
	v_lshlrev_b32_e32 v39, 16, v40
	s_mov_b32 s10, exec_lo
	v_cmpx_ne_u64_e32 1, v[41:42]
	s_xor_b32 s16, exec_lo, s10
	s_cbranch_execz .LBB52_227
; %bb.222:
	v_mov_b32_e32 v31, 0x7fc00000
	s_mov_b32 s17, exec_lo
	v_cmpx_gt_u64_e32 0x81, v[41:42]
	s_cbranch_execz .LBB52_226
; %bb.223:
	v_add_f32_e32 v39, v39, v39
	v_lshlrev_b64 v[41:42], 1, v[41:42]
	v_mov_b32_e32 v43, 1.0
	s_mov_b64 s[10:11], 2
	s_mov_b32 s18, 0
	v_mov_b32_e32 v31, v39
	.p2align	6
.LBB52_224:                             ; =>This Inner Loop Header: Depth=1
	s_clz_i32_u32 s19, s11
	s_delay_alu instid0(SALU_CYCLE_1) | instskip(NEXT) | instid1(SALU_CYCLE_1)
	s_min_u32 s19, s19, 32
	s_lshl_b64 s[20:21], s[10:11], s19
	s_sub_i32 s19, 32, s19
	s_min_u32 s20, s20, 1
	s_delay_alu instid0(SALU_CYCLE_1) | instskip(SKIP_3) | instid1(SALU_CYCLE_1)
	s_or_b32 s20, s21, s20
	s_add_u32 s10, s10, 2
	v_cvt_f32_u32_e32 v44, s20
	s_addc_u32 s11, s11, 0
	v_cmp_ge_u64_e32 vcc_lo, s[10:11], v[41:42]
	s_delay_alu instid0(VALU_DEP_2) | instskip(SKIP_1) | instid1(VALU_DEP_1)
	v_ldexp_f32 v44, v44, s19
	s_or_b32 s18, vcc_lo, s18
	v_mul_f32_e32 v44, v43, v44
	v_mov_b32_e32 v43, v31
	s_delay_alu instid0(VALU_DEP_2)
	v_fma_f32 v31, v39, v31, -v44
	s_and_not1_b32 exec_lo, exec_lo, s18
	s_cbranch_execnz .LBB52_224
; %bb.225:
	s_or_b32 exec_lo, exec_lo, s18
.LBB52_226:
	s_delay_alu instid0(SALU_CYCLE_1)
	s_or_b32 exec_lo, exec_lo, s17
                                        ; implicit-def: $vgpr39
.LBB52_227:
	s_and_not1_saveexec_b32 s10, s16
; %bb.228:
	v_add_f32_e32 v31, v39, v39
; %bb.229:
	s_or_b32 exec_lo, exec_lo, s10
.LBB52_230:
	s_delay_alu instid0(SALU_CYCLE_1)
	s_or_b32 exec_lo, exec_lo, s14
.LBB52_231:
	s_delay_alu instid0(SALU_CYCLE_1) | instskip(SKIP_2) | instid1(VALU_DEP_1)
	s_or_b32 exec_lo, exec_lo, s13
	v_trunc_f32_e32 v39, v32
	s_mov_b32 s13, exec_lo
	v_mul_f32_e64 v41, 0x2f800000, |v39|
	s_delay_alu instid0(VALU_DEP_1) | instskip(NEXT) | instid1(VALU_DEP_1)
	v_floor_f32_e32 v41, v41
	v_fma_f32 v42, 0xcf800000, v41, |v39|
	v_ashrrev_i32_e32 v39, 31, v39
	v_cvt_u32_f32_e32 v41, v41
	s_delay_alu instid0(VALU_DEP_3) | instskip(NEXT) | instid1(VALU_DEP_2)
	v_cvt_u32_f32_e32 v42, v42
	v_xor_b32_e32 v41, v41, v39
	s_delay_alu instid0(VALU_DEP_2) | instskip(NEXT) | instid1(VALU_DEP_1)
	v_xor_b32_e32 v42, v42, v39
	v_sub_co_u32 v43, vcc_lo, v42, v39
	s_delay_alu instid0(VALU_DEP_3) | instskip(SKIP_2) | instid1(VALU_DEP_3)
	v_sub_co_ci_u32_e32 v39, vcc_lo, v41, v39, vcc_lo
	v_cmp_class_f32_e64 vcc_lo, v32, 0x1f8
	v_mov_b32_e32 v32, 0
	v_cndmask_b32_e32 v42, -1, v39, vcc_lo
	v_cndmask_b32_e32 v41, -1, v43, vcc_lo
	s_delay_alu instid0(VALU_DEP_1)
	v_cmpx_lt_i64_e32 -1, v[41:42]
	s_cbranch_execz .LBB52_243
; %bb.232:
	v_mov_b32_e32 v32, 1.0
	s_mov_b32 s14, exec_lo
	v_cmpx_lt_i64_e32 0, v[41:42]
	s_cbranch_execz .LBB52_242
; %bb.233:
	v_and_b32_e32 v39, 0xffff0000, v40
	s_mov_b32 s10, exec_lo
	v_cmpx_ne_u64_e32 1, v[41:42]
	s_xor_b32 s16, exec_lo, s10
	s_cbranch_execz .LBB52_239
; %bb.234:
	v_mov_b32_e32 v32, 0x7fc00000
	s_mov_b32 s17, exec_lo
	v_cmpx_gt_u64_e32 0x81, v[41:42]
	s_cbranch_execz .LBB52_238
; %bb.235:
	v_add_f32_e32 v43, v39, v39
	v_lshlrev_b64 v[39:40], 1, v[41:42]
	v_mov_b32_e32 v41, 1.0
	s_mov_b64 s[10:11], 2
	s_mov_b32 s18, 0
	v_mov_b32_e32 v32, v43
	.p2align	6
.LBB52_236:                             ; =>This Inner Loop Header: Depth=1
	s_clz_i32_u32 s19, s11
	s_delay_alu instid0(SALU_CYCLE_1) | instskip(NEXT) | instid1(SALU_CYCLE_1)
	s_min_u32 s19, s19, 32
	s_lshl_b64 s[20:21], s[10:11], s19
	s_sub_i32 s19, 32, s19
	s_min_u32 s20, s20, 1
	s_delay_alu instid0(SALU_CYCLE_1) | instskip(SKIP_3) | instid1(SALU_CYCLE_1)
	s_or_b32 s20, s21, s20
	s_add_u32 s10, s10, 2
	v_cvt_f32_u32_e32 v42, s20
	s_addc_u32 s11, s11, 0
	v_cmp_ge_u64_e32 vcc_lo, s[10:11], v[39:40]
	s_delay_alu instid0(VALU_DEP_2) | instskip(SKIP_1) | instid1(VALU_DEP_1)
	v_ldexp_f32 v42, v42, s19
	s_or_b32 s18, vcc_lo, s18
	v_dual_mul_f32 v42, v41, v42 :: v_dual_mov_b32 v41, v32
	s_delay_alu instid0(VALU_DEP_1)
	v_fma_f32 v32, v43, v32, -v42
	s_and_not1_b32 exec_lo, exec_lo, s18
	s_cbranch_execnz .LBB52_236
; %bb.237:
	s_or_b32 exec_lo, exec_lo, s18
.LBB52_238:
	s_delay_alu instid0(SALU_CYCLE_1)
	s_or_b32 exec_lo, exec_lo, s17
                                        ; implicit-def: $vgpr39
.LBB52_239:
	s_and_not1_saveexec_b32 s10, s16
; %bb.240:
	v_add_f32_e32 v32, v39, v39
; %bb.241:
	s_or_b32 exec_lo, exec_lo, s10
.LBB52_242:
	s_delay_alu instid0(SALU_CYCLE_1)
	s_or_b32 exec_lo, exec_lo, s14
.LBB52_243:
	s_delay_alu instid0(SALU_CYCLE_1) | instskip(SKIP_3) | instid1(VALU_DEP_1)
	s_or_b32 exec_lo, exec_lo, s13
	s_waitcnt vmcnt(2)
	v_trunc_f32_e32 v39, v21
	s_mov_b32 s13, exec_lo
	v_mul_f32_e64 v40, 0x2f800000, |v39|
	s_delay_alu instid0(VALU_DEP_1) | instskip(NEXT) | instid1(VALU_DEP_1)
	v_floor_f32_e32 v40, v40
	v_fma_f32 v41, 0xcf800000, v40, |v39|
	v_ashrrev_i32_e32 v39, 31, v39
	v_cvt_u32_f32_e32 v40, v40
	s_delay_alu instid0(VALU_DEP_3) | instskip(NEXT) | instid1(VALU_DEP_2)
	v_cvt_u32_f32_e32 v41, v41
	v_xor_b32_e32 v40, v40, v39
	s_delay_alu instid0(VALU_DEP_2) | instskip(NEXT) | instid1(VALU_DEP_1)
	v_xor_b32_e32 v41, v41, v39
	v_sub_co_u32 v41, vcc_lo, v41, v39
	s_delay_alu instid0(VALU_DEP_3) | instskip(SKIP_1) | instid1(VALU_DEP_2)
	v_sub_co_ci_u32_e32 v39, vcc_lo, v40, v39, vcc_lo
	v_cmp_class_f32_e64 vcc_lo, v21, 0x1f8
	v_dual_mov_b32 v21, 0 :: v_dual_cndmask_b32 v40, -1, v39
	s_delay_alu instid0(VALU_DEP_4) | instskip(NEXT) | instid1(VALU_DEP_1)
	v_cndmask_b32_e32 v39, -1, v41, vcc_lo
	v_cmpx_lt_i64_e32 -1, v[39:40]
	s_cbranch_execz .LBB52_255
; %bb.244:
	v_mov_b32_e32 v21, 1.0
	s_mov_b32 s14, exec_lo
	v_cmpx_lt_i64_e32 0, v[39:40]
	s_cbranch_execz .LBB52_254
; %bb.245:
	v_lshlrev_b32_e32 v41, 16, v37
                                        ; implicit-def: $vgpr21
	s_mov_b32 s10, exec_lo
	v_cmpx_ne_u64_e32 1, v[39:40]
	s_xor_b32 s16, exec_lo, s10
	s_cbranch_execz .LBB52_251
; %bb.246:
	v_mov_b32_e32 v21, 0x7fc00000
	s_mov_b32 s17, exec_lo
	v_cmpx_gt_u64_e32 0x81, v[39:40]
	s_cbranch_execz .LBB52_250
; %bb.247:
	v_dual_add_f32 v41, v41, v41 :: v_dual_mov_b32 v42, 1.0
	v_lshlrev_b64 v[39:40], 1, v[39:40]
	s_mov_b64 s[10:11], 2
	s_mov_b32 s18, 0
	s_delay_alu instid0(VALU_DEP_2)
	v_mov_b32_e32 v21, v41
	.p2align	6
.LBB52_248:                             ; =>This Inner Loop Header: Depth=1
	s_clz_i32_u32 s19, s11
	s_delay_alu instid0(SALU_CYCLE_1) | instskip(NEXT) | instid1(SALU_CYCLE_1)
	s_min_u32 s19, s19, 32
	s_lshl_b64 s[20:21], s[10:11], s19
	s_sub_i32 s19, 32, s19
	s_min_u32 s20, s20, 1
	s_delay_alu instid0(SALU_CYCLE_1) | instskip(SKIP_3) | instid1(SALU_CYCLE_1)
	s_or_b32 s20, s21, s20
	s_add_u32 s10, s10, 2
	v_cvt_f32_u32_e32 v43, s20
	s_addc_u32 s11, s11, 0
	v_cmp_ge_u64_e32 vcc_lo, s[10:11], v[39:40]
	s_delay_alu instid0(VALU_DEP_2) | instskip(SKIP_1) | instid1(VALU_DEP_1)
	v_ldexp_f32 v43, v43, s19
	s_or_b32 s18, vcc_lo, s18
	v_dual_mul_f32 v43, v42, v43 :: v_dual_mov_b32 v42, v21
	s_delay_alu instid0(VALU_DEP_1)
	v_fma_f32 v21, v41, v21, -v43
	s_and_not1_b32 exec_lo, exec_lo, s18
	s_cbranch_execnz .LBB52_248
; %bb.249:
	s_or_b32 exec_lo, exec_lo, s18
.LBB52_250:
	s_delay_alu instid0(SALU_CYCLE_1)
	s_or_b32 exec_lo, exec_lo, s17
                                        ; implicit-def: $vgpr41
.LBB52_251:
	s_and_not1_saveexec_b32 s10, s16
; %bb.252:
	v_add_f32_e32 v21, v41, v41
; %bb.253:
	s_or_b32 exec_lo, exec_lo, s10
.LBB52_254:
	s_delay_alu instid0(SALU_CYCLE_1)
	s_or_b32 exec_lo, exec_lo, s14
.LBB52_255:
	s_delay_alu instid0(SALU_CYCLE_1) | instskip(SKIP_2) | instid1(VALU_DEP_1)
	s_or_b32 exec_lo, exec_lo, s13
	v_trunc_f32_e32 v39, v22
	s_mov_b32 s13, exec_lo
	v_mul_f32_e64 v40, 0x2f800000, |v39|
	s_delay_alu instid0(VALU_DEP_1) | instskip(NEXT) | instid1(VALU_DEP_1)
	v_floor_f32_e32 v40, v40
	v_fma_f32 v41, 0xcf800000, v40, |v39|
	v_ashrrev_i32_e32 v39, 31, v39
	v_cvt_u32_f32_e32 v40, v40
	s_delay_alu instid0(VALU_DEP_3) | instskip(NEXT) | instid1(VALU_DEP_2)
	v_cvt_u32_f32_e32 v41, v41
	v_xor_b32_e32 v40, v40, v39
	s_delay_alu instid0(VALU_DEP_2) | instskip(NEXT) | instid1(VALU_DEP_1)
	v_xor_b32_e32 v41, v41, v39
	v_sub_co_u32 v41, vcc_lo, v41, v39
	s_delay_alu instid0(VALU_DEP_3) | instskip(SKIP_2) | instid1(VALU_DEP_3)
	v_sub_co_ci_u32_e32 v39, vcc_lo, v40, v39, vcc_lo
	v_cmp_class_f32_e64 vcc_lo, v22, 0x1f8
	v_mov_b32_e32 v22, 0
	v_dual_cndmask_b32 v40, -1, v39 :: v_dual_cndmask_b32 v39, -1, v41
	s_delay_alu instid0(VALU_DEP_1)
	v_cmpx_lt_i64_e32 -1, v[39:40]
	s_cbranch_execz .LBB52_267
; %bb.256:
	v_mov_b32_e32 v22, 1.0
	s_mov_b32 s14, exec_lo
	v_cmpx_lt_i64_e32 0, v[39:40]
	s_cbranch_execz .LBB52_266
; %bb.257:
	v_and_b32_e32 v37, 0xffff0000, v37
	s_mov_b32 s10, exec_lo
	v_cmpx_ne_u64_e32 1, v[39:40]
	s_xor_b32 s16, exec_lo, s10
	s_cbranch_execz .LBB52_263
; %bb.258:
	v_mov_b32_e32 v22, 0x7fc00000
	s_mov_b32 s17, exec_lo
	v_cmpx_gt_u64_e32 0x81, v[39:40]
	s_cbranch_execz .LBB52_262
; %bb.259:
	v_add_f32_e32 v37, v37, v37
	v_lshlrev_b64 v[39:40], 1, v[39:40]
	v_mov_b32_e32 v41, 1.0
	s_mov_b64 s[10:11], 2
	s_mov_b32 s18, 0
	v_mov_b32_e32 v22, v37
	.p2align	6
.LBB52_260:                             ; =>This Inner Loop Header: Depth=1
	s_clz_i32_u32 s19, s11
	s_delay_alu instid0(SALU_CYCLE_1) | instskip(NEXT) | instid1(SALU_CYCLE_1)
	s_min_u32 s19, s19, 32
	s_lshl_b64 s[20:21], s[10:11], s19
	s_sub_i32 s19, 32, s19
	s_min_u32 s20, s20, 1
	s_delay_alu instid0(SALU_CYCLE_1) | instskip(SKIP_3) | instid1(SALU_CYCLE_1)
	s_or_b32 s20, s21, s20
	s_add_u32 s10, s10, 2
	v_cvt_f32_u32_e32 v42, s20
	s_addc_u32 s11, s11, 0
	v_cmp_ge_u64_e32 vcc_lo, s[10:11], v[39:40]
	s_delay_alu instid0(VALU_DEP_2) | instskip(SKIP_1) | instid1(VALU_DEP_1)
	v_ldexp_f32 v42, v42, s19
	s_or_b32 s18, vcc_lo, s18
	v_dual_mul_f32 v42, v41, v42 :: v_dual_mov_b32 v41, v22
	s_delay_alu instid0(VALU_DEP_1)
	v_fma_f32 v22, v37, v22, -v42
	s_and_not1_b32 exec_lo, exec_lo, s18
	s_cbranch_execnz .LBB52_260
; %bb.261:
	s_or_b32 exec_lo, exec_lo, s18
.LBB52_262:
	s_delay_alu instid0(SALU_CYCLE_1)
	s_or_b32 exec_lo, exec_lo, s17
                                        ; implicit-def: $vgpr37
.LBB52_263:
	s_and_not1_saveexec_b32 s10, s16
; %bb.264:
	v_add_f32_e32 v22, v37, v37
; %bb.265:
	s_or_b32 exec_lo, exec_lo, s10
.LBB52_266:
	s_delay_alu instid0(SALU_CYCLE_1)
	s_or_b32 exec_lo, exec_lo, s14
.LBB52_267:
	s_delay_alu instid0(SALU_CYCLE_1) | instskip(SKIP_2) | instid1(VALU_DEP_1)
	s_or_b32 exec_lo, exec_lo, s13
	v_trunc_f32_e32 v37, v23
	s_mov_b32 s13, exec_lo
	v_mul_f32_e64 v39, 0x2f800000, |v37|
	s_delay_alu instid0(VALU_DEP_1) | instskip(NEXT) | instid1(VALU_DEP_1)
	v_floor_f32_e32 v39, v39
	v_fma_f32 v40, 0xcf800000, v39, |v37|
	v_ashrrev_i32_e32 v37, 31, v37
	v_cvt_u32_f32_e32 v39, v39
	s_delay_alu instid0(VALU_DEP_3) | instskip(NEXT) | instid1(VALU_DEP_2)
	v_cvt_u32_f32_e32 v40, v40
	v_xor_b32_e32 v39, v39, v37
	s_delay_alu instid0(VALU_DEP_2) | instskip(NEXT) | instid1(VALU_DEP_1)
	v_xor_b32_e32 v40, v40, v37
	v_sub_co_u32 v41, vcc_lo, v40, v37
	s_delay_alu instid0(VALU_DEP_3) | instskip(SKIP_1) | instid1(VALU_DEP_2)
	v_sub_co_ci_u32_e32 v37, vcc_lo, v39, v37, vcc_lo
	v_cmp_class_f32_e64 vcc_lo, v23, 0x1f8
	v_dual_mov_b32 v23, 0 :: v_dual_cndmask_b32 v40, -1, v37
	s_delay_alu instid0(VALU_DEP_4) | instskip(NEXT) | instid1(VALU_DEP_1)
	v_cndmask_b32_e32 v39, -1, v41, vcc_lo
	v_cmpx_lt_i64_e32 -1, v[39:40]
	s_cbranch_execz .LBB52_279
; %bb.268:
	v_mov_b32_e32 v23, 1.0
	s_mov_b32 s14, exec_lo
	v_cmpx_lt_i64_e32 0, v[39:40]
	s_cbranch_execz .LBB52_278
; %bb.269:
	v_lshlrev_b32_e32 v37, 16, v38
	s_mov_b32 s10, exec_lo
	v_cmpx_ne_u64_e32 1, v[39:40]
	s_xor_b32 s16, exec_lo, s10
	s_cbranch_execz .LBB52_275
; %bb.270:
	v_mov_b32_e32 v23, 0x7fc00000
	s_mov_b32 s17, exec_lo
	v_cmpx_gt_u64_e32 0x81, v[39:40]
	s_cbranch_execz .LBB52_274
; %bb.271:
	v_add_f32_e32 v37, v37, v37
	v_lshlrev_b64 v[39:40], 1, v[39:40]
	v_mov_b32_e32 v41, 1.0
	s_mov_b64 s[10:11], 2
	s_mov_b32 s18, 0
	v_mov_b32_e32 v23, v37
	.p2align	6
.LBB52_272:                             ; =>This Inner Loop Header: Depth=1
	s_clz_i32_u32 s19, s11
	s_delay_alu instid0(SALU_CYCLE_1) | instskip(NEXT) | instid1(SALU_CYCLE_1)
	s_min_u32 s19, s19, 32
	s_lshl_b64 s[20:21], s[10:11], s19
	s_sub_i32 s19, 32, s19
	s_min_u32 s20, s20, 1
	s_delay_alu instid0(SALU_CYCLE_1) | instskip(SKIP_3) | instid1(SALU_CYCLE_1)
	s_or_b32 s20, s21, s20
	s_add_u32 s10, s10, 2
	v_cvt_f32_u32_e32 v42, s20
	s_addc_u32 s11, s11, 0
	v_cmp_ge_u64_e32 vcc_lo, s[10:11], v[39:40]
	s_delay_alu instid0(VALU_DEP_2) | instskip(SKIP_1) | instid1(VALU_DEP_1)
	v_ldexp_f32 v42, v42, s19
	s_or_b32 s18, vcc_lo, s18
	v_dual_mul_f32 v42, v41, v42 :: v_dual_mov_b32 v41, v23
	s_delay_alu instid0(VALU_DEP_1)
	v_fma_f32 v23, v37, v23, -v42
	s_and_not1_b32 exec_lo, exec_lo, s18
	s_cbranch_execnz .LBB52_272
; %bb.273:
	s_or_b32 exec_lo, exec_lo, s18
.LBB52_274:
	s_delay_alu instid0(SALU_CYCLE_1)
	s_or_b32 exec_lo, exec_lo, s17
                                        ; implicit-def: $vgpr37
.LBB52_275:
	s_and_not1_saveexec_b32 s10, s16
; %bb.276:
	v_add_f32_e32 v23, v37, v37
; %bb.277:
	s_or_b32 exec_lo, exec_lo, s10
.LBB52_278:
	s_delay_alu instid0(SALU_CYCLE_1)
	s_or_b32 exec_lo, exec_lo, s14
.LBB52_279:
	s_delay_alu instid0(SALU_CYCLE_1) | instskip(SKIP_2) | instid1(VALU_DEP_1)
	s_or_b32 exec_lo, exec_lo, s13
	v_trunc_f32_e32 v37, v24
	s_mov_b32 s13, exec_lo
	v_mul_f32_e64 v39, 0x2f800000, |v37|
	s_delay_alu instid0(VALU_DEP_1) | instskip(NEXT) | instid1(VALU_DEP_1)
	v_floor_f32_e32 v39, v39
	v_fma_f32 v40, 0xcf800000, v39, |v37|
	v_ashrrev_i32_e32 v37, 31, v37
	v_cvt_u32_f32_e32 v39, v39
	s_delay_alu instid0(VALU_DEP_3) | instskip(NEXT) | instid1(VALU_DEP_2)
	v_cvt_u32_f32_e32 v40, v40
	v_xor_b32_e32 v39, v39, v37
	s_delay_alu instid0(VALU_DEP_2) | instskip(NEXT) | instid1(VALU_DEP_1)
	v_xor_b32_e32 v40, v40, v37
	v_sub_co_u32 v41, vcc_lo, v40, v37
	s_delay_alu instid0(VALU_DEP_3) | instskip(SKIP_2) | instid1(VALU_DEP_3)
	v_sub_co_ci_u32_e32 v37, vcc_lo, v39, v37, vcc_lo
	v_cmp_class_f32_e64 vcc_lo, v24, 0x1f8
	v_mov_b32_e32 v24, 0
	v_cndmask_b32_e32 v40, -1, v37, vcc_lo
	v_cndmask_b32_e32 v39, -1, v41, vcc_lo
	s_delay_alu instid0(VALU_DEP_1)
	v_cmpx_lt_i64_e32 -1, v[39:40]
	s_cbranch_execz .LBB52_291
; %bb.280:
	v_mov_b32_e32 v24, 1.0
	s_mov_b32 s14, exec_lo
	v_cmpx_lt_i64_e32 0, v[39:40]
	s_cbranch_execz .LBB52_290
; %bb.281:
	v_and_b32_e32 v37, 0xffff0000, v38
	s_mov_b32 s10, exec_lo
	v_cmpx_ne_u64_e32 1, v[39:40]
	s_xor_b32 s16, exec_lo, s10
	s_cbranch_execz .LBB52_287
; %bb.282:
	v_mov_b32_e32 v24, 0x7fc00000
	s_mov_b32 s17, exec_lo
	v_cmpx_gt_u64_e32 0x81, v[39:40]
	s_cbranch_execz .LBB52_286
; %bb.283:
	v_add_f32_e32 v41, v37, v37
	v_lshlrev_b64 v[37:38], 1, v[39:40]
	v_mov_b32_e32 v39, 1.0
	s_mov_b64 s[10:11], 2
	s_mov_b32 s18, 0
	v_mov_b32_e32 v24, v41
	.p2align	6
.LBB52_284:                             ; =>This Inner Loop Header: Depth=1
	s_clz_i32_u32 s19, s11
	s_delay_alu instid0(SALU_CYCLE_1) | instskip(NEXT) | instid1(SALU_CYCLE_1)
	s_min_u32 s19, s19, 32
	s_lshl_b64 s[20:21], s[10:11], s19
	s_sub_i32 s19, 32, s19
	s_min_u32 s20, s20, 1
	s_delay_alu instid0(SALU_CYCLE_1) | instskip(SKIP_3) | instid1(SALU_CYCLE_1)
	s_or_b32 s20, s21, s20
	s_add_u32 s10, s10, 2
	v_cvt_f32_u32_e32 v40, s20
	s_addc_u32 s11, s11, 0
	v_cmp_ge_u64_e32 vcc_lo, s[10:11], v[37:38]
	s_delay_alu instid0(VALU_DEP_2) | instskip(SKIP_1) | instid1(VALU_DEP_1)
	v_ldexp_f32 v40, v40, s19
	s_or_b32 s18, vcc_lo, s18
	v_dual_mul_f32 v40, v39, v40 :: v_dual_mov_b32 v39, v24
	s_delay_alu instid0(VALU_DEP_1)
	v_fma_f32 v24, v41, v24, -v40
	s_and_not1_b32 exec_lo, exec_lo, s18
	s_cbranch_execnz .LBB52_284
; %bb.285:
	s_or_b32 exec_lo, exec_lo, s18
.LBB52_286:
	s_delay_alu instid0(SALU_CYCLE_1)
	s_or_b32 exec_lo, exec_lo, s17
                                        ; implicit-def: $vgpr37
.LBB52_287:
	s_and_not1_saveexec_b32 s10, s16
; %bb.288:
	v_add_f32_e32 v24, v37, v37
; %bb.289:
	s_or_b32 exec_lo, exec_lo, s10
.LBB52_290:
	s_delay_alu instid0(SALU_CYCLE_1)
	s_or_b32 exec_lo, exec_lo, s14
.LBB52_291:
	s_delay_alu instid0(SALU_CYCLE_1) | instskip(SKIP_3) | instid1(VALU_DEP_1)
	s_or_b32 exec_lo, exec_lo, s13
	s_waitcnt vmcnt(1)
	v_trunc_f32_e32 v37, v13
	s_mov_b32 s13, exec_lo
	v_mul_f32_e64 v38, 0x2f800000, |v37|
	s_delay_alu instid0(VALU_DEP_1) | instskip(NEXT) | instid1(VALU_DEP_1)
	v_floor_f32_e32 v38, v38
	v_fma_f32 v39, 0xcf800000, v38, |v37|
	v_ashrrev_i32_e32 v37, 31, v37
	v_cvt_u32_f32_e32 v38, v38
	s_delay_alu instid0(VALU_DEP_3) | instskip(NEXT) | instid1(VALU_DEP_2)
	v_cvt_u32_f32_e32 v39, v39
	v_xor_b32_e32 v38, v38, v37
	s_delay_alu instid0(VALU_DEP_2) | instskip(NEXT) | instid1(VALU_DEP_1)
	v_xor_b32_e32 v39, v39, v37
	v_sub_co_u32 v39, vcc_lo, v39, v37
	s_delay_alu instid0(VALU_DEP_3) | instskip(SKIP_1) | instid1(VALU_DEP_2)
	v_sub_co_ci_u32_e32 v37, vcc_lo, v38, v37, vcc_lo
	v_cmp_class_f32_e64 vcc_lo, v13, 0x1f8
	v_dual_mov_b32 v13, 0 :: v_dual_cndmask_b32 v38, -1, v37
	s_delay_alu instid0(VALU_DEP_4) | instskip(NEXT) | instid1(VALU_DEP_1)
	v_cndmask_b32_e32 v37, -1, v39, vcc_lo
	v_cmpx_lt_i64_e32 -1, v[37:38]
	s_cbranch_execz .LBB52_303
; %bb.292:
	v_mov_b32_e32 v13, 1.0
	s_mov_b32 s14, exec_lo
	v_cmpx_lt_i64_e32 0, v[37:38]
	s_cbranch_execz .LBB52_302
; %bb.293:
	v_lshlrev_b32_e32 v39, 16, v35
                                        ; implicit-def: $vgpr13
	s_mov_b32 s10, exec_lo
	v_cmpx_ne_u64_e32 1, v[37:38]
	s_xor_b32 s16, exec_lo, s10
	s_cbranch_execz .LBB52_299
; %bb.294:
	v_mov_b32_e32 v13, 0x7fc00000
	s_mov_b32 s17, exec_lo
	v_cmpx_gt_u64_e32 0x81, v[37:38]
	s_cbranch_execz .LBB52_298
; %bb.295:
	v_dual_add_f32 v39, v39, v39 :: v_dual_mov_b32 v40, 1.0
	v_lshlrev_b64 v[37:38], 1, v[37:38]
	s_mov_b64 s[10:11], 2
	s_mov_b32 s18, 0
	s_delay_alu instid0(VALU_DEP_2)
	v_mov_b32_e32 v13, v39
	.p2align	6
.LBB52_296:                             ; =>This Inner Loop Header: Depth=1
	s_clz_i32_u32 s19, s11
	s_delay_alu instid0(SALU_CYCLE_1) | instskip(NEXT) | instid1(SALU_CYCLE_1)
	s_min_u32 s19, s19, 32
	s_lshl_b64 s[20:21], s[10:11], s19
	s_sub_i32 s19, 32, s19
	s_min_u32 s20, s20, 1
	s_delay_alu instid0(SALU_CYCLE_1) | instskip(SKIP_3) | instid1(SALU_CYCLE_1)
	s_or_b32 s20, s21, s20
	s_add_u32 s10, s10, 2
	v_cvt_f32_u32_e32 v41, s20
	s_addc_u32 s11, s11, 0
	v_cmp_ge_u64_e32 vcc_lo, s[10:11], v[37:38]
	s_delay_alu instid0(VALU_DEP_2) | instskip(SKIP_1) | instid1(VALU_DEP_1)
	v_ldexp_f32 v41, v41, s19
	s_or_b32 s18, vcc_lo, s18
	v_dual_mul_f32 v41, v40, v41 :: v_dual_mov_b32 v40, v13
	s_delay_alu instid0(VALU_DEP_1)
	v_fma_f32 v13, v39, v13, -v41
	s_and_not1_b32 exec_lo, exec_lo, s18
	s_cbranch_execnz .LBB52_296
; %bb.297:
	s_or_b32 exec_lo, exec_lo, s18
.LBB52_298:
	s_delay_alu instid0(SALU_CYCLE_1)
	s_or_b32 exec_lo, exec_lo, s17
                                        ; implicit-def: $vgpr39
.LBB52_299:
	s_and_not1_saveexec_b32 s10, s16
; %bb.300:
	v_add_f32_e32 v13, v39, v39
; %bb.301:
	s_or_b32 exec_lo, exec_lo, s10
.LBB52_302:
	s_delay_alu instid0(SALU_CYCLE_1)
	s_or_b32 exec_lo, exec_lo, s14
.LBB52_303:
	s_delay_alu instid0(SALU_CYCLE_1) | instskip(SKIP_2) | instid1(VALU_DEP_1)
	s_or_b32 exec_lo, exec_lo, s13
	v_trunc_f32_e32 v37, v14
	s_mov_b32 s13, exec_lo
	v_mul_f32_e64 v38, 0x2f800000, |v37|
	s_delay_alu instid0(VALU_DEP_1) | instskip(NEXT) | instid1(VALU_DEP_1)
	v_floor_f32_e32 v38, v38
	v_fma_f32 v39, 0xcf800000, v38, |v37|
	v_ashrrev_i32_e32 v37, 31, v37
	v_cvt_u32_f32_e32 v38, v38
	s_delay_alu instid0(VALU_DEP_3) | instskip(NEXT) | instid1(VALU_DEP_2)
	v_cvt_u32_f32_e32 v39, v39
	v_xor_b32_e32 v38, v38, v37
	s_delay_alu instid0(VALU_DEP_2) | instskip(NEXT) | instid1(VALU_DEP_1)
	v_xor_b32_e32 v39, v39, v37
	v_sub_co_u32 v39, vcc_lo, v39, v37
	s_delay_alu instid0(VALU_DEP_3) | instskip(SKIP_2) | instid1(VALU_DEP_3)
	v_sub_co_ci_u32_e32 v37, vcc_lo, v38, v37, vcc_lo
	v_cmp_class_f32_e64 vcc_lo, v14, 0x1f8
	v_mov_b32_e32 v14, 0
	v_dual_cndmask_b32 v38, -1, v37 :: v_dual_cndmask_b32 v37, -1, v39
	s_delay_alu instid0(VALU_DEP_1)
	v_cmpx_lt_i64_e32 -1, v[37:38]
	s_cbranch_execz .LBB52_315
; %bb.304:
	v_mov_b32_e32 v14, 1.0
	s_mov_b32 s14, exec_lo
	v_cmpx_lt_i64_e32 0, v[37:38]
	s_cbranch_execz .LBB52_314
; %bb.305:
	v_and_b32_e32 v35, 0xffff0000, v35
	s_mov_b32 s10, exec_lo
	v_cmpx_ne_u64_e32 1, v[37:38]
	s_xor_b32 s16, exec_lo, s10
	s_cbranch_execz .LBB52_311
; %bb.306:
	v_mov_b32_e32 v14, 0x7fc00000
	s_mov_b32 s17, exec_lo
	v_cmpx_gt_u64_e32 0x81, v[37:38]
	s_cbranch_execz .LBB52_310
; %bb.307:
	v_add_f32_e32 v35, v35, v35
	v_lshlrev_b64 v[37:38], 1, v[37:38]
	v_mov_b32_e32 v39, 1.0
	s_mov_b64 s[10:11], 2
	s_mov_b32 s18, 0
	v_mov_b32_e32 v14, v35
	.p2align	6
.LBB52_308:                             ; =>This Inner Loop Header: Depth=1
	s_clz_i32_u32 s19, s11
	s_delay_alu instid0(SALU_CYCLE_1) | instskip(NEXT) | instid1(SALU_CYCLE_1)
	s_min_u32 s19, s19, 32
	s_lshl_b64 s[20:21], s[10:11], s19
	s_sub_i32 s19, 32, s19
	s_min_u32 s20, s20, 1
	s_delay_alu instid0(SALU_CYCLE_1) | instskip(SKIP_3) | instid1(SALU_CYCLE_1)
	s_or_b32 s20, s21, s20
	s_add_u32 s10, s10, 2
	v_cvt_f32_u32_e32 v40, s20
	s_addc_u32 s11, s11, 0
	v_cmp_ge_u64_e32 vcc_lo, s[10:11], v[37:38]
	s_delay_alu instid0(VALU_DEP_2) | instskip(SKIP_1) | instid1(VALU_DEP_1)
	v_ldexp_f32 v40, v40, s19
	s_or_b32 s18, vcc_lo, s18
	v_dual_mul_f32 v40, v39, v40 :: v_dual_mov_b32 v39, v14
	s_delay_alu instid0(VALU_DEP_1)
	v_fma_f32 v14, v35, v14, -v40
	s_and_not1_b32 exec_lo, exec_lo, s18
	s_cbranch_execnz .LBB52_308
; %bb.309:
	s_or_b32 exec_lo, exec_lo, s18
.LBB52_310:
	s_delay_alu instid0(SALU_CYCLE_1)
	s_or_b32 exec_lo, exec_lo, s17
                                        ; implicit-def: $vgpr35
.LBB52_311:
	s_and_not1_saveexec_b32 s10, s16
; %bb.312:
	v_add_f32_e32 v14, v35, v35
; %bb.313:
	s_or_b32 exec_lo, exec_lo, s10
.LBB52_314:
	s_delay_alu instid0(SALU_CYCLE_1)
	s_or_b32 exec_lo, exec_lo, s14
.LBB52_315:
	s_delay_alu instid0(SALU_CYCLE_1) | instskip(SKIP_2) | instid1(VALU_DEP_1)
	s_or_b32 exec_lo, exec_lo, s13
	v_trunc_f32_e32 v35, v15
	s_mov_b32 s13, exec_lo
	v_mul_f32_e64 v37, 0x2f800000, |v35|
	s_delay_alu instid0(VALU_DEP_1) | instskip(NEXT) | instid1(VALU_DEP_1)
	v_floor_f32_e32 v37, v37
	v_fma_f32 v38, 0xcf800000, v37, |v35|
	v_ashrrev_i32_e32 v35, 31, v35
	v_cvt_u32_f32_e32 v37, v37
	s_delay_alu instid0(VALU_DEP_3) | instskip(NEXT) | instid1(VALU_DEP_2)
	v_cvt_u32_f32_e32 v38, v38
	v_xor_b32_e32 v37, v37, v35
	s_delay_alu instid0(VALU_DEP_2) | instskip(NEXT) | instid1(VALU_DEP_1)
	v_xor_b32_e32 v38, v38, v35
	v_sub_co_u32 v39, vcc_lo, v38, v35
	s_delay_alu instid0(VALU_DEP_3) | instskip(SKIP_1) | instid1(VALU_DEP_2)
	v_sub_co_ci_u32_e32 v35, vcc_lo, v37, v35, vcc_lo
	v_cmp_class_f32_e64 vcc_lo, v15, 0x1f8
	v_dual_mov_b32 v15, 0 :: v_dual_cndmask_b32 v38, -1, v35
	s_delay_alu instid0(VALU_DEP_4) | instskip(NEXT) | instid1(VALU_DEP_1)
	v_cndmask_b32_e32 v37, -1, v39, vcc_lo
	v_cmpx_lt_i64_e32 -1, v[37:38]
	s_cbranch_execz .LBB52_327
; %bb.316:
	v_mov_b32_e32 v15, 1.0
	s_mov_b32 s14, exec_lo
	v_cmpx_lt_i64_e32 0, v[37:38]
	s_cbranch_execz .LBB52_326
; %bb.317:
	v_lshlrev_b32_e32 v35, 16, v36
	s_mov_b32 s10, exec_lo
	v_cmpx_ne_u64_e32 1, v[37:38]
	s_xor_b32 s16, exec_lo, s10
	s_cbranch_execz .LBB52_323
; %bb.318:
	v_mov_b32_e32 v15, 0x7fc00000
	s_mov_b32 s17, exec_lo
	v_cmpx_gt_u64_e32 0x81, v[37:38]
	s_cbranch_execz .LBB52_322
; %bb.319:
	v_add_f32_e32 v35, v35, v35
	v_lshlrev_b64 v[37:38], 1, v[37:38]
	v_mov_b32_e32 v39, 1.0
	s_mov_b64 s[10:11], 2
	s_mov_b32 s18, 0
	v_mov_b32_e32 v15, v35
	.p2align	6
.LBB52_320:                             ; =>This Inner Loop Header: Depth=1
	s_clz_i32_u32 s19, s11
	s_delay_alu instid0(SALU_CYCLE_1) | instskip(NEXT) | instid1(SALU_CYCLE_1)
	s_min_u32 s19, s19, 32
	s_lshl_b64 s[20:21], s[10:11], s19
	s_sub_i32 s19, 32, s19
	s_min_u32 s20, s20, 1
	s_delay_alu instid0(SALU_CYCLE_1) | instskip(SKIP_3) | instid1(SALU_CYCLE_1)
	s_or_b32 s20, s21, s20
	s_add_u32 s10, s10, 2
	v_cvt_f32_u32_e32 v40, s20
	s_addc_u32 s11, s11, 0
	v_cmp_ge_u64_e32 vcc_lo, s[10:11], v[37:38]
	s_delay_alu instid0(VALU_DEP_2) | instskip(SKIP_1) | instid1(VALU_DEP_1)
	v_ldexp_f32 v40, v40, s19
	s_or_b32 s18, vcc_lo, s18
	v_mul_f32_e32 v40, v39, v40
	v_mov_b32_e32 v39, v15
	s_delay_alu instid0(VALU_DEP_2)
	v_fma_f32 v15, v35, v15, -v40
	s_and_not1_b32 exec_lo, exec_lo, s18
	s_cbranch_execnz .LBB52_320
; %bb.321:
	s_or_b32 exec_lo, exec_lo, s18
.LBB52_322:
	s_delay_alu instid0(SALU_CYCLE_1)
	s_or_b32 exec_lo, exec_lo, s17
                                        ; implicit-def: $vgpr35
.LBB52_323:
	s_and_not1_saveexec_b32 s10, s16
; %bb.324:
	v_add_f32_e32 v15, v35, v35
; %bb.325:
	s_or_b32 exec_lo, exec_lo, s10
.LBB52_326:
	s_delay_alu instid0(SALU_CYCLE_1)
	s_or_b32 exec_lo, exec_lo, s14
.LBB52_327:
	s_delay_alu instid0(SALU_CYCLE_1) | instskip(SKIP_2) | instid1(VALU_DEP_1)
	s_or_b32 exec_lo, exec_lo, s13
	v_trunc_f32_e32 v35, v16
	s_mov_b32 s13, exec_lo
	v_mul_f32_e64 v37, 0x2f800000, |v35|
	s_delay_alu instid0(VALU_DEP_1) | instskip(NEXT) | instid1(VALU_DEP_1)
	v_floor_f32_e32 v37, v37
	v_fma_f32 v38, 0xcf800000, v37, |v35|
	v_ashrrev_i32_e32 v35, 31, v35
	v_cvt_u32_f32_e32 v37, v37
	s_delay_alu instid0(VALU_DEP_3) | instskip(NEXT) | instid1(VALU_DEP_2)
	v_cvt_u32_f32_e32 v38, v38
	v_xor_b32_e32 v37, v37, v35
	s_delay_alu instid0(VALU_DEP_2) | instskip(NEXT) | instid1(VALU_DEP_1)
	v_xor_b32_e32 v38, v38, v35
	v_sub_co_u32 v39, vcc_lo, v38, v35
	s_delay_alu instid0(VALU_DEP_3) | instskip(SKIP_2) | instid1(VALU_DEP_3)
	v_sub_co_ci_u32_e32 v35, vcc_lo, v37, v35, vcc_lo
	v_cmp_class_f32_e64 vcc_lo, v16, 0x1f8
	v_mov_b32_e32 v16, 0
	v_cndmask_b32_e32 v38, -1, v35, vcc_lo
	v_cndmask_b32_e32 v37, -1, v39, vcc_lo
	s_delay_alu instid0(VALU_DEP_1)
	v_cmpx_lt_i64_e32 -1, v[37:38]
	s_cbranch_execz .LBB52_339
; %bb.328:
	v_mov_b32_e32 v16, 1.0
	s_mov_b32 s14, exec_lo
	v_cmpx_lt_i64_e32 0, v[37:38]
	s_cbranch_execz .LBB52_338
; %bb.329:
	v_and_b32_e32 v35, 0xffff0000, v36
	s_mov_b32 s10, exec_lo
	v_cmpx_ne_u64_e32 1, v[37:38]
	s_xor_b32 s16, exec_lo, s10
	s_cbranch_execz .LBB52_335
; %bb.330:
	v_mov_b32_e32 v16, 0x7fc00000
	s_mov_b32 s17, exec_lo
	v_cmpx_gt_u64_e32 0x81, v[37:38]
	s_cbranch_execz .LBB52_334
; %bb.331:
	v_add_f32_e32 v39, v35, v35
	v_lshlrev_b64 v[35:36], 1, v[37:38]
	v_mov_b32_e32 v37, 1.0
	s_mov_b64 s[10:11], 2
	s_mov_b32 s18, 0
	v_mov_b32_e32 v16, v39
	.p2align	6
.LBB52_332:                             ; =>This Inner Loop Header: Depth=1
	s_clz_i32_u32 s19, s11
	s_delay_alu instid0(SALU_CYCLE_1) | instskip(NEXT) | instid1(SALU_CYCLE_1)
	s_min_u32 s19, s19, 32
	s_lshl_b64 s[20:21], s[10:11], s19
	s_sub_i32 s19, 32, s19
	s_min_u32 s20, s20, 1
	s_delay_alu instid0(SALU_CYCLE_1) | instskip(SKIP_3) | instid1(SALU_CYCLE_1)
	s_or_b32 s20, s21, s20
	s_add_u32 s10, s10, 2
	v_cvt_f32_u32_e32 v38, s20
	s_addc_u32 s11, s11, 0
	v_cmp_ge_u64_e32 vcc_lo, s[10:11], v[35:36]
	s_delay_alu instid0(VALU_DEP_2) | instskip(SKIP_1) | instid1(VALU_DEP_1)
	v_ldexp_f32 v38, v38, s19
	s_or_b32 s18, vcc_lo, s18
	v_dual_mul_f32 v38, v37, v38 :: v_dual_mov_b32 v37, v16
	s_delay_alu instid0(VALU_DEP_1)
	v_fma_f32 v16, v39, v16, -v38
	s_and_not1_b32 exec_lo, exec_lo, s18
	s_cbranch_execnz .LBB52_332
; %bb.333:
	s_or_b32 exec_lo, exec_lo, s18
.LBB52_334:
	s_delay_alu instid0(SALU_CYCLE_1)
	s_or_b32 exec_lo, exec_lo, s17
                                        ; implicit-def: $vgpr35
.LBB52_335:
	s_and_not1_saveexec_b32 s10, s16
; %bb.336:
	v_add_f32_e32 v16, v35, v35
; %bb.337:
	s_or_b32 exec_lo, exec_lo, s10
.LBB52_338:
	s_delay_alu instid0(SALU_CYCLE_1)
	s_or_b32 exec_lo, exec_lo, s14
.LBB52_339:
	s_delay_alu instid0(SALU_CYCLE_1) | instskip(SKIP_3) | instid1(VALU_DEP_1)
	s_or_b32 exec_lo, exec_lo, s13
	s_waitcnt vmcnt(0)
	v_trunc_f32_e32 v35, v5
	s_mov_b32 s13, exec_lo
	v_mul_f32_e64 v36, 0x2f800000, |v35|
	s_delay_alu instid0(VALU_DEP_1) | instskip(NEXT) | instid1(VALU_DEP_1)
	v_floor_f32_e32 v36, v36
	v_fma_f32 v37, 0xcf800000, v36, |v35|
	v_ashrrev_i32_e32 v35, 31, v35
	v_cvt_u32_f32_e32 v36, v36
	s_delay_alu instid0(VALU_DEP_3) | instskip(NEXT) | instid1(VALU_DEP_2)
	v_cvt_u32_f32_e32 v37, v37
	v_xor_b32_e32 v36, v36, v35
	s_delay_alu instid0(VALU_DEP_2) | instskip(NEXT) | instid1(VALU_DEP_1)
	v_xor_b32_e32 v37, v37, v35
	v_sub_co_u32 v37, vcc_lo, v37, v35
	s_delay_alu instid0(VALU_DEP_3) | instskip(SKIP_1) | instid1(VALU_DEP_2)
	v_sub_co_ci_u32_e32 v35, vcc_lo, v36, v35, vcc_lo
	v_cmp_class_f32_e64 vcc_lo, v5, 0x1f8
	v_dual_mov_b32 v5, 0 :: v_dual_cndmask_b32 v36, -1, v35
	s_delay_alu instid0(VALU_DEP_4) | instskip(NEXT) | instid1(VALU_DEP_1)
	v_cndmask_b32_e32 v35, -1, v37, vcc_lo
	v_cmpx_lt_i64_e32 -1, v[35:36]
	s_cbranch_execz .LBB52_351
; %bb.340:
	v_mov_b32_e32 v5, 1.0
	s_mov_b32 s14, exec_lo
	v_cmpx_lt_i64_e32 0, v[35:36]
	s_cbranch_execz .LBB52_350
; %bb.341:
	v_lshlrev_b32_e32 v37, 16, v33
                                        ; implicit-def: $vgpr5
	s_mov_b32 s10, exec_lo
	v_cmpx_ne_u64_e32 1, v[35:36]
	s_xor_b32 s16, exec_lo, s10
	s_cbranch_execz .LBB52_347
; %bb.342:
	v_mov_b32_e32 v5, 0x7fc00000
	s_mov_b32 s17, exec_lo
	v_cmpx_gt_u64_e32 0x81, v[35:36]
	s_cbranch_execz .LBB52_346
; %bb.343:
	v_dual_add_f32 v37, v37, v37 :: v_dual_mov_b32 v38, 1.0
	v_lshlrev_b64 v[35:36], 1, v[35:36]
	s_mov_b64 s[10:11], 2
	s_mov_b32 s18, 0
	s_delay_alu instid0(VALU_DEP_2)
	v_mov_b32_e32 v5, v37
	.p2align	6
.LBB52_344:                             ; =>This Inner Loop Header: Depth=1
	s_clz_i32_u32 s19, s11
	s_delay_alu instid0(SALU_CYCLE_1) | instskip(NEXT) | instid1(SALU_CYCLE_1)
	s_min_u32 s19, s19, 32
	s_lshl_b64 s[20:21], s[10:11], s19
	s_sub_i32 s19, 32, s19
	s_min_u32 s20, s20, 1
	s_delay_alu instid0(SALU_CYCLE_1) | instskip(SKIP_3) | instid1(SALU_CYCLE_1)
	s_or_b32 s20, s21, s20
	s_add_u32 s10, s10, 2
	v_cvt_f32_u32_e32 v39, s20
	s_addc_u32 s11, s11, 0
	v_cmp_ge_u64_e32 vcc_lo, s[10:11], v[35:36]
	s_delay_alu instid0(VALU_DEP_2) | instskip(SKIP_1) | instid1(VALU_DEP_1)
	v_ldexp_f32 v39, v39, s19
	s_or_b32 s18, vcc_lo, s18
	v_dual_mul_f32 v39, v38, v39 :: v_dual_mov_b32 v38, v5
	s_delay_alu instid0(VALU_DEP_1)
	v_fma_f32 v5, v37, v5, -v39
	s_and_not1_b32 exec_lo, exec_lo, s18
	s_cbranch_execnz .LBB52_344
; %bb.345:
	s_or_b32 exec_lo, exec_lo, s18
.LBB52_346:
	s_delay_alu instid0(SALU_CYCLE_1)
	s_or_b32 exec_lo, exec_lo, s17
                                        ; implicit-def: $vgpr37
.LBB52_347:
	s_and_not1_saveexec_b32 s10, s16
; %bb.348:
	v_add_f32_e32 v5, v37, v37
; %bb.349:
	s_or_b32 exec_lo, exec_lo, s10
.LBB52_350:
	s_delay_alu instid0(SALU_CYCLE_1)
	s_or_b32 exec_lo, exec_lo, s14
.LBB52_351:
	s_delay_alu instid0(SALU_CYCLE_1) | instskip(SKIP_2) | instid1(VALU_DEP_1)
	s_or_b32 exec_lo, exec_lo, s13
	v_trunc_f32_e32 v35, v6
	s_mov_b32 s13, exec_lo
	v_mul_f32_e64 v36, 0x2f800000, |v35|
	s_delay_alu instid0(VALU_DEP_1) | instskip(NEXT) | instid1(VALU_DEP_1)
	v_floor_f32_e32 v36, v36
	v_fma_f32 v37, 0xcf800000, v36, |v35|
	v_ashrrev_i32_e32 v35, 31, v35
	v_cvt_u32_f32_e32 v36, v36
	s_delay_alu instid0(VALU_DEP_3) | instskip(NEXT) | instid1(VALU_DEP_2)
	v_cvt_u32_f32_e32 v37, v37
	v_xor_b32_e32 v36, v36, v35
	s_delay_alu instid0(VALU_DEP_2) | instskip(NEXT) | instid1(VALU_DEP_1)
	v_xor_b32_e32 v37, v37, v35
	v_sub_co_u32 v37, vcc_lo, v37, v35
	s_delay_alu instid0(VALU_DEP_3) | instskip(SKIP_2) | instid1(VALU_DEP_3)
	v_sub_co_ci_u32_e32 v35, vcc_lo, v36, v35, vcc_lo
	v_cmp_class_f32_e64 vcc_lo, v6, 0x1f8
	v_mov_b32_e32 v6, 0
	v_dual_cndmask_b32 v36, -1, v35 :: v_dual_cndmask_b32 v35, -1, v37
	s_delay_alu instid0(VALU_DEP_1)
	v_cmpx_lt_i64_e32 -1, v[35:36]
	s_cbranch_execz .LBB52_363
; %bb.352:
	v_mov_b32_e32 v6, 1.0
	s_mov_b32 s14, exec_lo
	v_cmpx_lt_i64_e32 0, v[35:36]
	s_cbranch_execz .LBB52_362
; %bb.353:
	v_and_b32_e32 v33, 0xffff0000, v33
	s_mov_b32 s10, exec_lo
	v_cmpx_ne_u64_e32 1, v[35:36]
	s_xor_b32 s16, exec_lo, s10
	s_cbranch_execz .LBB52_359
; %bb.354:
	v_mov_b32_e32 v6, 0x7fc00000
	s_mov_b32 s17, exec_lo
	v_cmpx_gt_u64_e32 0x81, v[35:36]
	s_cbranch_execz .LBB52_358
; %bb.355:
	v_add_f32_e32 v33, v33, v33
	v_lshlrev_b64 v[35:36], 1, v[35:36]
	v_mov_b32_e32 v37, 1.0
	s_mov_b64 s[10:11], 2
	s_mov_b32 s18, 0
	v_mov_b32_e32 v6, v33
	.p2align	6
.LBB52_356:                             ; =>This Inner Loop Header: Depth=1
	s_clz_i32_u32 s19, s11
	s_delay_alu instid0(SALU_CYCLE_1) | instskip(NEXT) | instid1(SALU_CYCLE_1)
	s_min_u32 s19, s19, 32
	s_lshl_b64 s[20:21], s[10:11], s19
	s_sub_i32 s19, 32, s19
	s_min_u32 s20, s20, 1
	s_delay_alu instid0(SALU_CYCLE_1) | instskip(SKIP_3) | instid1(SALU_CYCLE_1)
	s_or_b32 s20, s21, s20
	s_add_u32 s10, s10, 2
	v_cvt_f32_u32_e32 v38, s20
	s_addc_u32 s11, s11, 0
	v_cmp_ge_u64_e32 vcc_lo, s[10:11], v[35:36]
	s_delay_alu instid0(VALU_DEP_2) | instskip(SKIP_1) | instid1(VALU_DEP_1)
	v_ldexp_f32 v38, v38, s19
	s_or_b32 s18, vcc_lo, s18
	v_dual_mul_f32 v38, v37, v38 :: v_dual_mov_b32 v37, v6
	s_delay_alu instid0(VALU_DEP_1)
	v_fma_f32 v6, v33, v6, -v38
	s_and_not1_b32 exec_lo, exec_lo, s18
	s_cbranch_execnz .LBB52_356
; %bb.357:
	s_or_b32 exec_lo, exec_lo, s18
.LBB52_358:
	s_delay_alu instid0(SALU_CYCLE_1)
	s_or_b32 exec_lo, exec_lo, s17
                                        ; implicit-def: $vgpr33
.LBB52_359:
	s_and_not1_saveexec_b32 s10, s16
; %bb.360:
	v_add_f32_e32 v6, v33, v33
; %bb.361:
	s_or_b32 exec_lo, exec_lo, s10
.LBB52_362:
	s_delay_alu instid0(SALU_CYCLE_1)
	s_or_b32 exec_lo, exec_lo, s14
.LBB52_363:
	s_delay_alu instid0(SALU_CYCLE_1) | instskip(SKIP_2) | instid1(VALU_DEP_1)
	s_or_b32 exec_lo, exec_lo, s13
	v_trunc_f32_e32 v33, v7
	s_mov_b32 s13, exec_lo
	v_mul_f32_e64 v35, 0x2f800000, |v33|
	s_delay_alu instid0(VALU_DEP_1) | instskip(NEXT) | instid1(VALU_DEP_1)
	v_floor_f32_e32 v35, v35
	v_fma_f32 v36, 0xcf800000, v35, |v33|
	v_ashrrev_i32_e32 v33, 31, v33
	v_cvt_u32_f32_e32 v35, v35
	s_delay_alu instid0(VALU_DEP_3) | instskip(NEXT) | instid1(VALU_DEP_2)
	v_cvt_u32_f32_e32 v36, v36
	v_xor_b32_e32 v35, v35, v33
	s_delay_alu instid0(VALU_DEP_2) | instskip(NEXT) | instid1(VALU_DEP_1)
	v_xor_b32_e32 v36, v36, v33
	v_sub_co_u32 v37, vcc_lo, v36, v33
	s_delay_alu instid0(VALU_DEP_3) | instskip(SKIP_1) | instid1(VALU_DEP_2)
	v_sub_co_ci_u32_e32 v33, vcc_lo, v35, v33, vcc_lo
	v_cmp_class_f32_e64 vcc_lo, v7, 0x1f8
	v_dual_mov_b32 v7, 0 :: v_dual_cndmask_b32 v36, -1, v33
	s_delay_alu instid0(VALU_DEP_4) | instskip(NEXT) | instid1(VALU_DEP_1)
	v_cndmask_b32_e32 v35, -1, v37, vcc_lo
	v_cmpx_lt_i64_e32 -1, v[35:36]
	s_cbranch_execz .LBB52_375
; %bb.364:
	v_mov_b32_e32 v7, 1.0
	s_mov_b32 s14, exec_lo
	v_cmpx_lt_i64_e32 0, v[35:36]
	s_cbranch_execz .LBB52_374
; %bb.365:
	v_lshlrev_b32_e32 v33, 16, v34
	s_mov_b32 s10, exec_lo
	v_cmpx_ne_u64_e32 1, v[35:36]
	s_xor_b32 s16, exec_lo, s10
	s_cbranch_execz .LBB52_371
; %bb.366:
	v_mov_b32_e32 v7, 0x7fc00000
	s_mov_b32 s17, exec_lo
	v_cmpx_gt_u64_e32 0x81, v[35:36]
	s_cbranch_execz .LBB52_370
; %bb.367:
	v_add_f32_e32 v33, v33, v33
	v_lshlrev_b64 v[35:36], 1, v[35:36]
	v_mov_b32_e32 v37, 1.0
	s_mov_b64 s[10:11], 2
	s_mov_b32 s18, 0
	v_mov_b32_e32 v7, v33
	.p2align	6
.LBB52_368:                             ; =>This Inner Loop Header: Depth=1
	s_clz_i32_u32 s19, s11
	s_delay_alu instid0(SALU_CYCLE_1) | instskip(NEXT) | instid1(SALU_CYCLE_1)
	s_min_u32 s19, s19, 32
	s_lshl_b64 s[20:21], s[10:11], s19
	s_sub_i32 s19, 32, s19
	s_min_u32 s20, s20, 1
	s_delay_alu instid0(SALU_CYCLE_1) | instskip(SKIP_3) | instid1(SALU_CYCLE_1)
	s_or_b32 s20, s21, s20
	s_add_u32 s10, s10, 2
	v_cvt_f32_u32_e32 v38, s20
	s_addc_u32 s11, s11, 0
	v_cmp_ge_u64_e32 vcc_lo, s[10:11], v[35:36]
	s_delay_alu instid0(VALU_DEP_2) | instskip(SKIP_1) | instid1(VALU_DEP_1)
	v_ldexp_f32 v38, v38, s19
	s_or_b32 s18, vcc_lo, s18
	v_dual_mul_f32 v38, v37, v38 :: v_dual_mov_b32 v37, v7
	s_delay_alu instid0(VALU_DEP_1)
	v_fma_f32 v7, v33, v7, -v38
	s_and_not1_b32 exec_lo, exec_lo, s18
	s_cbranch_execnz .LBB52_368
; %bb.369:
	s_or_b32 exec_lo, exec_lo, s18
.LBB52_370:
	s_delay_alu instid0(SALU_CYCLE_1)
	s_or_b32 exec_lo, exec_lo, s17
                                        ; implicit-def: $vgpr33
.LBB52_371:
	s_and_not1_saveexec_b32 s10, s16
; %bb.372:
	v_add_f32_e32 v7, v33, v33
; %bb.373:
	s_or_b32 exec_lo, exec_lo, s10
.LBB52_374:
	s_delay_alu instid0(SALU_CYCLE_1)
	s_or_b32 exec_lo, exec_lo, s14
.LBB52_375:
	s_delay_alu instid0(SALU_CYCLE_1) | instskip(SKIP_2) | instid1(VALU_DEP_1)
	s_or_b32 exec_lo, exec_lo, s13
	v_trunc_f32_e32 v33, v8
	s_mov_b32 s13, exec_lo
	v_mul_f32_e64 v35, 0x2f800000, |v33|
	s_delay_alu instid0(VALU_DEP_1) | instskip(NEXT) | instid1(VALU_DEP_1)
	v_floor_f32_e32 v35, v35
	v_fma_f32 v36, 0xcf800000, v35, |v33|
	v_ashrrev_i32_e32 v33, 31, v33
	v_cvt_u32_f32_e32 v35, v35
	s_delay_alu instid0(VALU_DEP_3) | instskip(NEXT) | instid1(VALU_DEP_2)
	v_cvt_u32_f32_e32 v36, v36
	v_xor_b32_e32 v35, v35, v33
	s_delay_alu instid0(VALU_DEP_2) | instskip(NEXT) | instid1(VALU_DEP_1)
	v_xor_b32_e32 v36, v36, v33
	v_sub_co_u32 v37, vcc_lo, v36, v33
	s_delay_alu instid0(VALU_DEP_3) | instskip(SKIP_2) | instid1(VALU_DEP_3)
	v_sub_co_ci_u32_e32 v33, vcc_lo, v35, v33, vcc_lo
	v_cmp_class_f32_e64 vcc_lo, v8, 0x1f8
	v_mov_b32_e32 v8, 0
	v_cndmask_b32_e32 v36, -1, v33, vcc_lo
	v_cndmask_b32_e32 v35, -1, v37, vcc_lo
	s_delay_alu instid0(VALU_DEP_1)
	v_cmpx_lt_i64_e32 -1, v[35:36]
	s_cbranch_execz .LBB52_387
; %bb.376:
	v_mov_b32_e32 v8, 1.0
	s_mov_b32 s14, exec_lo
	v_cmpx_lt_i64_e32 0, v[35:36]
	s_cbranch_execz .LBB52_386
; %bb.377:
	v_and_b32_e32 v33, 0xffff0000, v34
	s_mov_b32 s10, exec_lo
	v_cmpx_ne_u64_e32 1, v[35:36]
	s_xor_b32 s16, exec_lo, s10
	s_cbranch_execz .LBB52_383
; %bb.378:
	v_mov_b32_e32 v8, 0x7fc00000
	s_mov_b32 s17, exec_lo
	v_cmpx_gt_u64_e32 0x81, v[35:36]
	s_cbranch_execz .LBB52_382
; %bb.379:
	v_add_f32_e32 v37, v33, v33
	v_lshlrev_b64 v[33:34], 1, v[35:36]
	v_mov_b32_e32 v35, 1.0
	s_mov_b64 s[10:11], 2
	s_mov_b32 s18, 0
	v_mov_b32_e32 v8, v37
	.p2align	6
.LBB52_380:                             ; =>This Inner Loop Header: Depth=1
	s_clz_i32_u32 s19, s11
	s_delay_alu instid0(SALU_CYCLE_1) | instskip(NEXT) | instid1(SALU_CYCLE_1)
	s_min_u32 s19, s19, 32
	s_lshl_b64 s[20:21], s[10:11], s19
	s_sub_i32 s19, 32, s19
	s_min_u32 s20, s20, 1
	s_delay_alu instid0(SALU_CYCLE_1) | instskip(SKIP_3) | instid1(SALU_CYCLE_1)
	s_or_b32 s20, s21, s20
	s_add_u32 s10, s10, 2
	v_cvt_f32_u32_e32 v36, s20
	s_addc_u32 s11, s11, 0
	v_cmp_ge_u64_e32 vcc_lo, s[10:11], v[33:34]
	s_delay_alu instid0(VALU_DEP_2) | instskip(SKIP_1) | instid1(VALU_DEP_1)
	v_ldexp_f32 v36, v36, s19
	s_or_b32 s18, vcc_lo, s18
	v_dual_mul_f32 v36, v35, v36 :: v_dual_mov_b32 v35, v8
	s_delay_alu instid0(VALU_DEP_1)
	v_fma_f32 v8, v37, v8, -v36
	s_and_not1_b32 exec_lo, exec_lo, s18
	s_cbranch_execnz .LBB52_380
; %bb.381:
	s_or_b32 exec_lo, exec_lo, s18
.LBB52_382:
	s_delay_alu instid0(SALU_CYCLE_1)
	s_or_b32 exec_lo, exec_lo, s17
                                        ; implicit-def: $vgpr33
.LBB52_383:
	s_and_not1_saveexec_b32 s10, s16
; %bb.384:
	v_add_f32_e32 v8, v33, v33
; %bb.385:
	s_or_b32 exec_lo, exec_lo, s10
.LBB52_386:
	s_delay_alu instid0(SALU_CYCLE_1)
	s_or_b32 exec_lo, exec_lo, s14
.LBB52_387:
	s_delay_alu instid0(SALU_CYCLE_1) | instskip(SKIP_3) | instid1(VALU_DEP_1)
	s_or_b32 exec_lo, exec_lo, s13
	s_add_u32 s10, s4, s8
	s_addc_u32 s11, s5, s9
	v_add_co_u32 v35, s8, s10, v53
	v_add_co_ci_u32_e64 v36, null, s11, 0, s8
	s_clause 0x1
	global_store_b128 v53, v[1:4], s[10:11]
	global_store_b128 v54, v[17:20], s[10:11]
	v_add_co_u32 v33, vcc_lo, 0x2000, v35
	v_add_co_ci_u32_e32 v34, vcc_lo, 0, v36, vcc_lo
	v_add_co_u32 v1, vcc_lo, 0x6000, v35
	v_add_co_ci_u32_e32 v2, vcc_lo, 0, v36, vcc_lo
	;; [unrolled: 2-line block ×4, first 2 shown]
	s_clause 0x5
	global_store_b128 v[33:34], v[9:12], off
	global_store_b128 v[1:2], v[25:28], off
	global_store_b128 v51, v[29:32], s[10:11]
	global_store_b128 v52, v[13:16], s[10:11]
	global_store_b128 v[3:4], v[21:24], off
	global_store_b128 v[17:18], v[5:8], off
	s_branch .LBB52_2
.LBB52_388:
	s_clause 0x1
	s_load_b32 s10, s[0:1], 0x24
	s_load_b128 s[16:19], s[0:1], 0x28
	v_dual_mov_b32 v31, v0 :: v_dual_mov_b32 v0, s4
	v_dual_mov_b32 v1, s5 :: v_dual_mov_b32 v2, s6
	v_dual_mov_b32 v3, s7 :: v_dual_mov_b32 v4, s2
	v_dual_mov_b32 v5, s3 :: v_dual_mov_b32 v6, s12
	s_add_u32 s8, s0, 56
	s_addc_u32 s9, s1, 0
	s_mov_b32 s12, s15
	s_getpc_b64 s[0:1]
	s_add_u32 s0, s0, _ZN2at6native25elementwise_kernel_helperILb1ENS0_13BinaryFunctorIfffZZZNS0_12_GLOBAL__N_132hermite_polynomial_h_kernel_cudaERNS_18TensorIteratorBaseEENKUlvE_clEvENKUlvE0_clEvEUlffE_EENS0_6memory8policies11unroll_baseILi512ESt5arrayIPcLm3EE23TrivialOffsetCalculatorILi2EjESG_ILi1EjENSA_12LoadWithCastILi2EEENSA_13StoreWithCastILi1EEELi32ELi1EEEEEvT0_T1_@rel32@lo+4
	s_addc_u32 s1, s1, _ZN2at6native25elementwise_kernel_helperILb1ENS0_13BinaryFunctorIfffZZZNS0_12_GLOBAL__N_132hermite_polynomial_h_kernel_cudaERNS_18TensorIteratorBaseEENKUlvE_clEvENKUlvE0_clEvEUlffE_EENS0_6memory8policies11unroll_baseILi512ESt5arrayIPcLm3EE23TrivialOffsetCalculatorILi2EjESG_ILi1EjENSA_12LoadWithCastILi2EEENSA_13StoreWithCastILi1EEELi32ELi1EEEEEvT0_T1_@rel32@hi+12
	s_waitcnt lgkmcnt(0)
	v_lshrrev_b16 v8, 8, s10
	v_dual_mov_b32 v7, s10 :: v_dual_mov_b32 v10, s17
	v_dual_mov_b32 v9, s16 :: v_dual_mov_b32 v12, s19
	v_mov_b32_e32 v11, s18
	s_swappc_b64 s[30:31], s[0:1]
	s_endpgm
	.section	.rodata,"a",@progbits
	.p2align	6, 0x0
	.amdhsa_kernel _ZN2at6native39vectorized_templated_elementwise_kernelILi4ENS0_13BinaryFunctorIfffZZZNS0_12_GLOBAL__N_132hermite_polynomial_h_kernel_cudaERNS_18TensorIteratorBaseEENKUlvE_clEvENKUlvE0_clEvEUlffE_EESt5arrayIPcLm3EE23TrivialOffsetCalculatorILi2EjESD_ILi1EjENS0_6memory12LoadWithCastILi2EEENSG_13StoreWithCastILi1EEEfJN3c108BFloat16EfEEEviT0_T1_T2_T3_T4_T5_
		.amdhsa_group_segment_fixed_size 0
		.amdhsa_private_segment_fixed_size 272
		.amdhsa_kernarg_size 312
		.amdhsa_user_sgpr_count 15
		.amdhsa_user_sgpr_dispatch_ptr 0
		.amdhsa_user_sgpr_queue_ptr 0
		.amdhsa_user_sgpr_kernarg_segment_ptr 1
		.amdhsa_user_sgpr_dispatch_id 0
		.amdhsa_user_sgpr_private_segment_size 0
		.amdhsa_wavefront_size32 1
		.amdhsa_uses_dynamic_stack 0
		.amdhsa_enable_private_segment 1
		.amdhsa_system_sgpr_workgroup_id_x 1
		.amdhsa_system_sgpr_workgroup_id_y 0
		.amdhsa_system_sgpr_workgroup_id_z 0
		.amdhsa_system_sgpr_workgroup_info 0
		.amdhsa_system_vgpr_workitem_id 0
		.amdhsa_next_free_vgpr 68
		.amdhsa_next_free_sgpr 77
		.amdhsa_reserve_vcc 1
		.amdhsa_float_round_mode_32 0
		.amdhsa_float_round_mode_16_64 0
		.amdhsa_float_denorm_mode_32 3
		.amdhsa_float_denorm_mode_16_64 3
		.amdhsa_dx10_clamp 1
		.amdhsa_ieee_mode 1
		.amdhsa_fp16_overflow 0
		.amdhsa_workgroup_processor_mode 1
		.amdhsa_memory_ordered 1
		.amdhsa_forward_progress 0
		.amdhsa_shared_vgpr_count 0
		.amdhsa_exception_fp_ieee_invalid_op 0
		.amdhsa_exception_fp_denorm_src 0
		.amdhsa_exception_fp_ieee_div_zero 0
		.amdhsa_exception_fp_ieee_overflow 0
		.amdhsa_exception_fp_ieee_underflow 0
		.amdhsa_exception_fp_ieee_inexact 0
		.amdhsa_exception_int_div_zero 0
	.end_amdhsa_kernel
	.section	.text._ZN2at6native39vectorized_templated_elementwise_kernelILi4ENS0_13BinaryFunctorIfffZZZNS0_12_GLOBAL__N_132hermite_polynomial_h_kernel_cudaERNS_18TensorIteratorBaseEENKUlvE_clEvENKUlvE0_clEvEUlffE_EESt5arrayIPcLm3EE23TrivialOffsetCalculatorILi2EjESD_ILi1EjENS0_6memory12LoadWithCastILi2EEENSG_13StoreWithCastILi1EEEfJN3c108BFloat16EfEEEviT0_T1_T2_T3_T4_T5_,"axG",@progbits,_ZN2at6native39vectorized_templated_elementwise_kernelILi4ENS0_13BinaryFunctorIfffZZZNS0_12_GLOBAL__N_132hermite_polynomial_h_kernel_cudaERNS_18TensorIteratorBaseEENKUlvE_clEvENKUlvE0_clEvEUlffE_EESt5arrayIPcLm3EE23TrivialOffsetCalculatorILi2EjESD_ILi1EjENS0_6memory12LoadWithCastILi2EEENSG_13StoreWithCastILi1EEEfJN3c108BFloat16EfEEEviT0_T1_T2_T3_T4_T5_,comdat
.Lfunc_end52:
	.size	_ZN2at6native39vectorized_templated_elementwise_kernelILi4ENS0_13BinaryFunctorIfffZZZNS0_12_GLOBAL__N_132hermite_polynomial_h_kernel_cudaERNS_18TensorIteratorBaseEENKUlvE_clEvENKUlvE0_clEvEUlffE_EESt5arrayIPcLm3EE23TrivialOffsetCalculatorILi2EjESD_ILi1EjENS0_6memory12LoadWithCastILi2EEENSG_13StoreWithCastILi1EEEfJN3c108BFloat16EfEEEviT0_T1_T2_T3_T4_T5_, .Lfunc_end52-_ZN2at6native39vectorized_templated_elementwise_kernelILi4ENS0_13BinaryFunctorIfffZZZNS0_12_GLOBAL__N_132hermite_polynomial_h_kernel_cudaERNS_18TensorIteratorBaseEENKUlvE_clEvENKUlvE0_clEvEUlffE_EESt5arrayIPcLm3EE23TrivialOffsetCalculatorILi2EjESD_ILi1EjENS0_6memory12LoadWithCastILi2EEENSG_13StoreWithCastILi1EEEfJN3c108BFloat16EfEEEviT0_T1_T2_T3_T4_T5_
                                        ; -- End function
	.section	.AMDGPU.csdata,"",@progbits
; Kernel info:
; codeLenInByte = 11800
; NumSgprs: 79
; NumVgprs: 68
; ScratchSize: 272
; MemoryBound: 0
; FloatMode: 240
; IeeeMode: 1
; LDSByteSize: 0 bytes/workgroup (compile time only)
; SGPRBlocks: 9
; VGPRBlocks: 8
; NumSGPRsForWavesPerEU: 79
; NumVGPRsForWavesPerEU: 68
; Occupancy: 16
; WaveLimiterHint : 0
; COMPUTE_PGM_RSRC2:SCRATCH_EN: 1
; COMPUTE_PGM_RSRC2:USER_SGPR: 15
; COMPUTE_PGM_RSRC2:TRAP_HANDLER: 0
; COMPUTE_PGM_RSRC2:TGID_X_EN: 1
; COMPUTE_PGM_RSRC2:TGID_Y_EN: 0
; COMPUTE_PGM_RSRC2:TGID_Z_EN: 0
; COMPUTE_PGM_RSRC2:TIDIG_COMP_CNT: 0
	.section	.text._ZN2at6native39vectorized_templated_elementwise_kernelILi2ENS0_13BinaryFunctorIfffZZZNS0_12_GLOBAL__N_132hermite_polynomial_h_kernel_cudaERNS_18TensorIteratorBaseEENKUlvE_clEvENKUlvE0_clEvEUlffE_EESt5arrayIPcLm3EE23TrivialOffsetCalculatorILi2EjESD_ILi1EjENS0_6memory12LoadWithCastILi2EEENSG_13StoreWithCastILi1EEEfJN3c108BFloat16EfEEEviT0_T1_T2_T3_T4_T5_,"axG",@progbits,_ZN2at6native39vectorized_templated_elementwise_kernelILi2ENS0_13BinaryFunctorIfffZZZNS0_12_GLOBAL__N_132hermite_polynomial_h_kernel_cudaERNS_18TensorIteratorBaseEENKUlvE_clEvENKUlvE0_clEvEUlffE_EESt5arrayIPcLm3EE23TrivialOffsetCalculatorILi2EjESD_ILi1EjENS0_6memory12LoadWithCastILi2EEENSG_13StoreWithCastILi1EEEfJN3c108BFloat16EfEEEviT0_T1_T2_T3_T4_T5_,comdat
	.globl	_ZN2at6native39vectorized_templated_elementwise_kernelILi2ENS0_13BinaryFunctorIfffZZZNS0_12_GLOBAL__N_132hermite_polynomial_h_kernel_cudaERNS_18TensorIteratorBaseEENKUlvE_clEvENKUlvE0_clEvEUlffE_EESt5arrayIPcLm3EE23TrivialOffsetCalculatorILi2EjESD_ILi1EjENS0_6memory12LoadWithCastILi2EEENSG_13StoreWithCastILi1EEEfJN3c108BFloat16EfEEEviT0_T1_T2_T3_T4_T5_ ; -- Begin function _ZN2at6native39vectorized_templated_elementwise_kernelILi2ENS0_13BinaryFunctorIfffZZZNS0_12_GLOBAL__N_132hermite_polynomial_h_kernel_cudaERNS_18TensorIteratorBaseEENKUlvE_clEvENKUlvE0_clEvEUlffE_EESt5arrayIPcLm3EE23TrivialOffsetCalculatorILi2EjESD_ILi1EjENS0_6memory12LoadWithCastILi2EEENSG_13StoreWithCastILi1EEEfJN3c108BFloat16EfEEEviT0_T1_T2_T3_T4_T5_
	.p2align	8
	.type	_ZN2at6native39vectorized_templated_elementwise_kernelILi2ENS0_13BinaryFunctorIfffZZZNS0_12_GLOBAL__N_132hermite_polynomial_h_kernel_cudaERNS_18TensorIteratorBaseEENKUlvE_clEvENKUlvE0_clEvEUlffE_EESt5arrayIPcLm3EE23TrivialOffsetCalculatorILi2EjESD_ILi1EjENS0_6memory12LoadWithCastILi2EEENSG_13StoreWithCastILi1EEEfJN3c108BFloat16EfEEEviT0_T1_T2_T3_T4_T5_,@function
_ZN2at6native39vectorized_templated_elementwise_kernelILi2ENS0_13BinaryFunctorIfffZZZNS0_12_GLOBAL__N_132hermite_polynomial_h_kernel_cudaERNS_18TensorIteratorBaseEENKUlvE_clEvENKUlvE0_clEvEUlffE_EESt5arrayIPcLm3EE23TrivialOffsetCalculatorILi2EjESD_ILi1EjENS0_6memory12LoadWithCastILi2EEENSG_13StoreWithCastILi1EEEfJN3c108BFloat16EfEEEviT0_T1_T2_T3_T4_T5_: ; @_ZN2at6native39vectorized_templated_elementwise_kernelILi2ENS0_13BinaryFunctorIfffZZZNS0_12_GLOBAL__N_132hermite_polynomial_h_kernel_cudaERNS_18TensorIteratorBaseEENKUlvE_clEvENKUlvE0_clEvEUlffE_EESt5arrayIPcLm3EE23TrivialOffsetCalculatorILi2EjESD_ILi1EjENS0_6memory12LoadWithCastILi2EEENSG_13StoreWithCastILi1EEEfJN3c108BFloat16EfEEEviT0_T1_T2_T3_T4_T5_
; %bb.0:
	s_clause 0x3
	s_load_b32 s8, s[0:1], 0x38
	s_load_b32 s9, s[0:1], 0x0
	s_load_b64 s[2:3], s[0:1], 0x18
	s_load_b128 s[4:7], s[0:1], 0x8
	s_not_b32 s10, s15
	s_mov_b32 s32, 0
	s_waitcnt lgkmcnt(0)
	s_add_i32 s8, s8, s10
	s_delay_alu instid0(SALU_CYCLE_1) | instskip(NEXT) | instid1(SALU_CYCLE_1)
	s_lshl_b32 s8, s8, 14
	s_sub_i32 s12, s9, s8
	s_mov_b32 s9, -1
	s_cmpk_gt_i32 s12, 0x3fff
	s_cbranch_scc1 .LBB53_3
; %bb.1:
	s_and_b32 vcc_lo, exec_lo, s9
	s_cbranch_vccnz .LBB53_388
.LBB53_2:
	s_nop 0
	s_sendmsg sendmsg(MSG_DEALLOC_VGPRS)
	s_endpgm
.LBB53_3:
	s_ashr_i32 s9, s8, 31
	v_lshlrev_b32_e32 v7, 2, v0
	s_lshl_b64 s[10:11], s[8:9], 1
	v_or_b32_e32 v9, 0x400, v0
	s_add_u32 s10, s6, s10
	s_addc_u32 s11, s7, s11
	v_add_co_u32 v8, s13, s10, v7
	s_delay_alu instid0(VALU_DEP_1) | instskip(SKIP_1) | instid1(VALU_DEP_3)
	v_add_co_ci_u32_e64 v10, null, s11, 0, s13
	v_or_b32_e32 v12, 0x800, v0
	v_add_co_u32 v1, vcc_lo, 0x1000, v8
	s_delay_alu instid0(VALU_DEP_3)
	v_add_co_ci_u32_e32 v2, vcc_lo, 0, v10, vcc_lo
	v_add_co_u32 v3, vcc_lo, 0x2000, v8
	v_or_b32_e32 v14, 0xc00, v0
	v_add_co_ci_u32_e32 v4, vcc_lo, 0, v10, vcc_lo
	v_lshlrev_b32_e32 v11, 2, v9
	v_add_co_u32 v5, vcc_lo, 0x3000, v8
	v_lshlrev_b32_e32 v13, 2, v12
	v_add_co_ci_u32_e32 v6, vcc_lo, 0, v10, vcc_lo
	v_lshlrev_b32_e32 v15, 2, v14
	s_clause 0x7
	global_load_b32 v58, v7, s[10:11]
	global_load_b32 v57, v7, s[10:11] offset:2048
	global_load_b32 v56, v11, s[10:11]
	global_load_b32 v55, v[1:2], off offset:2048
	global_load_b32 v54, v13, s[10:11]
	global_load_b32 v53, v[3:4], off offset:2048
	;; [unrolled: 2-line block ×3, first 2 shown]
	v_add_co_u32 v1, vcc_lo, 0x4000, v8
	v_or_b32_e32 v19, 0x1000, v0
	v_add_co_ci_u32_e32 v2, vcc_lo, 0, v10, vcc_lo
	v_or_b32_e32 v20, 0x1400, v0
	v_add_co_u32 v3, vcc_lo, 0x5000, v8
	v_or_b32_e32 v23, 0x1800, v0
	v_add_co_ci_u32_e32 v4, vcc_lo, 0, v10, vcc_lo
	v_lshlrev_b32_e32 v11, 2, v19
	v_or_b32_e32 v24, 0x1c00, v0
	v_add_co_u32 v5, vcc_lo, 0x6000, v8
	v_lshlrev_b32_e32 v13, 2, v20
	v_add_co_ci_u32_e32 v6, vcc_lo, 0, v10, vcc_lo
	v_add_co_u32 v7, vcc_lo, 0x7000, v8
	s_lshl_b64 s[8:9], s[8:9], 2
	v_lshlrev_b32_e32 v36, 3, v0
	v_lshlrev_b32_e32 v15, 2, v23
	;; [unrolled: 1-line block ×3, first 2 shown]
	v_add_co_ci_u32_e32 v8, vcc_lo, 0, v10, vcc_lo
	s_clause 0x7
	global_load_b32 v50, v11, s[10:11]
	global_load_b32 v49, v[1:2], off offset:2048
	global_load_b32 v48, v13, s[10:11]
	global_load_b32 v47, v[3:4], off offset:2048
	;; [unrolled: 2-line block ×4, first 2 shown]
	s_add_u32 s10, s2, s8
	s_addc_u32 s11, s3, s9
	v_add_co_u32 v27, s13, s10, v36
	global_load_b64 v[1:2], v36, s[10:11]
	v_add_co_ci_u32_e64 v28, null, s11, 0, s13
	v_add_co_u32 v3, vcc_lo, 0x1000, v27
	v_lshlrev_b32_e32 v40, 3, v9
	s_delay_alu instid0(VALU_DEP_3)
	v_add_co_ci_u32_e32 v4, vcc_lo, 0, v28, vcc_lo
	v_add_co_u32 v7, vcc_lo, 0x3000, v27
	v_add_co_ci_u32_e32 v8, vcc_lo, 0, v28, vcc_lo
	v_add_co_u32 v11, vcc_lo, 0x5000, v27
	v_lshlrev_b32_e32 v41, 3, v12
	v_add_co_ci_u32_e32 v12, vcc_lo, 0, v28, vcc_lo
	v_add_co_u32 v15, vcc_lo, 0x7000, v27
	v_add_co_ci_u32_e32 v16, vcc_lo, 0, v28, vcc_lo
	v_lshlrev_b32_e32 v42, 3, v14
	s_clause 0x6
	global_load_b64 v[5:6], v[3:4], off
	global_load_b64 v[9:10], v40, s[10:11]
	global_load_b64 v[13:14], v[7:8], off
	global_load_b64 v[17:18], v41, s[10:11]
	;; [unrolled: 2-line block ×3, first 2 shown]
	global_load_b64 v[29:30], v[15:16], off
	v_add_co_u32 v3, vcc_lo, 0x9000, v27
	v_add_co_ci_u32_e32 v4, vcc_lo, 0, v28, vcc_lo
	v_add_co_u32 v7, vcc_lo, 0xb000, v27
	v_add_co_ci_u32_e32 v8, vcc_lo, 0, v28, vcc_lo
	v_lshlrev_b32_e32 v35, 3, v19
	v_add_co_u32 v11, vcc_lo, 0xd000, v27
	v_lshlrev_b32_e32 v37, 3, v20
	v_add_co_ci_u32_e32 v12, vcc_lo, 0, v28, vcc_lo
	v_add_co_u32 v33, vcc_lo, 0xf000, v27
	v_lshlrev_b32_e32 v38, 3, v23
	v_lshlrev_b32_e32 v39, 3, v24
	v_add_co_ci_u32_e32 v34, vcc_lo, 0, v28, vcc_lo
	s_clause 0x7
	global_load_b64 v[31:32], v35, s[10:11]
	global_load_b64 v[27:28], v[3:4], off
	global_load_b64 v[23:24], v37, s[10:11]
	global_load_b64 v[19:20], v[7:8], off
	;; [unrolled: 2-line block ×4, first 2 shown]
	s_mov_b32 s13, exec_lo
	s_waitcnt vmcnt(15)
	v_trunc_f32_e32 v33, v1
	s_delay_alu instid0(VALU_DEP_1) | instskip(NEXT) | instid1(VALU_DEP_1)
	v_mul_f32_e64 v34, 0x2f800000, |v33|
	v_floor_f32_e32 v34, v34
	s_delay_alu instid0(VALU_DEP_1) | instskip(SKIP_2) | instid1(VALU_DEP_3)
	v_fma_f32 v59, 0xcf800000, v34, |v33|
	v_ashrrev_i32_e32 v33, 31, v33
	v_cvt_u32_f32_e32 v34, v34
	v_cvt_u32_f32_e32 v59, v59
	s_delay_alu instid0(VALU_DEP_2) | instskip(NEXT) | instid1(VALU_DEP_2)
	v_xor_b32_e32 v34, v34, v33
	v_xor_b32_e32 v59, v59, v33
	s_delay_alu instid0(VALU_DEP_1) | instskip(NEXT) | instid1(VALU_DEP_3)
	v_sub_co_u32 v59, vcc_lo, v59, v33
	v_sub_co_ci_u32_e32 v33, vcc_lo, v34, v33, vcc_lo
	v_cmp_class_f32_e64 vcc_lo, v1, 0x1f8
	s_delay_alu instid0(VALU_DEP_2) | instskip(NEXT) | instid1(VALU_DEP_4)
	v_dual_mov_b32 v1, 0 :: v_dual_cndmask_b32 v34, -1, v33
	v_cndmask_b32_e32 v33, -1, v59, vcc_lo
	s_delay_alu instid0(VALU_DEP_1)
	v_cmpx_lt_i64_e32 -1, v[33:34]
	s_cbranch_execz .LBB53_15
; %bb.4:
	v_mov_b32_e32 v1, 1.0
	s_mov_b32 s14, exec_lo
	v_cmpx_lt_i64_e32 0, v[33:34]
	s_cbranch_execz .LBB53_14
; %bb.5:
	v_lshlrev_b32_e32 v59, 16, v58
                                        ; implicit-def: $vgpr1
	s_mov_b32 s10, exec_lo
	v_cmpx_ne_u64_e32 1, v[33:34]
	s_xor_b32 s16, exec_lo, s10
	s_cbranch_execz .LBB53_11
; %bb.6:
	v_mov_b32_e32 v1, 0x7fc00000
	s_mov_b32 s17, exec_lo
	v_cmpx_gt_u64_e32 0x81, v[33:34]
	s_cbranch_execz .LBB53_10
; %bb.7:
	v_dual_add_f32 v59, v59, v59 :: v_dual_mov_b32 v60, 1.0
	v_lshlrev_b64 v[33:34], 1, v[33:34]
	s_mov_b64 s[10:11], 2
	s_mov_b32 s18, 0
	s_delay_alu instid0(VALU_DEP_2)
	v_mov_b32_e32 v1, v59
	.p2align	6
.LBB53_8:                               ; =>This Inner Loop Header: Depth=1
	s_clz_i32_u32 s19, s11
	s_delay_alu instid0(SALU_CYCLE_1) | instskip(NEXT) | instid1(SALU_CYCLE_1)
	s_min_u32 s19, s19, 32
	s_lshl_b64 s[20:21], s[10:11], s19
	s_sub_i32 s19, 32, s19
	s_min_u32 s20, s20, 1
	s_delay_alu instid0(SALU_CYCLE_1) | instskip(SKIP_3) | instid1(SALU_CYCLE_1)
	s_or_b32 s20, s21, s20
	s_add_u32 s10, s10, 2
	v_cvt_f32_u32_e32 v61, s20
	s_addc_u32 s11, s11, 0
	v_cmp_ge_u64_e32 vcc_lo, s[10:11], v[33:34]
	s_delay_alu instid0(VALU_DEP_2) | instskip(SKIP_1) | instid1(VALU_DEP_1)
	v_ldexp_f32 v61, v61, s19
	s_or_b32 s18, vcc_lo, s18
	v_dual_mul_f32 v61, v60, v61 :: v_dual_mov_b32 v60, v1
	s_delay_alu instid0(VALU_DEP_1)
	v_fma_f32 v1, v59, v1, -v61
	s_and_not1_b32 exec_lo, exec_lo, s18
	s_cbranch_execnz .LBB53_8
; %bb.9:
	s_or_b32 exec_lo, exec_lo, s18
.LBB53_10:
	s_delay_alu instid0(SALU_CYCLE_1)
	s_or_b32 exec_lo, exec_lo, s17
                                        ; implicit-def: $vgpr59
.LBB53_11:
	s_and_not1_saveexec_b32 s10, s16
; %bb.12:
	v_add_f32_e32 v1, v59, v59
; %bb.13:
	s_or_b32 exec_lo, exec_lo, s10
.LBB53_14:
	s_delay_alu instid0(SALU_CYCLE_1)
	s_or_b32 exec_lo, exec_lo, s14
.LBB53_15:
	s_delay_alu instid0(SALU_CYCLE_1) | instskip(SKIP_2) | instid1(VALU_DEP_1)
	s_or_b32 exec_lo, exec_lo, s13
	v_trunc_f32_e32 v33, v2
	s_mov_b32 s13, exec_lo
	v_mul_f32_e64 v34, 0x2f800000, |v33|
	s_delay_alu instid0(VALU_DEP_1) | instskip(NEXT) | instid1(VALU_DEP_1)
	v_floor_f32_e32 v34, v34
	v_fma_f32 v59, 0xcf800000, v34, |v33|
	v_ashrrev_i32_e32 v33, 31, v33
	v_cvt_u32_f32_e32 v34, v34
	s_delay_alu instid0(VALU_DEP_3) | instskip(NEXT) | instid1(VALU_DEP_2)
	v_cvt_u32_f32_e32 v59, v59
	v_xor_b32_e32 v34, v34, v33
	s_delay_alu instid0(VALU_DEP_2) | instskip(NEXT) | instid1(VALU_DEP_1)
	v_xor_b32_e32 v59, v59, v33
	v_sub_co_u32 v59, vcc_lo, v59, v33
	s_delay_alu instid0(VALU_DEP_3) | instskip(SKIP_2) | instid1(VALU_DEP_3)
	v_sub_co_ci_u32_e32 v33, vcc_lo, v34, v33, vcc_lo
	v_cmp_class_f32_e64 vcc_lo, v2, 0x1f8
	v_mov_b32_e32 v2, 0
	v_dual_cndmask_b32 v34, -1, v33 :: v_dual_cndmask_b32 v33, -1, v59
	s_delay_alu instid0(VALU_DEP_1)
	v_cmpx_lt_i64_e32 -1, v[33:34]
	s_cbranch_execz .LBB53_27
; %bb.16:
	v_mov_b32_e32 v2, 1.0
	s_mov_b32 s14, exec_lo
	v_cmpx_lt_i64_e32 0, v[33:34]
	s_cbranch_execz .LBB53_26
; %bb.17:
	v_and_b32_e32 v58, 0xffff0000, v58
	s_mov_b32 s10, exec_lo
	v_cmpx_ne_u64_e32 1, v[33:34]
	s_xor_b32 s16, exec_lo, s10
	s_cbranch_execz .LBB53_23
; %bb.18:
	v_mov_b32_e32 v2, 0x7fc00000
	s_mov_b32 s17, exec_lo
	v_cmpx_gt_u64_e32 0x81, v[33:34]
	s_cbranch_execz .LBB53_22
; %bb.19:
	v_dual_add_f32 v58, v58, v58 :: v_dual_mov_b32 v59, 1.0
	v_lshlrev_b64 v[33:34], 1, v[33:34]
	s_mov_b64 s[10:11], 2
	s_mov_b32 s18, 0
	s_delay_alu instid0(VALU_DEP_2)
	v_mov_b32_e32 v2, v58
	.p2align	6
.LBB53_20:                              ; =>This Inner Loop Header: Depth=1
	s_clz_i32_u32 s19, s11
	s_delay_alu instid0(SALU_CYCLE_1) | instskip(NEXT) | instid1(SALU_CYCLE_1)
	s_min_u32 s19, s19, 32
	s_lshl_b64 s[20:21], s[10:11], s19
	s_sub_i32 s19, 32, s19
	s_min_u32 s20, s20, 1
	s_delay_alu instid0(SALU_CYCLE_1) | instskip(SKIP_3) | instid1(SALU_CYCLE_1)
	s_or_b32 s20, s21, s20
	s_add_u32 s10, s10, 2
	v_cvt_f32_u32_e32 v60, s20
	s_addc_u32 s11, s11, 0
	v_cmp_ge_u64_e32 vcc_lo, s[10:11], v[33:34]
	s_delay_alu instid0(VALU_DEP_2) | instskip(SKIP_1) | instid1(VALU_DEP_1)
	v_ldexp_f32 v60, v60, s19
	s_or_b32 s18, vcc_lo, s18
	v_dual_mul_f32 v60, v59, v60 :: v_dual_mov_b32 v59, v2
	s_delay_alu instid0(VALU_DEP_1)
	v_fma_f32 v2, v58, v2, -v60
	s_and_not1_b32 exec_lo, exec_lo, s18
	s_cbranch_execnz .LBB53_20
; %bb.21:
	s_or_b32 exec_lo, exec_lo, s18
.LBB53_22:
	s_delay_alu instid0(SALU_CYCLE_1)
	s_or_b32 exec_lo, exec_lo, s17
                                        ; implicit-def: $vgpr58
.LBB53_23:
	s_and_not1_saveexec_b32 s10, s16
; %bb.24:
	v_add_f32_e32 v2, v58, v58
; %bb.25:
	s_or_b32 exec_lo, exec_lo, s10
.LBB53_26:
	s_delay_alu instid0(SALU_CYCLE_1)
	s_or_b32 exec_lo, exec_lo, s14
.LBB53_27:
	s_delay_alu instid0(SALU_CYCLE_1) | instskip(SKIP_3) | instid1(VALU_DEP_1)
	s_or_b32 exec_lo, exec_lo, s13
	s_waitcnt vmcnt(14)
	v_trunc_f32_e32 v33, v5
	s_mov_b32 s13, exec_lo
	v_mul_f32_e64 v34, 0x2f800000, |v33|
	s_delay_alu instid0(VALU_DEP_1) | instskip(NEXT) | instid1(VALU_DEP_1)
	v_floor_f32_e32 v34, v34
	v_fma_f32 v58, 0xcf800000, v34, |v33|
	v_ashrrev_i32_e32 v33, 31, v33
	v_cvt_u32_f32_e32 v34, v34
	s_delay_alu instid0(VALU_DEP_3) | instskip(NEXT) | instid1(VALU_DEP_2)
	v_cvt_u32_f32_e32 v58, v58
	v_xor_b32_e32 v34, v34, v33
	s_delay_alu instid0(VALU_DEP_2) | instskip(NEXT) | instid1(VALU_DEP_1)
	v_xor_b32_e32 v58, v58, v33
	v_sub_co_u32 v58, vcc_lo, v58, v33
	s_delay_alu instid0(VALU_DEP_3) | instskip(SKIP_1) | instid1(VALU_DEP_2)
	v_sub_co_ci_u32_e32 v33, vcc_lo, v34, v33, vcc_lo
	v_cmp_class_f32_e64 vcc_lo, v5, 0x1f8
	v_dual_mov_b32 v5, 0 :: v_dual_cndmask_b32 v34, -1, v33
	s_delay_alu instid0(VALU_DEP_4) | instskip(NEXT) | instid1(VALU_DEP_1)
	v_cndmask_b32_e32 v33, -1, v58, vcc_lo
	v_cmpx_lt_i64_e32 -1, v[33:34]
	s_cbranch_execz .LBB53_39
; %bb.28:
	v_mov_b32_e32 v5, 1.0
	s_mov_b32 s14, exec_lo
	v_cmpx_lt_i64_e32 0, v[33:34]
	s_cbranch_execz .LBB53_38
; %bb.29:
	v_lshlrev_b32_e32 v58, 16, v57
                                        ; implicit-def: $vgpr5
	s_mov_b32 s10, exec_lo
	v_cmpx_ne_u64_e32 1, v[33:34]
	s_xor_b32 s16, exec_lo, s10
	s_cbranch_execz .LBB53_35
; %bb.30:
	v_mov_b32_e32 v5, 0x7fc00000
	s_mov_b32 s17, exec_lo
	v_cmpx_gt_u64_e32 0x81, v[33:34]
	s_cbranch_execz .LBB53_34
; %bb.31:
	v_dual_add_f32 v58, v58, v58 :: v_dual_mov_b32 v59, 1.0
	v_lshlrev_b64 v[33:34], 1, v[33:34]
	s_mov_b64 s[10:11], 2
	s_mov_b32 s18, 0
	s_delay_alu instid0(VALU_DEP_2)
	v_mov_b32_e32 v5, v58
	.p2align	6
.LBB53_32:                              ; =>This Inner Loop Header: Depth=1
	s_clz_i32_u32 s19, s11
	s_delay_alu instid0(SALU_CYCLE_1) | instskip(NEXT) | instid1(SALU_CYCLE_1)
	s_min_u32 s19, s19, 32
	s_lshl_b64 s[20:21], s[10:11], s19
	s_sub_i32 s19, 32, s19
	s_min_u32 s20, s20, 1
	s_delay_alu instid0(SALU_CYCLE_1) | instskip(SKIP_3) | instid1(SALU_CYCLE_1)
	s_or_b32 s20, s21, s20
	s_add_u32 s10, s10, 2
	v_cvt_f32_u32_e32 v60, s20
	s_addc_u32 s11, s11, 0
	v_cmp_ge_u64_e32 vcc_lo, s[10:11], v[33:34]
	s_delay_alu instid0(VALU_DEP_2) | instskip(SKIP_1) | instid1(VALU_DEP_1)
	v_ldexp_f32 v60, v60, s19
	s_or_b32 s18, vcc_lo, s18
	v_dual_mul_f32 v60, v59, v60 :: v_dual_mov_b32 v59, v5
	s_delay_alu instid0(VALU_DEP_1)
	v_fma_f32 v5, v58, v5, -v60
	s_and_not1_b32 exec_lo, exec_lo, s18
	s_cbranch_execnz .LBB53_32
; %bb.33:
	s_or_b32 exec_lo, exec_lo, s18
.LBB53_34:
	s_delay_alu instid0(SALU_CYCLE_1)
	s_or_b32 exec_lo, exec_lo, s17
                                        ; implicit-def: $vgpr58
.LBB53_35:
	s_and_not1_saveexec_b32 s10, s16
; %bb.36:
	v_add_f32_e32 v5, v58, v58
; %bb.37:
	s_or_b32 exec_lo, exec_lo, s10
.LBB53_38:
	s_delay_alu instid0(SALU_CYCLE_1)
	s_or_b32 exec_lo, exec_lo, s14
.LBB53_39:
	s_delay_alu instid0(SALU_CYCLE_1) | instskip(SKIP_2) | instid1(VALU_DEP_1)
	s_or_b32 exec_lo, exec_lo, s13
	v_trunc_f32_e32 v33, v6
	s_mov_b32 s13, exec_lo
	v_mul_f32_e64 v34, 0x2f800000, |v33|
	s_delay_alu instid0(VALU_DEP_1) | instskip(NEXT) | instid1(VALU_DEP_1)
	v_floor_f32_e32 v34, v34
	v_fma_f32 v58, 0xcf800000, v34, |v33|
	v_ashrrev_i32_e32 v33, 31, v33
	v_cvt_u32_f32_e32 v34, v34
	s_delay_alu instid0(VALU_DEP_3) | instskip(NEXT) | instid1(VALU_DEP_2)
	v_cvt_u32_f32_e32 v58, v58
	v_xor_b32_e32 v34, v34, v33
	s_delay_alu instid0(VALU_DEP_2) | instskip(NEXT) | instid1(VALU_DEP_1)
	v_xor_b32_e32 v58, v58, v33
	v_sub_co_u32 v58, vcc_lo, v58, v33
	s_delay_alu instid0(VALU_DEP_3) | instskip(SKIP_2) | instid1(VALU_DEP_3)
	v_sub_co_ci_u32_e32 v33, vcc_lo, v34, v33, vcc_lo
	v_cmp_class_f32_e64 vcc_lo, v6, 0x1f8
	v_mov_b32_e32 v6, 0
	v_dual_cndmask_b32 v34, -1, v33 :: v_dual_cndmask_b32 v33, -1, v58
	s_delay_alu instid0(VALU_DEP_1)
	v_cmpx_lt_i64_e32 -1, v[33:34]
	s_cbranch_execz .LBB53_51
; %bb.40:
	v_mov_b32_e32 v6, 1.0
	s_mov_b32 s14, exec_lo
	v_cmpx_lt_i64_e32 0, v[33:34]
	s_cbranch_execz .LBB53_50
; %bb.41:
	v_and_b32_e32 v57, 0xffff0000, v57
	s_mov_b32 s10, exec_lo
	v_cmpx_ne_u64_e32 1, v[33:34]
	s_xor_b32 s16, exec_lo, s10
	s_cbranch_execz .LBB53_47
; %bb.42:
	v_mov_b32_e32 v6, 0x7fc00000
	s_mov_b32 s17, exec_lo
	v_cmpx_gt_u64_e32 0x81, v[33:34]
	s_cbranch_execz .LBB53_46
; %bb.43:
	v_dual_add_f32 v57, v57, v57 :: v_dual_mov_b32 v58, 1.0
	v_lshlrev_b64 v[33:34], 1, v[33:34]
	s_mov_b64 s[10:11], 2
	s_mov_b32 s18, 0
	s_delay_alu instid0(VALU_DEP_2)
	v_mov_b32_e32 v6, v57
	.p2align	6
.LBB53_44:                              ; =>This Inner Loop Header: Depth=1
	s_clz_i32_u32 s19, s11
	s_delay_alu instid0(SALU_CYCLE_1) | instskip(NEXT) | instid1(SALU_CYCLE_1)
	s_min_u32 s19, s19, 32
	s_lshl_b64 s[20:21], s[10:11], s19
	s_sub_i32 s19, 32, s19
	s_min_u32 s20, s20, 1
	s_delay_alu instid0(SALU_CYCLE_1) | instskip(SKIP_3) | instid1(SALU_CYCLE_1)
	s_or_b32 s20, s21, s20
	s_add_u32 s10, s10, 2
	v_cvt_f32_u32_e32 v59, s20
	s_addc_u32 s11, s11, 0
	v_cmp_ge_u64_e32 vcc_lo, s[10:11], v[33:34]
	s_delay_alu instid0(VALU_DEP_2) | instskip(SKIP_1) | instid1(VALU_DEP_1)
	v_ldexp_f32 v59, v59, s19
	s_or_b32 s18, vcc_lo, s18
	v_mul_f32_e32 v59, v58, v59
	v_mov_b32_e32 v58, v6
	s_delay_alu instid0(VALU_DEP_2)
	v_fma_f32 v6, v57, v6, -v59
	s_and_not1_b32 exec_lo, exec_lo, s18
	s_cbranch_execnz .LBB53_44
; %bb.45:
	s_or_b32 exec_lo, exec_lo, s18
.LBB53_46:
	s_delay_alu instid0(SALU_CYCLE_1)
	s_or_b32 exec_lo, exec_lo, s17
                                        ; implicit-def: $vgpr57
.LBB53_47:
	s_and_not1_saveexec_b32 s10, s16
; %bb.48:
	v_add_f32_e32 v6, v57, v57
; %bb.49:
	s_or_b32 exec_lo, exec_lo, s10
.LBB53_50:
	s_delay_alu instid0(SALU_CYCLE_1)
	s_or_b32 exec_lo, exec_lo, s14
.LBB53_51:
	s_delay_alu instid0(SALU_CYCLE_1) | instskip(SKIP_3) | instid1(VALU_DEP_1)
	s_or_b32 exec_lo, exec_lo, s13
	s_waitcnt vmcnt(13)
	v_trunc_f32_e32 v33, v9
	s_mov_b32 s13, exec_lo
	v_mul_f32_e64 v34, 0x2f800000, |v33|
	s_delay_alu instid0(VALU_DEP_1) | instskip(NEXT) | instid1(VALU_DEP_1)
	v_floor_f32_e32 v34, v34
	v_fma_f32 v57, 0xcf800000, v34, |v33|
	v_ashrrev_i32_e32 v33, 31, v33
	v_cvt_u32_f32_e32 v34, v34
	s_delay_alu instid0(VALU_DEP_3) | instskip(NEXT) | instid1(VALU_DEP_2)
	v_cvt_u32_f32_e32 v57, v57
	v_xor_b32_e32 v34, v34, v33
	s_delay_alu instid0(VALU_DEP_2) | instskip(NEXT) | instid1(VALU_DEP_1)
	v_xor_b32_e32 v57, v57, v33
	v_sub_co_u32 v57, vcc_lo, v57, v33
	s_delay_alu instid0(VALU_DEP_3) | instskip(SKIP_1) | instid1(VALU_DEP_2)
	v_sub_co_ci_u32_e32 v33, vcc_lo, v34, v33, vcc_lo
	v_cmp_class_f32_e64 vcc_lo, v9, 0x1f8
	v_dual_mov_b32 v9, 0 :: v_dual_cndmask_b32 v34, -1, v33
	s_delay_alu instid0(VALU_DEP_4) | instskip(NEXT) | instid1(VALU_DEP_1)
	v_cndmask_b32_e32 v33, -1, v57, vcc_lo
	v_cmpx_lt_i64_e32 -1, v[33:34]
	s_cbranch_execz .LBB53_63
; %bb.52:
	v_mov_b32_e32 v9, 1.0
	s_mov_b32 s14, exec_lo
	v_cmpx_lt_i64_e32 0, v[33:34]
	s_cbranch_execz .LBB53_62
; %bb.53:
	v_lshlrev_b32_e32 v57, 16, v56
                                        ; implicit-def: $vgpr9
	s_mov_b32 s10, exec_lo
	v_cmpx_ne_u64_e32 1, v[33:34]
	s_xor_b32 s16, exec_lo, s10
	s_cbranch_execz .LBB53_59
; %bb.54:
	v_mov_b32_e32 v9, 0x7fc00000
	s_mov_b32 s17, exec_lo
	v_cmpx_gt_u64_e32 0x81, v[33:34]
	s_cbranch_execz .LBB53_58
; %bb.55:
	v_dual_add_f32 v57, v57, v57 :: v_dual_mov_b32 v58, 1.0
	v_lshlrev_b64 v[33:34], 1, v[33:34]
	s_mov_b64 s[10:11], 2
	s_mov_b32 s18, 0
	s_delay_alu instid0(VALU_DEP_2)
	v_mov_b32_e32 v9, v57
	.p2align	6
.LBB53_56:                              ; =>This Inner Loop Header: Depth=1
	s_clz_i32_u32 s19, s11
	s_delay_alu instid0(SALU_CYCLE_1) | instskip(NEXT) | instid1(SALU_CYCLE_1)
	s_min_u32 s19, s19, 32
	s_lshl_b64 s[20:21], s[10:11], s19
	s_sub_i32 s19, 32, s19
	s_min_u32 s20, s20, 1
	s_delay_alu instid0(SALU_CYCLE_1) | instskip(SKIP_3) | instid1(SALU_CYCLE_1)
	s_or_b32 s20, s21, s20
	s_add_u32 s10, s10, 2
	v_cvt_f32_u32_e32 v59, s20
	s_addc_u32 s11, s11, 0
	v_cmp_ge_u64_e32 vcc_lo, s[10:11], v[33:34]
	s_delay_alu instid0(VALU_DEP_2) | instskip(SKIP_1) | instid1(VALU_DEP_1)
	v_ldexp_f32 v59, v59, s19
	s_or_b32 s18, vcc_lo, s18
	v_dual_mul_f32 v59, v58, v59 :: v_dual_mov_b32 v58, v9
	s_delay_alu instid0(VALU_DEP_1)
	v_fma_f32 v9, v57, v9, -v59
	s_and_not1_b32 exec_lo, exec_lo, s18
	s_cbranch_execnz .LBB53_56
; %bb.57:
	s_or_b32 exec_lo, exec_lo, s18
.LBB53_58:
	s_delay_alu instid0(SALU_CYCLE_1)
	s_or_b32 exec_lo, exec_lo, s17
                                        ; implicit-def: $vgpr57
.LBB53_59:
	s_and_not1_saveexec_b32 s10, s16
; %bb.60:
	v_add_f32_e32 v9, v57, v57
; %bb.61:
	s_or_b32 exec_lo, exec_lo, s10
.LBB53_62:
	s_delay_alu instid0(SALU_CYCLE_1)
	s_or_b32 exec_lo, exec_lo, s14
.LBB53_63:
	s_delay_alu instid0(SALU_CYCLE_1) | instskip(SKIP_2) | instid1(VALU_DEP_1)
	s_or_b32 exec_lo, exec_lo, s13
	v_trunc_f32_e32 v33, v10
	s_mov_b32 s13, exec_lo
	v_mul_f32_e64 v34, 0x2f800000, |v33|
	s_delay_alu instid0(VALU_DEP_1) | instskip(NEXT) | instid1(VALU_DEP_1)
	v_floor_f32_e32 v34, v34
	v_fma_f32 v57, 0xcf800000, v34, |v33|
	v_ashrrev_i32_e32 v33, 31, v33
	v_cvt_u32_f32_e32 v34, v34
	s_delay_alu instid0(VALU_DEP_3) | instskip(NEXT) | instid1(VALU_DEP_2)
	v_cvt_u32_f32_e32 v57, v57
	v_xor_b32_e32 v34, v34, v33
	s_delay_alu instid0(VALU_DEP_2) | instskip(NEXT) | instid1(VALU_DEP_1)
	v_xor_b32_e32 v57, v57, v33
	v_sub_co_u32 v57, vcc_lo, v57, v33
	s_delay_alu instid0(VALU_DEP_3) | instskip(SKIP_2) | instid1(VALU_DEP_3)
	v_sub_co_ci_u32_e32 v33, vcc_lo, v34, v33, vcc_lo
	v_cmp_class_f32_e64 vcc_lo, v10, 0x1f8
	v_mov_b32_e32 v10, 0
	v_cndmask_b32_e32 v34, -1, v33, vcc_lo
	v_cndmask_b32_e32 v33, -1, v57, vcc_lo
	s_delay_alu instid0(VALU_DEP_1)
	v_cmpx_lt_i64_e32 -1, v[33:34]
	s_cbranch_execz .LBB53_75
; %bb.64:
	v_mov_b32_e32 v10, 1.0
	s_mov_b32 s14, exec_lo
	v_cmpx_lt_i64_e32 0, v[33:34]
	s_cbranch_execz .LBB53_74
; %bb.65:
	v_and_b32_e32 v56, 0xffff0000, v56
	s_mov_b32 s10, exec_lo
	v_cmpx_ne_u64_e32 1, v[33:34]
	s_xor_b32 s16, exec_lo, s10
	s_cbranch_execz .LBB53_71
; %bb.66:
	v_mov_b32_e32 v10, 0x7fc00000
	s_mov_b32 s17, exec_lo
	v_cmpx_gt_u64_e32 0x81, v[33:34]
	s_cbranch_execz .LBB53_70
; %bb.67:
	v_dual_add_f32 v56, v56, v56 :: v_dual_mov_b32 v57, 1.0
	v_lshlrev_b64 v[33:34], 1, v[33:34]
	s_mov_b64 s[10:11], 2
	s_mov_b32 s18, 0
	s_delay_alu instid0(VALU_DEP_2)
	v_mov_b32_e32 v10, v56
	.p2align	6
.LBB53_68:                              ; =>This Inner Loop Header: Depth=1
	s_clz_i32_u32 s19, s11
	s_delay_alu instid0(SALU_CYCLE_1) | instskip(NEXT) | instid1(SALU_CYCLE_1)
	s_min_u32 s19, s19, 32
	s_lshl_b64 s[20:21], s[10:11], s19
	s_sub_i32 s19, 32, s19
	s_min_u32 s20, s20, 1
	s_delay_alu instid0(SALU_CYCLE_1) | instskip(SKIP_3) | instid1(SALU_CYCLE_1)
	s_or_b32 s20, s21, s20
	s_add_u32 s10, s10, 2
	v_cvt_f32_u32_e32 v58, s20
	s_addc_u32 s11, s11, 0
	v_cmp_ge_u64_e32 vcc_lo, s[10:11], v[33:34]
	s_delay_alu instid0(VALU_DEP_2) | instskip(SKIP_1) | instid1(VALU_DEP_1)
	v_ldexp_f32 v58, v58, s19
	s_or_b32 s18, vcc_lo, s18
	v_dual_mul_f32 v58, v57, v58 :: v_dual_mov_b32 v57, v10
	s_delay_alu instid0(VALU_DEP_1)
	v_fma_f32 v10, v56, v10, -v58
	s_and_not1_b32 exec_lo, exec_lo, s18
	s_cbranch_execnz .LBB53_68
; %bb.69:
	s_or_b32 exec_lo, exec_lo, s18
.LBB53_70:
	s_delay_alu instid0(SALU_CYCLE_1)
	s_or_b32 exec_lo, exec_lo, s17
                                        ; implicit-def: $vgpr56
.LBB53_71:
	s_and_not1_saveexec_b32 s10, s16
; %bb.72:
	v_add_f32_e32 v10, v56, v56
; %bb.73:
	s_or_b32 exec_lo, exec_lo, s10
.LBB53_74:
	s_delay_alu instid0(SALU_CYCLE_1)
	s_or_b32 exec_lo, exec_lo, s14
.LBB53_75:
	s_delay_alu instid0(SALU_CYCLE_1) | instskip(SKIP_3) | instid1(VALU_DEP_1)
	s_or_b32 exec_lo, exec_lo, s13
	s_waitcnt vmcnt(12)
	v_trunc_f32_e32 v33, v13
	s_mov_b32 s13, exec_lo
	v_mul_f32_e64 v34, 0x2f800000, |v33|
	s_delay_alu instid0(VALU_DEP_1) | instskip(NEXT) | instid1(VALU_DEP_1)
	v_floor_f32_e32 v34, v34
	v_fma_f32 v56, 0xcf800000, v34, |v33|
	v_ashrrev_i32_e32 v33, 31, v33
	v_cvt_u32_f32_e32 v34, v34
	s_delay_alu instid0(VALU_DEP_3) | instskip(NEXT) | instid1(VALU_DEP_2)
	v_cvt_u32_f32_e32 v56, v56
	v_xor_b32_e32 v34, v34, v33
	s_delay_alu instid0(VALU_DEP_2) | instskip(NEXT) | instid1(VALU_DEP_1)
	v_xor_b32_e32 v56, v56, v33
	v_sub_co_u32 v56, vcc_lo, v56, v33
	s_delay_alu instid0(VALU_DEP_3) | instskip(SKIP_1) | instid1(VALU_DEP_2)
	v_sub_co_ci_u32_e32 v33, vcc_lo, v34, v33, vcc_lo
	v_cmp_class_f32_e64 vcc_lo, v13, 0x1f8
	v_dual_mov_b32 v13, 0 :: v_dual_cndmask_b32 v34, -1, v33
	s_delay_alu instid0(VALU_DEP_4) | instskip(NEXT) | instid1(VALU_DEP_1)
	v_cndmask_b32_e32 v33, -1, v56, vcc_lo
	v_cmpx_lt_i64_e32 -1, v[33:34]
	s_cbranch_execz .LBB53_87
; %bb.76:
	v_mov_b32_e32 v13, 1.0
	s_mov_b32 s14, exec_lo
	v_cmpx_lt_i64_e32 0, v[33:34]
	s_cbranch_execz .LBB53_86
; %bb.77:
	v_lshlrev_b32_e32 v56, 16, v55
                                        ; implicit-def: $vgpr13
	s_mov_b32 s10, exec_lo
	v_cmpx_ne_u64_e32 1, v[33:34]
	s_xor_b32 s16, exec_lo, s10
	s_cbranch_execz .LBB53_83
; %bb.78:
	v_mov_b32_e32 v13, 0x7fc00000
	s_mov_b32 s17, exec_lo
	v_cmpx_gt_u64_e32 0x81, v[33:34]
	s_cbranch_execz .LBB53_82
; %bb.79:
	v_dual_add_f32 v56, v56, v56 :: v_dual_mov_b32 v57, 1.0
	v_lshlrev_b64 v[33:34], 1, v[33:34]
	s_mov_b64 s[10:11], 2
	s_mov_b32 s18, 0
	s_delay_alu instid0(VALU_DEP_2)
	v_mov_b32_e32 v13, v56
	.p2align	6
.LBB53_80:                              ; =>This Inner Loop Header: Depth=1
	s_clz_i32_u32 s19, s11
	s_delay_alu instid0(SALU_CYCLE_1) | instskip(NEXT) | instid1(SALU_CYCLE_1)
	s_min_u32 s19, s19, 32
	s_lshl_b64 s[20:21], s[10:11], s19
	s_sub_i32 s19, 32, s19
	s_min_u32 s20, s20, 1
	s_delay_alu instid0(SALU_CYCLE_1) | instskip(SKIP_3) | instid1(SALU_CYCLE_1)
	s_or_b32 s20, s21, s20
	s_add_u32 s10, s10, 2
	v_cvt_f32_u32_e32 v58, s20
	s_addc_u32 s11, s11, 0
	v_cmp_ge_u64_e32 vcc_lo, s[10:11], v[33:34]
	s_delay_alu instid0(VALU_DEP_2) | instskip(SKIP_1) | instid1(VALU_DEP_1)
	v_ldexp_f32 v58, v58, s19
	s_or_b32 s18, vcc_lo, s18
	v_mul_f32_e32 v58, v57, v58
	v_mov_b32_e32 v57, v13
	s_delay_alu instid0(VALU_DEP_2)
	v_fma_f32 v13, v56, v13, -v58
	s_and_not1_b32 exec_lo, exec_lo, s18
	s_cbranch_execnz .LBB53_80
; %bb.81:
	s_or_b32 exec_lo, exec_lo, s18
.LBB53_82:
	s_delay_alu instid0(SALU_CYCLE_1)
	s_or_b32 exec_lo, exec_lo, s17
                                        ; implicit-def: $vgpr56
.LBB53_83:
	s_and_not1_saveexec_b32 s10, s16
; %bb.84:
	v_add_f32_e32 v13, v56, v56
; %bb.85:
	s_or_b32 exec_lo, exec_lo, s10
.LBB53_86:
	s_delay_alu instid0(SALU_CYCLE_1)
	s_or_b32 exec_lo, exec_lo, s14
.LBB53_87:
	s_delay_alu instid0(SALU_CYCLE_1) | instskip(SKIP_2) | instid1(VALU_DEP_1)
	s_or_b32 exec_lo, exec_lo, s13
	v_trunc_f32_e32 v33, v14
	s_mov_b32 s13, exec_lo
	v_mul_f32_e64 v34, 0x2f800000, |v33|
	s_delay_alu instid0(VALU_DEP_1) | instskip(NEXT) | instid1(VALU_DEP_1)
	v_floor_f32_e32 v34, v34
	v_fma_f32 v56, 0xcf800000, v34, |v33|
	v_ashrrev_i32_e32 v33, 31, v33
	v_cvt_u32_f32_e32 v34, v34
	s_delay_alu instid0(VALU_DEP_3) | instskip(NEXT) | instid1(VALU_DEP_2)
	v_cvt_u32_f32_e32 v56, v56
	v_xor_b32_e32 v34, v34, v33
	s_delay_alu instid0(VALU_DEP_2) | instskip(NEXT) | instid1(VALU_DEP_1)
	v_xor_b32_e32 v56, v56, v33
	v_sub_co_u32 v56, vcc_lo, v56, v33
	s_delay_alu instid0(VALU_DEP_3) | instskip(SKIP_2) | instid1(VALU_DEP_3)
	v_sub_co_ci_u32_e32 v33, vcc_lo, v34, v33, vcc_lo
	v_cmp_class_f32_e64 vcc_lo, v14, 0x1f8
	v_mov_b32_e32 v14, 0
	v_dual_cndmask_b32 v34, -1, v33 :: v_dual_cndmask_b32 v33, -1, v56
	s_delay_alu instid0(VALU_DEP_1)
	v_cmpx_lt_i64_e32 -1, v[33:34]
	s_cbranch_execz .LBB53_99
; %bb.88:
	v_mov_b32_e32 v14, 1.0
	s_mov_b32 s14, exec_lo
	v_cmpx_lt_i64_e32 0, v[33:34]
	s_cbranch_execz .LBB53_98
; %bb.89:
	v_and_b32_e32 v55, 0xffff0000, v55
	s_mov_b32 s10, exec_lo
	v_cmpx_ne_u64_e32 1, v[33:34]
	s_xor_b32 s16, exec_lo, s10
	s_cbranch_execz .LBB53_95
; %bb.90:
	v_mov_b32_e32 v14, 0x7fc00000
	s_mov_b32 s17, exec_lo
	v_cmpx_gt_u64_e32 0x81, v[33:34]
	s_cbranch_execz .LBB53_94
; %bb.91:
	v_dual_add_f32 v55, v55, v55 :: v_dual_mov_b32 v56, 1.0
	v_lshlrev_b64 v[33:34], 1, v[33:34]
	s_mov_b64 s[10:11], 2
	s_mov_b32 s18, 0
	s_delay_alu instid0(VALU_DEP_2)
	v_mov_b32_e32 v14, v55
	.p2align	6
.LBB53_92:                              ; =>This Inner Loop Header: Depth=1
	s_clz_i32_u32 s19, s11
	s_delay_alu instid0(SALU_CYCLE_1) | instskip(NEXT) | instid1(SALU_CYCLE_1)
	s_min_u32 s19, s19, 32
	s_lshl_b64 s[20:21], s[10:11], s19
	s_sub_i32 s19, 32, s19
	s_min_u32 s20, s20, 1
	s_delay_alu instid0(SALU_CYCLE_1) | instskip(SKIP_3) | instid1(SALU_CYCLE_1)
	s_or_b32 s20, s21, s20
	s_add_u32 s10, s10, 2
	v_cvt_f32_u32_e32 v57, s20
	s_addc_u32 s11, s11, 0
	v_cmp_ge_u64_e32 vcc_lo, s[10:11], v[33:34]
	s_delay_alu instid0(VALU_DEP_2) | instskip(SKIP_1) | instid1(VALU_DEP_1)
	v_ldexp_f32 v57, v57, s19
	s_or_b32 s18, vcc_lo, s18
	v_dual_mul_f32 v57, v56, v57 :: v_dual_mov_b32 v56, v14
	s_delay_alu instid0(VALU_DEP_1)
	v_fma_f32 v14, v55, v14, -v57
	s_and_not1_b32 exec_lo, exec_lo, s18
	s_cbranch_execnz .LBB53_92
; %bb.93:
	s_or_b32 exec_lo, exec_lo, s18
.LBB53_94:
	s_delay_alu instid0(SALU_CYCLE_1)
	s_or_b32 exec_lo, exec_lo, s17
                                        ; implicit-def: $vgpr55
.LBB53_95:
	s_and_not1_saveexec_b32 s10, s16
; %bb.96:
	v_add_f32_e32 v14, v55, v55
; %bb.97:
	s_or_b32 exec_lo, exec_lo, s10
.LBB53_98:
	s_delay_alu instid0(SALU_CYCLE_1)
	s_or_b32 exec_lo, exec_lo, s14
.LBB53_99:
	s_delay_alu instid0(SALU_CYCLE_1) | instskip(SKIP_3) | instid1(VALU_DEP_1)
	s_or_b32 exec_lo, exec_lo, s13
	s_waitcnt vmcnt(11)
	v_trunc_f32_e32 v33, v17
	s_mov_b32 s13, exec_lo
	v_mul_f32_e64 v34, 0x2f800000, |v33|
	s_delay_alu instid0(VALU_DEP_1) | instskip(NEXT) | instid1(VALU_DEP_1)
	v_floor_f32_e32 v34, v34
	v_fma_f32 v55, 0xcf800000, v34, |v33|
	v_ashrrev_i32_e32 v33, 31, v33
	v_cvt_u32_f32_e32 v34, v34
	s_delay_alu instid0(VALU_DEP_3) | instskip(NEXT) | instid1(VALU_DEP_2)
	v_cvt_u32_f32_e32 v55, v55
	v_xor_b32_e32 v34, v34, v33
	s_delay_alu instid0(VALU_DEP_2) | instskip(NEXT) | instid1(VALU_DEP_1)
	v_xor_b32_e32 v55, v55, v33
	v_sub_co_u32 v55, vcc_lo, v55, v33
	s_delay_alu instid0(VALU_DEP_3) | instskip(SKIP_1) | instid1(VALU_DEP_2)
	v_sub_co_ci_u32_e32 v33, vcc_lo, v34, v33, vcc_lo
	v_cmp_class_f32_e64 vcc_lo, v17, 0x1f8
	v_dual_mov_b32 v17, 0 :: v_dual_cndmask_b32 v34, -1, v33
	s_delay_alu instid0(VALU_DEP_4) | instskip(NEXT) | instid1(VALU_DEP_1)
	v_cndmask_b32_e32 v33, -1, v55, vcc_lo
	v_cmpx_lt_i64_e32 -1, v[33:34]
	s_cbranch_execz .LBB53_111
; %bb.100:
	v_mov_b32_e32 v17, 1.0
	s_mov_b32 s14, exec_lo
	v_cmpx_lt_i64_e32 0, v[33:34]
	s_cbranch_execz .LBB53_110
; %bb.101:
	v_lshlrev_b32_e32 v55, 16, v54
                                        ; implicit-def: $vgpr17
	s_mov_b32 s10, exec_lo
	v_cmpx_ne_u64_e32 1, v[33:34]
	s_xor_b32 s16, exec_lo, s10
	s_cbranch_execz .LBB53_107
; %bb.102:
	v_mov_b32_e32 v17, 0x7fc00000
	s_mov_b32 s17, exec_lo
	v_cmpx_gt_u64_e32 0x81, v[33:34]
	s_cbranch_execz .LBB53_106
; %bb.103:
	v_dual_add_f32 v55, v55, v55 :: v_dual_mov_b32 v56, 1.0
	v_lshlrev_b64 v[33:34], 1, v[33:34]
	s_mov_b64 s[10:11], 2
	s_mov_b32 s18, 0
	s_delay_alu instid0(VALU_DEP_2)
	v_mov_b32_e32 v17, v55
	.p2align	6
.LBB53_104:                             ; =>This Inner Loop Header: Depth=1
	s_clz_i32_u32 s19, s11
	s_delay_alu instid0(SALU_CYCLE_1) | instskip(NEXT) | instid1(SALU_CYCLE_1)
	s_min_u32 s19, s19, 32
	s_lshl_b64 s[20:21], s[10:11], s19
	s_sub_i32 s19, 32, s19
	s_min_u32 s20, s20, 1
	s_delay_alu instid0(SALU_CYCLE_1) | instskip(SKIP_3) | instid1(SALU_CYCLE_1)
	s_or_b32 s20, s21, s20
	s_add_u32 s10, s10, 2
	v_cvt_f32_u32_e32 v57, s20
	s_addc_u32 s11, s11, 0
	v_cmp_ge_u64_e32 vcc_lo, s[10:11], v[33:34]
	s_delay_alu instid0(VALU_DEP_2) | instskip(SKIP_1) | instid1(VALU_DEP_1)
	v_ldexp_f32 v57, v57, s19
	s_or_b32 s18, vcc_lo, s18
	v_dual_mul_f32 v57, v56, v57 :: v_dual_mov_b32 v56, v17
	s_delay_alu instid0(VALU_DEP_1)
	v_fma_f32 v17, v55, v17, -v57
	s_and_not1_b32 exec_lo, exec_lo, s18
	s_cbranch_execnz .LBB53_104
; %bb.105:
	s_or_b32 exec_lo, exec_lo, s18
.LBB53_106:
	s_delay_alu instid0(SALU_CYCLE_1)
	s_or_b32 exec_lo, exec_lo, s17
                                        ; implicit-def: $vgpr55
.LBB53_107:
	s_and_not1_saveexec_b32 s10, s16
; %bb.108:
	v_add_f32_e32 v17, v55, v55
; %bb.109:
	s_or_b32 exec_lo, exec_lo, s10
.LBB53_110:
	s_delay_alu instid0(SALU_CYCLE_1)
	s_or_b32 exec_lo, exec_lo, s14
.LBB53_111:
	s_delay_alu instid0(SALU_CYCLE_1) | instskip(SKIP_2) | instid1(VALU_DEP_1)
	s_or_b32 exec_lo, exec_lo, s13
	v_trunc_f32_e32 v33, v18
	s_mov_b32 s13, exec_lo
	v_mul_f32_e64 v34, 0x2f800000, |v33|
	s_delay_alu instid0(VALU_DEP_1) | instskip(NEXT) | instid1(VALU_DEP_1)
	v_floor_f32_e32 v34, v34
	v_fma_f32 v55, 0xcf800000, v34, |v33|
	v_ashrrev_i32_e32 v33, 31, v33
	v_cvt_u32_f32_e32 v34, v34
	s_delay_alu instid0(VALU_DEP_3) | instskip(NEXT) | instid1(VALU_DEP_2)
	v_cvt_u32_f32_e32 v55, v55
	v_xor_b32_e32 v34, v34, v33
	s_delay_alu instid0(VALU_DEP_2) | instskip(NEXT) | instid1(VALU_DEP_1)
	v_xor_b32_e32 v55, v55, v33
	v_sub_co_u32 v55, vcc_lo, v55, v33
	s_delay_alu instid0(VALU_DEP_3) | instskip(SKIP_2) | instid1(VALU_DEP_3)
	v_sub_co_ci_u32_e32 v33, vcc_lo, v34, v33, vcc_lo
	v_cmp_class_f32_e64 vcc_lo, v18, 0x1f8
	v_mov_b32_e32 v18, 0
	v_dual_cndmask_b32 v34, -1, v33 :: v_dual_cndmask_b32 v33, -1, v55
	s_delay_alu instid0(VALU_DEP_1)
	v_cmpx_lt_i64_e32 -1, v[33:34]
	s_cbranch_execz .LBB53_123
; %bb.112:
	v_mov_b32_e32 v18, 1.0
	s_mov_b32 s14, exec_lo
	v_cmpx_lt_i64_e32 0, v[33:34]
	s_cbranch_execz .LBB53_122
; %bb.113:
	v_and_b32_e32 v54, 0xffff0000, v54
	s_mov_b32 s10, exec_lo
	v_cmpx_ne_u64_e32 1, v[33:34]
	s_xor_b32 s16, exec_lo, s10
	s_cbranch_execz .LBB53_119
; %bb.114:
	v_mov_b32_e32 v18, 0x7fc00000
	s_mov_b32 s17, exec_lo
	v_cmpx_gt_u64_e32 0x81, v[33:34]
	s_cbranch_execz .LBB53_118
; %bb.115:
	v_dual_add_f32 v54, v54, v54 :: v_dual_mov_b32 v55, 1.0
	v_lshlrev_b64 v[33:34], 1, v[33:34]
	s_mov_b64 s[10:11], 2
	s_mov_b32 s18, 0
	s_delay_alu instid0(VALU_DEP_2)
	v_mov_b32_e32 v18, v54
	.p2align	6
.LBB53_116:                             ; =>This Inner Loop Header: Depth=1
	s_clz_i32_u32 s19, s11
	s_delay_alu instid0(SALU_CYCLE_1) | instskip(NEXT) | instid1(SALU_CYCLE_1)
	s_min_u32 s19, s19, 32
	s_lshl_b64 s[20:21], s[10:11], s19
	s_sub_i32 s19, 32, s19
	s_min_u32 s20, s20, 1
	s_delay_alu instid0(SALU_CYCLE_1) | instskip(SKIP_3) | instid1(SALU_CYCLE_1)
	s_or_b32 s20, s21, s20
	s_add_u32 s10, s10, 2
	v_cvt_f32_u32_e32 v56, s20
	s_addc_u32 s11, s11, 0
	v_cmp_ge_u64_e32 vcc_lo, s[10:11], v[33:34]
	s_delay_alu instid0(VALU_DEP_2) | instskip(SKIP_1) | instid1(VALU_DEP_1)
	v_ldexp_f32 v56, v56, s19
	s_or_b32 s18, vcc_lo, s18
	v_dual_mul_f32 v56, v55, v56 :: v_dual_mov_b32 v55, v18
	s_delay_alu instid0(VALU_DEP_1)
	v_fma_f32 v18, v54, v18, -v56
	s_and_not1_b32 exec_lo, exec_lo, s18
	s_cbranch_execnz .LBB53_116
; %bb.117:
	s_or_b32 exec_lo, exec_lo, s18
.LBB53_118:
	s_delay_alu instid0(SALU_CYCLE_1)
	s_or_b32 exec_lo, exec_lo, s17
                                        ; implicit-def: $vgpr54
.LBB53_119:
	s_and_not1_saveexec_b32 s10, s16
; %bb.120:
	v_add_f32_e32 v18, v54, v54
; %bb.121:
	s_or_b32 exec_lo, exec_lo, s10
.LBB53_122:
	s_delay_alu instid0(SALU_CYCLE_1)
	s_or_b32 exec_lo, exec_lo, s14
.LBB53_123:
	s_delay_alu instid0(SALU_CYCLE_1) | instskip(SKIP_3) | instid1(VALU_DEP_1)
	s_or_b32 exec_lo, exec_lo, s13
	s_waitcnt vmcnt(10)
	v_trunc_f32_e32 v33, v21
	s_mov_b32 s13, exec_lo
	v_mul_f32_e64 v34, 0x2f800000, |v33|
	s_delay_alu instid0(VALU_DEP_1) | instskip(NEXT) | instid1(VALU_DEP_1)
	v_floor_f32_e32 v34, v34
	v_fma_f32 v54, 0xcf800000, v34, |v33|
	v_ashrrev_i32_e32 v33, 31, v33
	v_cvt_u32_f32_e32 v34, v34
	s_delay_alu instid0(VALU_DEP_3) | instskip(NEXT) | instid1(VALU_DEP_2)
	v_cvt_u32_f32_e32 v54, v54
	v_xor_b32_e32 v34, v34, v33
	s_delay_alu instid0(VALU_DEP_2) | instskip(NEXT) | instid1(VALU_DEP_1)
	v_xor_b32_e32 v54, v54, v33
	v_sub_co_u32 v54, vcc_lo, v54, v33
	s_delay_alu instid0(VALU_DEP_3) | instskip(SKIP_1) | instid1(VALU_DEP_2)
	v_sub_co_ci_u32_e32 v33, vcc_lo, v34, v33, vcc_lo
	v_cmp_class_f32_e64 vcc_lo, v21, 0x1f8
	v_dual_mov_b32 v21, 0 :: v_dual_cndmask_b32 v34, -1, v33
	s_delay_alu instid0(VALU_DEP_4) | instskip(NEXT) | instid1(VALU_DEP_1)
	v_cndmask_b32_e32 v33, -1, v54, vcc_lo
	v_cmpx_lt_i64_e32 -1, v[33:34]
	s_cbranch_execz .LBB53_135
; %bb.124:
	v_mov_b32_e32 v21, 1.0
	s_mov_b32 s14, exec_lo
	v_cmpx_lt_i64_e32 0, v[33:34]
	s_cbranch_execz .LBB53_134
; %bb.125:
	v_lshlrev_b32_e32 v54, 16, v53
                                        ; implicit-def: $vgpr21
	s_mov_b32 s10, exec_lo
	v_cmpx_ne_u64_e32 1, v[33:34]
	s_xor_b32 s16, exec_lo, s10
	s_cbranch_execz .LBB53_131
; %bb.126:
	v_mov_b32_e32 v21, 0x7fc00000
	s_mov_b32 s17, exec_lo
	v_cmpx_gt_u64_e32 0x81, v[33:34]
	s_cbranch_execz .LBB53_130
; %bb.127:
	v_dual_add_f32 v54, v54, v54 :: v_dual_mov_b32 v55, 1.0
	v_lshlrev_b64 v[33:34], 1, v[33:34]
	s_mov_b64 s[10:11], 2
	s_mov_b32 s18, 0
	s_delay_alu instid0(VALU_DEP_2)
	v_mov_b32_e32 v21, v54
	.p2align	6
.LBB53_128:                             ; =>This Inner Loop Header: Depth=1
	s_clz_i32_u32 s19, s11
	s_delay_alu instid0(SALU_CYCLE_1) | instskip(NEXT) | instid1(SALU_CYCLE_1)
	s_min_u32 s19, s19, 32
	s_lshl_b64 s[20:21], s[10:11], s19
	s_sub_i32 s19, 32, s19
	s_min_u32 s20, s20, 1
	s_delay_alu instid0(SALU_CYCLE_1) | instskip(SKIP_3) | instid1(SALU_CYCLE_1)
	s_or_b32 s20, s21, s20
	s_add_u32 s10, s10, 2
	v_cvt_f32_u32_e32 v56, s20
	s_addc_u32 s11, s11, 0
	v_cmp_ge_u64_e32 vcc_lo, s[10:11], v[33:34]
	s_delay_alu instid0(VALU_DEP_2) | instskip(SKIP_1) | instid1(VALU_DEP_1)
	v_ldexp_f32 v56, v56, s19
	s_or_b32 s18, vcc_lo, s18
	v_dual_mul_f32 v56, v55, v56 :: v_dual_mov_b32 v55, v21
	s_delay_alu instid0(VALU_DEP_1)
	v_fma_f32 v21, v54, v21, -v56
	s_and_not1_b32 exec_lo, exec_lo, s18
	s_cbranch_execnz .LBB53_128
; %bb.129:
	s_or_b32 exec_lo, exec_lo, s18
.LBB53_130:
	s_delay_alu instid0(SALU_CYCLE_1)
	s_or_b32 exec_lo, exec_lo, s17
                                        ; implicit-def: $vgpr54
.LBB53_131:
	s_and_not1_saveexec_b32 s10, s16
; %bb.132:
	v_add_f32_e32 v21, v54, v54
; %bb.133:
	s_or_b32 exec_lo, exec_lo, s10
.LBB53_134:
	s_delay_alu instid0(SALU_CYCLE_1)
	s_or_b32 exec_lo, exec_lo, s14
.LBB53_135:
	s_delay_alu instid0(SALU_CYCLE_1) | instskip(SKIP_2) | instid1(VALU_DEP_1)
	s_or_b32 exec_lo, exec_lo, s13
	v_trunc_f32_e32 v33, v22
	s_mov_b32 s13, exec_lo
	v_mul_f32_e64 v34, 0x2f800000, |v33|
	s_delay_alu instid0(VALU_DEP_1) | instskip(NEXT) | instid1(VALU_DEP_1)
	v_floor_f32_e32 v34, v34
	v_fma_f32 v54, 0xcf800000, v34, |v33|
	v_ashrrev_i32_e32 v33, 31, v33
	v_cvt_u32_f32_e32 v34, v34
	s_delay_alu instid0(VALU_DEP_3) | instskip(NEXT) | instid1(VALU_DEP_2)
	v_cvt_u32_f32_e32 v54, v54
	v_xor_b32_e32 v34, v34, v33
	s_delay_alu instid0(VALU_DEP_2) | instskip(NEXT) | instid1(VALU_DEP_1)
	v_xor_b32_e32 v54, v54, v33
	v_sub_co_u32 v54, vcc_lo, v54, v33
	s_delay_alu instid0(VALU_DEP_3) | instskip(SKIP_2) | instid1(VALU_DEP_3)
	v_sub_co_ci_u32_e32 v33, vcc_lo, v34, v33, vcc_lo
	v_cmp_class_f32_e64 vcc_lo, v22, 0x1f8
	v_mov_b32_e32 v22, 0
	v_dual_cndmask_b32 v34, -1, v33 :: v_dual_cndmask_b32 v33, -1, v54
	s_delay_alu instid0(VALU_DEP_1)
	v_cmpx_lt_i64_e32 -1, v[33:34]
	s_cbranch_execz .LBB53_147
; %bb.136:
	v_mov_b32_e32 v22, 1.0
	s_mov_b32 s14, exec_lo
	v_cmpx_lt_i64_e32 0, v[33:34]
	s_cbranch_execz .LBB53_146
; %bb.137:
	v_and_b32_e32 v53, 0xffff0000, v53
	s_mov_b32 s10, exec_lo
	v_cmpx_ne_u64_e32 1, v[33:34]
	s_xor_b32 s16, exec_lo, s10
	s_cbranch_execz .LBB53_143
; %bb.138:
	v_mov_b32_e32 v22, 0x7fc00000
	s_mov_b32 s17, exec_lo
	v_cmpx_gt_u64_e32 0x81, v[33:34]
	s_cbranch_execz .LBB53_142
; %bb.139:
	v_dual_add_f32 v53, v53, v53 :: v_dual_mov_b32 v54, 1.0
	v_lshlrev_b64 v[33:34], 1, v[33:34]
	s_mov_b64 s[10:11], 2
	s_mov_b32 s18, 0
	s_delay_alu instid0(VALU_DEP_2)
	v_mov_b32_e32 v22, v53
	.p2align	6
.LBB53_140:                             ; =>This Inner Loop Header: Depth=1
	s_clz_i32_u32 s19, s11
	s_delay_alu instid0(SALU_CYCLE_1) | instskip(NEXT) | instid1(SALU_CYCLE_1)
	s_min_u32 s19, s19, 32
	s_lshl_b64 s[20:21], s[10:11], s19
	s_sub_i32 s19, 32, s19
	s_min_u32 s20, s20, 1
	s_delay_alu instid0(SALU_CYCLE_1) | instskip(SKIP_3) | instid1(SALU_CYCLE_1)
	s_or_b32 s20, s21, s20
	s_add_u32 s10, s10, 2
	v_cvt_f32_u32_e32 v55, s20
	s_addc_u32 s11, s11, 0
	v_cmp_ge_u64_e32 vcc_lo, s[10:11], v[33:34]
	s_delay_alu instid0(VALU_DEP_2) | instskip(SKIP_1) | instid1(VALU_DEP_1)
	v_ldexp_f32 v55, v55, s19
	s_or_b32 s18, vcc_lo, s18
	v_mul_f32_e32 v55, v54, v55
	v_mov_b32_e32 v54, v22
	s_delay_alu instid0(VALU_DEP_2)
	v_fma_f32 v22, v53, v22, -v55
	s_and_not1_b32 exec_lo, exec_lo, s18
	s_cbranch_execnz .LBB53_140
; %bb.141:
	s_or_b32 exec_lo, exec_lo, s18
.LBB53_142:
	s_delay_alu instid0(SALU_CYCLE_1)
	s_or_b32 exec_lo, exec_lo, s17
                                        ; implicit-def: $vgpr53
.LBB53_143:
	s_and_not1_saveexec_b32 s10, s16
; %bb.144:
	v_add_f32_e32 v22, v53, v53
; %bb.145:
	s_or_b32 exec_lo, exec_lo, s10
.LBB53_146:
	s_delay_alu instid0(SALU_CYCLE_1)
	s_or_b32 exec_lo, exec_lo, s14
.LBB53_147:
	s_delay_alu instid0(SALU_CYCLE_1) | instskip(SKIP_3) | instid1(VALU_DEP_1)
	s_or_b32 exec_lo, exec_lo, s13
	s_waitcnt vmcnt(9)
	v_trunc_f32_e32 v33, v25
	s_mov_b32 s13, exec_lo
	v_mul_f32_e64 v34, 0x2f800000, |v33|
	s_delay_alu instid0(VALU_DEP_1) | instskip(NEXT) | instid1(VALU_DEP_1)
	v_floor_f32_e32 v34, v34
	v_fma_f32 v53, 0xcf800000, v34, |v33|
	v_ashrrev_i32_e32 v33, 31, v33
	v_cvt_u32_f32_e32 v34, v34
	s_delay_alu instid0(VALU_DEP_3) | instskip(NEXT) | instid1(VALU_DEP_2)
	v_cvt_u32_f32_e32 v53, v53
	v_xor_b32_e32 v34, v34, v33
	s_delay_alu instid0(VALU_DEP_2) | instskip(NEXT) | instid1(VALU_DEP_1)
	v_xor_b32_e32 v53, v53, v33
	v_sub_co_u32 v53, vcc_lo, v53, v33
	s_delay_alu instid0(VALU_DEP_3) | instskip(SKIP_1) | instid1(VALU_DEP_2)
	v_sub_co_ci_u32_e32 v33, vcc_lo, v34, v33, vcc_lo
	v_cmp_class_f32_e64 vcc_lo, v25, 0x1f8
	v_dual_mov_b32 v25, 0 :: v_dual_cndmask_b32 v34, -1, v33
	s_delay_alu instid0(VALU_DEP_4) | instskip(NEXT) | instid1(VALU_DEP_1)
	v_cndmask_b32_e32 v33, -1, v53, vcc_lo
	v_cmpx_lt_i64_e32 -1, v[33:34]
	s_cbranch_execz .LBB53_159
; %bb.148:
	v_mov_b32_e32 v25, 1.0
	s_mov_b32 s14, exec_lo
	v_cmpx_lt_i64_e32 0, v[33:34]
	s_cbranch_execz .LBB53_158
; %bb.149:
	v_lshlrev_b32_e32 v53, 16, v52
                                        ; implicit-def: $vgpr25
	s_mov_b32 s10, exec_lo
	v_cmpx_ne_u64_e32 1, v[33:34]
	s_xor_b32 s16, exec_lo, s10
	s_cbranch_execz .LBB53_155
; %bb.150:
	v_mov_b32_e32 v25, 0x7fc00000
	s_mov_b32 s17, exec_lo
	v_cmpx_gt_u64_e32 0x81, v[33:34]
	s_cbranch_execz .LBB53_154
; %bb.151:
	v_dual_add_f32 v53, v53, v53 :: v_dual_mov_b32 v54, 1.0
	v_lshlrev_b64 v[33:34], 1, v[33:34]
	s_mov_b64 s[10:11], 2
	s_mov_b32 s18, 0
	s_delay_alu instid0(VALU_DEP_2)
	v_mov_b32_e32 v25, v53
	.p2align	6
.LBB53_152:                             ; =>This Inner Loop Header: Depth=1
	s_clz_i32_u32 s19, s11
	s_delay_alu instid0(SALU_CYCLE_1) | instskip(NEXT) | instid1(SALU_CYCLE_1)
	s_min_u32 s19, s19, 32
	s_lshl_b64 s[20:21], s[10:11], s19
	s_sub_i32 s19, 32, s19
	s_min_u32 s20, s20, 1
	s_delay_alu instid0(SALU_CYCLE_1) | instskip(SKIP_3) | instid1(SALU_CYCLE_1)
	s_or_b32 s20, s21, s20
	s_add_u32 s10, s10, 2
	v_cvt_f32_u32_e32 v55, s20
	s_addc_u32 s11, s11, 0
	v_cmp_ge_u64_e32 vcc_lo, s[10:11], v[33:34]
	s_delay_alu instid0(VALU_DEP_2) | instskip(SKIP_1) | instid1(VALU_DEP_1)
	v_ldexp_f32 v55, v55, s19
	s_or_b32 s18, vcc_lo, s18
	v_dual_mul_f32 v55, v54, v55 :: v_dual_mov_b32 v54, v25
	s_delay_alu instid0(VALU_DEP_1)
	v_fma_f32 v25, v53, v25, -v55
	s_and_not1_b32 exec_lo, exec_lo, s18
	s_cbranch_execnz .LBB53_152
; %bb.153:
	s_or_b32 exec_lo, exec_lo, s18
.LBB53_154:
	s_delay_alu instid0(SALU_CYCLE_1)
	s_or_b32 exec_lo, exec_lo, s17
                                        ; implicit-def: $vgpr53
.LBB53_155:
	s_and_not1_saveexec_b32 s10, s16
; %bb.156:
	v_add_f32_e32 v25, v53, v53
; %bb.157:
	s_or_b32 exec_lo, exec_lo, s10
.LBB53_158:
	s_delay_alu instid0(SALU_CYCLE_1)
	s_or_b32 exec_lo, exec_lo, s14
.LBB53_159:
	s_delay_alu instid0(SALU_CYCLE_1) | instskip(SKIP_2) | instid1(VALU_DEP_1)
	s_or_b32 exec_lo, exec_lo, s13
	v_trunc_f32_e32 v33, v26
	s_mov_b32 s13, exec_lo
	v_mul_f32_e64 v34, 0x2f800000, |v33|
	s_delay_alu instid0(VALU_DEP_1) | instskip(NEXT) | instid1(VALU_DEP_1)
	v_floor_f32_e32 v34, v34
	v_fma_f32 v53, 0xcf800000, v34, |v33|
	v_ashrrev_i32_e32 v33, 31, v33
	v_cvt_u32_f32_e32 v34, v34
	s_delay_alu instid0(VALU_DEP_3) | instskip(NEXT) | instid1(VALU_DEP_2)
	v_cvt_u32_f32_e32 v53, v53
	v_xor_b32_e32 v34, v34, v33
	s_delay_alu instid0(VALU_DEP_2) | instskip(NEXT) | instid1(VALU_DEP_1)
	v_xor_b32_e32 v53, v53, v33
	v_sub_co_u32 v53, vcc_lo, v53, v33
	s_delay_alu instid0(VALU_DEP_3) | instskip(SKIP_2) | instid1(VALU_DEP_3)
	v_sub_co_ci_u32_e32 v33, vcc_lo, v34, v33, vcc_lo
	v_cmp_class_f32_e64 vcc_lo, v26, 0x1f8
	v_mov_b32_e32 v26, 0
	v_cndmask_b32_e32 v34, -1, v33, vcc_lo
	v_cndmask_b32_e32 v33, -1, v53, vcc_lo
	s_delay_alu instid0(VALU_DEP_1)
	v_cmpx_lt_i64_e32 -1, v[33:34]
	s_cbranch_execz .LBB53_171
; %bb.160:
	v_mov_b32_e32 v26, 1.0
	s_mov_b32 s14, exec_lo
	v_cmpx_lt_i64_e32 0, v[33:34]
	s_cbranch_execz .LBB53_170
; %bb.161:
	v_and_b32_e32 v52, 0xffff0000, v52
	s_mov_b32 s10, exec_lo
	v_cmpx_ne_u64_e32 1, v[33:34]
	s_xor_b32 s16, exec_lo, s10
	s_cbranch_execz .LBB53_167
; %bb.162:
	v_mov_b32_e32 v26, 0x7fc00000
	s_mov_b32 s17, exec_lo
	v_cmpx_gt_u64_e32 0x81, v[33:34]
	s_cbranch_execz .LBB53_166
; %bb.163:
	v_dual_add_f32 v52, v52, v52 :: v_dual_mov_b32 v53, 1.0
	v_lshlrev_b64 v[33:34], 1, v[33:34]
	s_mov_b64 s[10:11], 2
	s_mov_b32 s18, 0
	s_delay_alu instid0(VALU_DEP_2)
	v_mov_b32_e32 v26, v52
	.p2align	6
.LBB53_164:                             ; =>This Inner Loop Header: Depth=1
	s_clz_i32_u32 s19, s11
	s_delay_alu instid0(SALU_CYCLE_1) | instskip(NEXT) | instid1(SALU_CYCLE_1)
	s_min_u32 s19, s19, 32
	s_lshl_b64 s[20:21], s[10:11], s19
	s_sub_i32 s19, 32, s19
	s_min_u32 s20, s20, 1
	s_delay_alu instid0(SALU_CYCLE_1) | instskip(SKIP_3) | instid1(SALU_CYCLE_1)
	s_or_b32 s20, s21, s20
	s_add_u32 s10, s10, 2
	v_cvt_f32_u32_e32 v54, s20
	s_addc_u32 s11, s11, 0
	v_cmp_ge_u64_e32 vcc_lo, s[10:11], v[33:34]
	s_delay_alu instid0(VALU_DEP_2) | instskip(SKIP_1) | instid1(VALU_DEP_1)
	v_ldexp_f32 v54, v54, s19
	s_or_b32 s18, vcc_lo, s18
	v_dual_mul_f32 v54, v53, v54 :: v_dual_mov_b32 v53, v26
	s_delay_alu instid0(VALU_DEP_1)
	v_fma_f32 v26, v52, v26, -v54
	s_and_not1_b32 exec_lo, exec_lo, s18
	s_cbranch_execnz .LBB53_164
; %bb.165:
	s_or_b32 exec_lo, exec_lo, s18
.LBB53_166:
	s_delay_alu instid0(SALU_CYCLE_1)
	s_or_b32 exec_lo, exec_lo, s17
                                        ; implicit-def: $vgpr52
.LBB53_167:
	s_and_not1_saveexec_b32 s10, s16
; %bb.168:
	v_add_f32_e32 v26, v52, v52
; %bb.169:
	s_or_b32 exec_lo, exec_lo, s10
.LBB53_170:
	s_delay_alu instid0(SALU_CYCLE_1)
	s_or_b32 exec_lo, exec_lo, s14
.LBB53_171:
	s_delay_alu instid0(SALU_CYCLE_1) | instskip(SKIP_3) | instid1(VALU_DEP_1)
	s_or_b32 exec_lo, exec_lo, s13
	s_waitcnt vmcnt(8)
	v_trunc_f32_e32 v33, v29
	s_mov_b32 s13, exec_lo
	v_mul_f32_e64 v34, 0x2f800000, |v33|
	s_delay_alu instid0(VALU_DEP_1) | instskip(NEXT) | instid1(VALU_DEP_1)
	v_floor_f32_e32 v34, v34
	v_fma_f32 v52, 0xcf800000, v34, |v33|
	v_ashrrev_i32_e32 v33, 31, v33
	v_cvt_u32_f32_e32 v34, v34
	s_delay_alu instid0(VALU_DEP_3) | instskip(NEXT) | instid1(VALU_DEP_2)
	v_cvt_u32_f32_e32 v52, v52
	v_xor_b32_e32 v34, v34, v33
	s_delay_alu instid0(VALU_DEP_2) | instskip(NEXT) | instid1(VALU_DEP_1)
	v_xor_b32_e32 v52, v52, v33
	v_sub_co_u32 v52, vcc_lo, v52, v33
	s_delay_alu instid0(VALU_DEP_3) | instskip(SKIP_1) | instid1(VALU_DEP_2)
	v_sub_co_ci_u32_e32 v33, vcc_lo, v34, v33, vcc_lo
	v_cmp_class_f32_e64 vcc_lo, v29, 0x1f8
	v_dual_mov_b32 v29, 0 :: v_dual_cndmask_b32 v34, -1, v33
	s_delay_alu instid0(VALU_DEP_4) | instskip(NEXT) | instid1(VALU_DEP_1)
	v_cndmask_b32_e32 v33, -1, v52, vcc_lo
	v_cmpx_lt_i64_e32 -1, v[33:34]
	s_cbranch_execz .LBB53_183
; %bb.172:
	v_mov_b32_e32 v29, 1.0
	s_mov_b32 s14, exec_lo
	v_cmpx_lt_i64_e32 0, v[33:34]
	s_cbranch_execz .LBB53_182
; %bb.173:
	v_lshlrev_b32_e32 v52, 16, v51
                                        ; implicit-def: $vgpr29
	s_mov_b32 s10, exec_lo
	v_cmpx_ne_u64_e32 1, v[33:34]
	s_xor_b32 s16, exec_lo, s10
	s_cbranch_execz .LBB53_179
; %bb.174:
	v_mov_b32_e32 v29, 0x7fc00000
	s_mov_b32 s17, exec_lo
	v_cmpx_gt_u64_e32 0x81, v[33:34]
	s_cbranch_execz .LBB53_178
; %bb.175:
	v_dual_add_f32 v52, v52, v52 :: v_dual_mov_b32 v53, 1.0
	v_lshlrev_b64 v[33:34], 1, v[33:34]
	s_mov_b64 s[10:11], 2
	s_mov_b32 s18, 0
	s_delay_alu instid0(VALU_DEP_2)
	v_mov_b32_e32 v29, v52
	.p2align	6
.LBB53_176:                             ; =>This Inner Loop Header: Depth=1
	s_clz_i32_u32 s19, s11
	s_delay_alu instid0(SALU_CYCLE_1) | instskip(NEXT) | instid1(SALU_CYCLE_1)
	s_min_u32 s19, s19, 32
	s_lshl_b64 s[20:21], s[10:11], s19
	s_sub_i32 s19, 32, s19
	s_min_u32 s20, s20, 1
	s_delay_alu instid0(SALU_CYCLE_1) | instskip(SKIP_3) | instid1(SALU_CYCLE_1)
	s_or_b32 s20, s21, s20
	s_add_u32 s10, s10, 2
	v_cvt_f32_u32_e32 v54, s20
	s_addc_u32 s11, s11, 0
	v_cmp_ge_u64_e32 vcc_lo, s[10:11], v[33:34]
	s_delay_alu instid0(VALU_DEP_2) | instskip(SKIP_1) | instid1(VALU_DEP_1)
	v_ldexp_f32 v54, v54, s19
	s_or_b32 s18, vcc_lo, s18
	v_mul_f32_e32 v54, v53, v54
	v_mov_b32_e32 v53, v29
	s_delay_alu instid0(VALU_DEP_2)
	v_fma_f32 v29, v52, v29, -v54
	s_and_not1_b32 exec_lo, exec_lo, s18
	s_cbranch_execnz .LBB53_176
; %bb.177:
	s_or_b32 exec_lo, exec_lo, s18
.LBB53_178:
	s_delay_alu instid0(SALU_CYCLE_1)
	s_or_b32 exec_lo, exec_lo, s17
                                        ; implicit-def: $vgpr52
.LBB53_179:
	s_and_not1_saveexec_b32 s10, s16
; %bb.180:
	v_add_f32_e32 v29, v52, v52
; %bb.181:
	s_or_b32 exec_lo, exec_lo, s10
.LBB53_182:
	s_delay_alu instid0(SALU_CYCLE_1)
	s_or_b32 exec_lo, exec_lo, s14
.LBB53_183:
	s_delay_alu instid0(SALU_CYCLE_1) | instskip(SKIP_2) | instid1(VALU_DEP_1)
	s_or_b32 exec_lo, exec_lo, s13
	v_trunc_f32_e32 v33, v30
	s_mov_b32 s13, exec_lo
	v_mul_f32_e64 v34, 0x2f800000, |v33|
	s_delay_alu instid0(VALU_DEP_1) | instskip(NEXT) | instid1(VALU_DEP_1)
	v_floor_f32_e32 v34, v34
	v_fma_f32 v52, 0xcf800000, v34, |v33|
	v_ashrrev_i32_e32 v33, 31, v33
	v_cvt_u32_f32_e32 v34, v34
	s_delay_alu instid0(VALU_DEP_3) | instskip(NEXT) | instid1(VALU_DEP_2)
	v_cvt_u32_f32_e32 v52, v52
	v_xor_b32_e32 v34, v34, v33
	s_delay_alu instid0(VALU_DEP_2) | instskip(NEXT) | instid1(VALU_DEP_1)
	v_xor_b32_e32 v52, v52, v33
	v_sub_co_u32 v52, vcc_lo, v52, v33
	s_delay_alu instid0(VALU_DEP_3) | instskip(SKIP_2) | instid1(VALU_DEP_3)
	v_sub_co_ci_u32_e32 v33, vcc_lo, v34, v33, vcc_lo
	v_cmp_class_f32_e64 vcc_lo, v30, 0x1f8
	v_mov_b32_e32 v30, 0
	v_dual_cndmask_b32 v34, -1, v33 :: v_dual_cndmask_b32 v33, -1, v52
	s_delay_alu instid0(VALU_DEP_1)
	v_cmpx_lt_i64_e32 -1, v[33:34]
	s_cbranch_execz .LBB53_195
; %bb.184:
	v_mov_b32_e32 v30, 1.0
	s_mov_b32 s14, exec_lo
	v_cmpx_lt_i64_e32 0, v[33:34]
	s_cbranch_execz .LBB53_194
; %bb.185:
	v_and_b32_e32 v51, 0xffff0000, v51
	s_mov_b32 s10, exec_lo
	v_cmpx_ne_u64_e32 1, v[33:34]
	s_xor_b32 s16, exec_lo, s10
	s_cbranch_execz .LBB53_191
; %bb.186:
	v_mov_b32_e32 v30, 0x7fc00000
	s_mov_b32 s17, exec_lo
	v_cmpx_gt_u64_e32 0x81, v[33:34]
	s_cbranch_execz .LBB53_190
; %bb.187:
	v_dual_add_f32 v51, v51, v51 :: v_dual_mov_b32 v52, 1.0
	v_lshlrev_b64 v[33:34], 1, v[33:34]
	s_mov_b64 s[10:11], 2
	s_mov_b32 s18, 0
	s_delay_alu instid0(VALU_DEP_2)
	v_mov_b32_e32 v30, v51
	.p2align	6
.LBB53_188:                             ; =>This Inner Loop Header: Depth=1
	s_clz_i32_u32 s19, s11
	s_delay_alu instid0(SALU_CYCLE_1) | instskip(NEXT) | instid1(SALU_CYCLE_1)
	s_min_u32 s19, s19, 32
	s_lshl_b64 s[20:21], s[10:11], s19
	s_sub_i32 s19, 32, s19
	s_min_u32 s20, s20, 1
	s_delay_alu instid0(SALU_CYCLE_1) | instskip(SKIP_3) | instid1(SALU_CYCLE_1)
	s_or_b32 s20, s21, s20
	s_add_u32 s10, s10, 2
	v_cvt_f32_u32_e32 v53, s20
	s_addc_u32 s11, s11, 0
	v_cmp_ge_u64_e32 vcc_lo, s[10:11], v[33:34]
	s_delay_alu instid0(VALU_DEP_2) | instskip(SKIP_1) | instid1(VALU_DEP_1)
	v_ldexp_f32 v53, v53, s19
	s_or_b32 s18, vcc_lo, s18
	v_dual_mul_f32 v53, v52, v53 :: v_dual_mov_b32 v52, v30
	s_delay_alu instid0(VALU_DEP_1)
	v_fma_f32 v30, v51, v30, -v53
	s_and_not1_b32 exec_lo, exec_lo, s18
	s_cbranch_execnz .LBB53_188
; %bb.189:
	s_or_b32 exec_lo, exec_lo, s18
.LBB53_190:
	s_delay_alu instid0(SALU_CYCLE_1)
	s_or_b32 exec_lo, exec_lo, s17
                                        ; implicit-def: $vgpr51
.LBB53_191:
	s_and_not1_saveexec_b32 s10, s16
; %bb.192:
	v_add_f32_e32 v30, v51, v51
; %bb.193:
	s_or_b32 exec_lo, exec_lo, s10
.LBB53_194:
	s_delay_alu instid0(SALU_CYCLE_1)
	s_or_b32 exec_lo, exec_lo, s14
.LBB53_195:
	s_delay_alu instid0(SALU_CYCLE_1) | instskip(SKIP_3) | instid1(VALU_DEP_1)
	s_or_b32 exec_lo, exec_lo, s13
	s_waitcnt vmcnt(7)
	v_trunc_f32_e32 v33, v31
	s_mov_b32 s13, exec_lo
	v_mul_f32_e64 v34, 0x2f800000, |v33|
	s_delay_alu instid0(VALU_DEP_1) | instskip(NEXT) | instid1(VALU_DEP_1)
	v_floor_f32_e32 v34, v34
	v_fma_f32 v51, 0xcf800000, v34, |v33|
	v_ashrrev_i32_e32 v33, 31, v33
	v_cvt_u32_f32_e32 v34, v34
	s_delay_alu instid0(VALU_DEP_3) | instskip(NEXT) | instid1(VALU_DEP_2)
	v_cvt_u32_f32_e32 v51, v51
	v_xor_b32_e32 v34, v34, v33
	s_delay_alu instid0(VALU_DEP_2) | instskip(NEXT) | instid1(VALU_DEP_1)
	v_xor_b32_e32 v51, v51, v33
	v_sub_co_u32 v51, vcc_lo, v51, v33
	s_delay_alu instid0(VALU_DEP_3) | instskip(SKIP_1) | instid1(VALU_DEP_2)
	v_sub_co_ci_u32_e32 v33, vcc_lo, v34, v33, vcc_lo
	v_cmp_class_f32_e64 vcc_lo, v31, 0x1f8
	v_dual_mov_b32 v31, 0 :: v_dual_cndmask_b32 v34, -1, v33
	s_delay_alu instid0(VALU_DEP_4) | instskip(NEXT) | instid1(VALU_DEP_1)
	v_cndmask_b32_e32 v33, -1, v51, vcc_lo
	v_cmpx_lt_i64_e32 -1, v[33:34]
	s_cbranch_execz .LBB53_207
; %bb.196:
	v_mov_b32_e32 v31, 1.0
	s_mov_b32 s14, exec_lo
	v_cmpx_lt_i64_e32 0, v[33:34]
	s_cbranch_execz .LBB53_206
; %bb.197:
	v_lshlrev_b32_e32 v51, 16, v50
                                        ; implicit-def: $vgpr31
	s_mov_b32 s10, exec_lo
	v_cmpx_ne_u64_e32 1, v[33:34]
	s_xor_b32 s16, exec_lo, s10
	s_cbranch_execz .LBB53_203
; %bb.198:
	v_mov_b32_e32 v31, 0x7fc00000
	s_mov_b32 s17, exec_lo
	v_cmpx_gt_u64_e32 0x81, v[33:34]
	s_cbranch_execz .LBB53_202
; %bb.199:
	v_dual_add_f32 v51, v51, v51 :: v_dual_mov_b32 v52, 1.0
	v_lshlrev_b64 v[33:34], 1, v[33:34]
	s_mov_b64 s[10:11], 2
	s_mov_b32 s18, 0
	s_delay_alu instid0(VALU_DEP_2)
	v_mov_b32_e32 v31, v51
	.p2align	6
.LBB53_200:                             ; =>This Inner Loop Header: Depth=1
	s_clz_i32_u32 s19, s11
	s_delay_alu instid0(SALU_CYCLE_1) | instskip(NEXT) | instid1(SALU_CYCLE_1)
	s_min_u32 s19, s19, 32
	s_lshl_b64 s[20:21], s[10:11], s19
	s_sub_i32 s19, 32, s19
	s_min_u32 s20, s20, 1
	s_delay_alu instid0(SALU_CYCLE_1) | instskip(SKIP_3) | instid1(SALU_CYCLE_1)
	s_or_b32 s20, s21, s20
	s_add_u32 s10, s10, 2
	v_cvt_f32_u32_e32 v53, s20
	s_addc_u32 s11, s11, 0
	v_cmp_ge_u64_e32 vcc_lo, s[10:11], v[33:34]
	s_delay_alu instid0(VALU_DEP_2) | instskip(SKIP_1) | instid1(VALU_DEP_1)
	v_ldexp_f32 v53, v53, s19
	s_or_b32 s18, vcc_lo, s18
	v_dual_mul_f32 v53, v52, v53 :: v_dual_mov_b32 v52, v31
	s_delay_alu instid0(VALU_DEP_1)
	v_fma_f32 v31, v51, v31, -v53
	s_and_not1_b32 exec_lo, exec_lo, s18
	s_cbranch_execnz .LBB53_200
; %bb.201:
	s_or_b32 exec_lo, exec_lo, s18
.LBB53_202:
	s_delay_alu instid0(SALU_CYCLE_1)
	s_or_b32 exec_lo, exec_lo, s17
                                        ; implicit-def: $vgpr51
.LBB53_203:
	s_and_not1_saveexec_b32 s10, s16
; %bb.204:
	v_add_f32_e32 v31, v51, v51
; %bb.205:
	s_or_b32 exec_lo, exec_lo, s10
.LBB53_206:
	s_delay_alu instid0(SALU_CYCLE_1)
	s_or_b32 exec_lo, exec_lo, s14
.LBB53_207:
	s_delay_alu instid0(SALU_CYCLE_1) | instskip(SKIP_2) | instid1(VALU_DEP_1)
	s_or_b32 exec_lo, exec_lo, s13
	v_trunc_f32_e32 v33, v32
	s_mov_b32 s13, exec_lo
	v_mul_f32_e64 v34, 0x2f800000, |v33|
	s_delay_alu instid0(VALU_DEP_1) | instskip(NEXT) | instid1(VALU_DEP_1)
	v_floor_f32_e32 v34, v34
	v_fma_f32 v51, 0xcf800000, v34, |v33|
	v_ashrrev_i32_e32 v33, 31, v33
	v_cvt_u32_f32_e32 v34, v34
	s_delay_alu instid0(VALU_DEP_3) | instskip(NEXT) | instid1(VALU_DEP_2)
	v_cvt_u32_f32_e32 v51, v51
	v_xor_b32_e32 v34, v34, v33
	s_delay_alu instid0(VALU_DEP_2) | instskip(NEXT) | instid1(VALU_DEP_1)
	v_xor_b32_e32 v51, v51, v33
	v_sub_co_u32 v51, vcc_lo, v51, v33
	s_delay_alu instid0(VALU_DEP_3) | instskip(SKIP_2) | instid1(VALU_DEP_3)
	v_sub_co_ci_u32_e32 v33, vcc_lo, v34, v33, vcc_lo
	v_cmp_class_f32_e64 vcc_lo, v32, 0x1f8
	v_mov_b32_e32 v32, 0
	v_dual_cndmask_b32 v34, -1, v33 :: v_dual_cndmask_b32 v33, -1, v51
	s_delay_alu instid0(VALU_DEP_1)
	v_cmpx_lt_i64_e32 -1, v[33:34]
	s_cbranch_execz .LBB53_219
; %bb.208:
	v_mov_b32_e32 v32, 1.0
	s_mov_b32 s14, exec_lo
	v_cmpx_lt_i64_e32 0, v[33:34]
	s_cbranch_execz .LBB53_218
; %bb.209:
	v_and_b32_e32 v50, 0xffff0000, v50
	s_mov_b32 s10, exec_lo
	v_cmpx_ne_u64_e32 1, v[33:34]
	s_xor_b32 s16, exec_lo, s10
	s_cbranch_execz .LBB53_215
; %bb.210:
	v_mov_b32_e32 v32, 0x7fc00000
	s_mov_b32 s17, exec_lo
	v_cmpx_gt_u64_e32 0x81, v[33:34]
	s_cbranch_execz .LBB53_214
; %bb.211:
	v_dual_add_f32 v50, v50, v50 :: v_dual_mov_b32 v51, 1.0
	v_lshlrev_b64 v[33:34], 1, v[33:34]
	s_mov_b64 s[10:11], 2
	s_mov_b32 s18, 0
	s_delay_alu instid0(VALU_DEP_2)
	v_mov_b32_e32 v32, v50
	.p2align	6
.LBB53_212:                             ; =>This Inner Loop Header: Depth=1
	s_clz_i32_u32 s19, s11
	s_delay_alu instid0(SALU_CYCLE_1) | instskip(NEXT) | instid1(SALU_CYCLE_1)
	s_min_u32 s19, s19, 32
	s_lshl_b64 s[20:21], s[10:11], s19
	s_sub_i32 s19, 32, s19
	s_min_u32 s20, s20, 1
	s_delay_alu instid0(SALU_CYCLE_1) | instskip(SKIP_3) | instid1(SALU_CYCLE_1)
	s_or_b32 s20, s21, s20
	s_add_u32 s10, s10, 2
	v_cvt_f32_u32_e32 v52, s20
	s_addc_u32 s11, s11, 0
	v_cmp_ge_u64_e32 vcc_lo, s[10:11], v[33:34]
	s_delay_alu instid0(VALU_DEP_2) | instskip(SKIP_1) | instid1(VALU_DEP_1)
	v_ldexp_f32 v52, v52, s19
	s_or_b32 s18, vcc_lo, s18
	v_dual_mul_f32 v52, v51, v52 :: v_dual_mov_b32 v51, v32
	s_delay_alu instid0(VALU_DEP_1)
	v_fma_f32 v32, v50, v32, -v52
	s_and_not1_b32 exec_lo, exec_lo, s18
	s_cbranch_execnz .LBB53_212
; %bb.213:
	s_or_b32 exec_lo, exec_lo, s18
.LBB53_214:
	s_delay_alu instid0(SALU_CYCLE_1)
	s_or_b32 exec_lo, exec_lo, s17
                                        ; implicit-def: $vgpr50
.LBB53_215:
	s_and_not1_saveexec_b32 s10, s16
; %bb.216:
	v_add_f32_e32 v32, v50, v50
; %bb.217:
	s_or_b32 exec_lo, exec_lo, s10
.LBB53_218:
	s_delay_alu instid0(SALU_CYCLE_1)
	s_or_b32 exec_lo, exec_lo, s14
.LBB53_219:
	s_delay_alu instid0(SALU_CYCLE_1) | instskip(SKIP_3) | instid1(VALU_DEP_1)
	s_or_b32 exec_lo, exec_lo, s13
	s_waitcnt vmcnt(6)
	v_trunc_f32_e32 v33, v27
	s_mov_b32 s13, exec_lo
	v_mul_f32_e64 v34, 0x2f800000, |v33|
	s_delay_alu instid0(VALU_DEP_1) | instskip(NEXT) | instid1(VALU_DEP_1)
	v_floor_f32_e32 v34, v34
	v_fma_f32 v50, 0xcf800000, v34, |v33|
	v_ashrrev_i32_e32 v33, 31, v33
	v_cvt_u32_f32_e32 v34, v34
	s_delay_alu instid0(VALU_DEP_3) | instskip(NEXT) | instid1(VALU_DEP_2)
	v_cvt_u32_f32_e32 v50, v50
	v_xor_b32_e32 v34, v34, v33
	s_delay_alu instid0(VALU_DEP_2) | instskip(NEXT) | instid1(VALU_DEP_1)
	v_xor_b32_e32 v50, v50, v33
	v_sub_co_u32 v50, vcc_lo, v50, v33
	s_delay_alu instid0(VALU_DEP_3) | instskip(SKIP_1) | instid1(VALU_DEP_2)
	v_sub_co_ci_u32_e32 v33, vcc_lo, v34, v33, vcc_lo
	v_cmp_class_f32_e64 vcc_lo, v27, 0x1f8
	v_dual_mov_b32 v27, 0 :: v_dual_cndmask_b32 v34, -1, v33
	s_delay_alu instid0(VALU_DEP_4) | instskip(NEXT) | instid1(VALU_DEP_1)
	v_cndmask_b32_e32 v33, -1, v50, vcc_lo
	v_cmpx_lt_i64_e32 -1, v[33:34]
	s_cbranch_execz .LBB53_231
; %bb.220:
	v_mov_b32_e32 v27, 1.0
	s_mov_b32 s14, exec_lo
	v_cmpx_lt_i64_e32 0, v[33:34]
	s_cbranch_execz .LBB53_230
; %bb.221:
	v_lshlrev_b32_e32 v50, 16, v49
                                        ; implicit-def: $vgpr27
	s_mov_b32 s10, exec_lo
	v_cmpx_ne_u64_e32 1, v[33:34]
	s_xor_b32 s16, exec_lo, s10
	s_cbranch_execz .LBB53_227
; %bb.222:
	v_mov_b32_e32 v27, 0x7fc00000
	s_mov_b32 s17, exec_lo
	v_cmpx_gt_u64_e32 0x81, v[33:34]
	s_cbranch_execz .LBB53_226
; %bb.223:
	v_dual_add_f32 v50, v50, v50 :: v_dual_mov_b32 v51, 1.0
	v_lshlrev_b64 v[33:34], 1, v[33:34]
	s_mov_b64 s[10:11], 2
	s_mov_b32 s18, 0
	s_delay_alu instid0(VALU_DEP_2)
	v_mov_b32_e32 v27, v50
	.p2align	6
.LBB53_224:                             ; =>This Inner Loop Header: Depth=1
	s_clz_i32_u32 s19, s11
	s_delay_alu instid0(SALU_CYCLE_1) | instskip(NEXT) | instid1(SALU_CYCLE_1)
	s_min_u32 s19, s19, 32
	s_lshl_b64 s[20:21], s[10:11], s19
	s_sub_i32 s19, 32, s19
	s_min_u32 s20, s20, 1
	s_delay_alu instid0(SALU_CYCLE_1) | instskip(SKIP_3) | instid1(SALU_CYCLE_1)
	s_or_b32 s20, s21, s20
	s_add_u32 s10, s10, 2
	v_cvt_f32_u32_e32 v52, s20
	s_addc_u32 s11, s11, 0
	v_cmp_ge_u64_e32 vcc_lo, s[10:11], v[33:34]
	s_delay_alu instid0(VALU_DEP_2) | instskip(SKIP_1) | instid1(VALU_DEP_1)
	v_ldexp_f32 v52, v52, s19
	s_or_b32 s18, vcc_lo, s18
	v_mul_f32_e32 v52, v51, v52
	v_mov_b32_e32 v51, v27
	s_delay_alu instid0(VALU_DEP_2)
	v_fma_f32 v27, v50, v27, -v52
	s_and_not1_b32 exec_lo, exec_lo, s18
	s_cbranch_execnz .LBB53_224
; %bb.225:
	s_or_b32 exec_lo, exec_lo, s18
.LBB53_226:
	s_delay_alu instid0(SALU_CYCLE_1)
	s_or_b32 exec_lo, exec_lo, s17
                                        ; implicit-def: $vgpr50
.LBB53_227:
	s_and_not1_saveexec_b32 s10, s16
; %bb.228:
	v_add_f32_e32 v27, v50, v50
; %bb.229:
	s_or_b32 exec_lo, exec_lo, s10
.LBB53_230:
	s_delay_alu instid0(SALU_CYCLE_1)
	s_or_b32 exec_lo, exec_lo, s14
.LBB53_231:
	s_delay_alu instid0(SALU_CYCLE_1) | instskip(SKIP_2) | instid1(VALU_DEP_1)
	s_or_b32 exec_lo, exec_lo, s13
	v_trunc_f32_e32 v33, v28
	s_mov_b32 s13, exec_lo
	v_mul_f32_e64 v34, 0x2f800000, |v33|
	s_delay_alu instid0(VALU_DEP_1) | instskip(NEXT) | instid1(VALU_DEP_1)
	v_floor_f32_e32 v34, v34
	v_fma_f32 v50, 0xcf800000, v34, |v33|
	v_ashrrev_i32_e32 v33, 31, v33
	v_cvt_u32_f32_e32 v34, v34
	s_delay_alu instid0(VALU_DEP_3) | instskip(NEXT) | instid1(VALU_DEP_2)
	v_cvt_u32_f32_e32 v50, v50
	v_xor_b32_e32 v34, v34, v33
	s_delay_alu instid0(VALU_DEP_2) | instskip(NEXT) | instid1(VALU_DEP_1)
	v_xor_b32_e32 v50, v50, v33
	v_sub_co_u32 v50, vcc_lo, v50, v33
	s_delay_alu instid0(VALU_DEP_3) | instskip(SKIP_2) | instid1(VALU_DEP_3)
	v_sub_co_ci_u32_e32 v33, vcc_lo, v34, v33, vcc_lo
	v_cmp_class_f32_e64 vcc_lo, v28, 0x1f8
	v_mov_b32_e32 v28, 0
	v_dual_cndmask_b32 v34, -1, v33 :: v_dual_cndmask_b32 v33, -1, v50
	s_delay_alu instid0(VALU_DEP_1)
	v_cmpx_lt_i64_e32 -1, v[33:34]
	s_cbranch_execz .LBB53_243
; %bb.232:
	v_mov_b32_e32 v28, 1.0
	s_mov_b32 s14, exec_lo
	v_cmpx_lt_i64_e32 0, v[33:34]
	s_cbranch_execz .LBB53_242
; %bb.233:
	v_and_b32_e32 v49, 0xffff0000, v49
	s_mov_b32 s10, exec_lo
	v_cmpx_ne_u64_e32 1, v[33:34]
	s_xor_b32 s16, exec_lo, s10
	s_cbranch_execz .LBB53_239
; %bb.234:
	v_mov_b32_e32 v28, 0x7fc00000
	s_mov_b32 s17, exec_lo
	v_cmpx_gt_u64_e32 0x81, v[33:34]
	s_cbranch_execz .LBB53_238
; %bb.235:
	v_dual_add_f32 v49, v49, v49 :: v_dual_mov_b32 v50, 1.0
	v_lshlrev_b64 v[33:34], 1, v[33:34]
	s_mov_b64 s[10:11], 2
	s_mov_b32 s18, 0
	s_delay_alu instid0(VALU_DEP_2)
	v_mov_b32_e32 v28, v49
	.p2align	6
.LBB53_236:                             ; =>This Inner Loop Header: Depth=1
	s_clz_i32_u32 s19, s11
	s_delay_alu instid0(SALU_CYCLE_1) | instskip(NEXT) | instid1(SALU_CYCLE_1)
	s_min_u32 s19, s19, 32
	s_lshl_b64 s[20:21], s[10:11], s19
	s_sub_i32 s19, 32, s19
	s_min_u32 s20, s20, 1
	s_delay_alu instid0(SALU_CYCLE_1) | instskip(SKIP_3) | instid1(SALU_CYCLE_1)
	s_or_b32 s20, s21, s20
	s_add_u32 s10, s10, 2
	v_cvt_f32_u32_e32 v51, s20
	s_addc_u32 s11, s11, 0
	v_cmp_ge_u64_e32 vcc_lo, s[10:11], v[33:34]
	s_delay_alu instid0(VALU_DEP_2) | instskip(SKIP_1) | instid1(VALU_DEP_1)
	v_ldexp_f32 v51, v51, s19
	s_or_b32 s18, vcc_lo, s18
	v_dual_mul_f32 v51, v50, v51 :: v_dual_mov_b32 v50, v28
	s_delay_alu instid0(VALU_DEP_1)
	v_fma_f32 v28, v49, v28, -v51
	s_and_not1_b32 exec_lo, exec_lo, s18
	s_cbranch_execnz .LBB53_236
; %bb.237:
	s_or_b32 exec_lo, exec_lo, s18
.LBB53_238:
	s_delay_alu instid0(SALU_CYCLE_1)
	s_or_b32 exec_lo, exec_lo, s17
                                        ; implicit-def: $vgpr49
.LBB53_239:
	s_and_not1_saveexec_b32 s10, s16
; %bb.240:
	v_add_f32_e32 v28, v49, v49
; %bb.241:
	s_or_b32 exec_lo, exec_lo, s10
.LBB53_242:
	s_delay_alu instid0(SALU_CYCLE_1)
	s_or_b32 exec_lo, exec_lo, s14
.LBB53_243:
	s_delay_alu instid0(SALU_CYCLE_1) | instskip(SKIP_3) | instid1(VALU_DEP_1)
	s_or_b32 exec_lo, exec_lo, s13
	s_waitcnt vmcnt(5)
	v_trunc_f32_e32 v33, v23
	s_mov_b32 s13, exec_lo
	v_mul_f32_e64 v34, 0x2f800000, |v33|
	s_delay_alu instid0(VALU_DEP_1) | instskip(NEXT) | instid1(VALU_DEP_1)
	v_floor_f32_e32 v34, v34
	v_fma_f32 v49, 0xcf800000, v34, |v33|
	v_ashrrev_i32_e32 v33, 31, v33
	v_cvt_u32_f32_e32 v34, v34
	s_delay_alu instid0(VALU_DEP_3) | instskip(NEXT) | instid1(VALU_DEP_2)
	v_cvt_u32_f32_e32 v49, v49
	v_xor_b32_e32 v34, v34, v33
	s_delay_alu instid0(VALU_DEP_2) | instskip(NEXT) | instid1(VALU_DEP_1)
	v_xor_b32_e32 v49, v49, v33
	v_sub_co_u32 v49, vcc_lo, v49, v33
	s_delay_alu instid0(VALU_DEP_3) | instskip(SKIP_1) | instid1(VALU_DEP_2)
	v_sub_co_ci_u32_e32 v33, vcc_lo, v34, v33, vcc_lo
	v_cmp_class_f32_e64 vcc_lo, v23, 0x1f8
	v_dual_mov_b32 v23, 0 :: v_dual_cndmask_b32 v34, -1, v33
	s_delay_alu instid0(VALU_DEP_4) | instskip(NEXT) | instid1(VALU_DEP_1)
	v_cndmask_b32_e32 v33, -1, v49, vcc_lo
	v_cmpx_lt_i64_e32 -1, v[33:34]
	s_cbranch_execz .LBB53_255
; %bb.244:
	v_mov_b32_e32 v23, 1.0
	s_mov_b32 s14, exec_lo
	v_cmpx_lt_i64_e32 0, v[33:34]
	s_cbranch_execz .LBB53_254
; %bb.245:
	v_lshlrev_b32_e32 v49, 16, v48
                                        ; implicit-def: $vgpr23
	s_mov_b32 s10, exec_lo
	v_cmpx_ne_u64_e32 1, v[33:34]
	s_xor_b32 s16, exec_lo, s10
	s_cbranch_execz .LBB53_251
; %bb.246:
	v_mov_b32_e32 v23, 0x7fc00000
	s_mov_b32 s17, exec_lo
	v_cmpx_gt_u64_e32 0x81, v[33:34]
	s_cbranch_execz .LBB53_250
; %bb.247:
	v_dual_add_f32 v49, v49, v49 :: v_dual_mov_b32 v50, 1.0
	v_lshlrev_b64 v[33:34], 1, v[33:34]
	s_mov_b64 s[10:11], 2
	s_mov_b32 s18, 0
	s_delay_alu instid0(VALU_DEP_2)
	v_mov_b32_e32 v23, v49
	.p2align	6
.LBB53_248:                             ; =>This Inner Loop Header: Depth=1
	s_clz_i32_u32 s19, s11
	s_delay_alu instid0(SALU_CYCLE_1) | instskip(NEXT) | instid1(SALU_CYCLE_1)
	s_min_u32 s19, s19, 32
	s_lshl_b64 s[20:21], s[10:11], s19
	s_sub_i32 s19, 32, s19
	s_min_u32 s20, s20, 1
	s_delay_alu instid0(SALU_CYCLE_1) | instskip(SKIP_3) | instid1(SALU_CYCLE_1)
	s_or_b32 s20, s21, s20
	s_add_u32 s10, s10, 2
	v_cvt_f32_u32_e32 v51, s20
	s_addc_u32 s11, s11, 0
	v_cmp_ge_u64_e32 vcc_lo, s[10:11], v[33:34]
	s_delay_alu instid0(VALU_DEP_2) | instskip(SKIP_1) | instid1(VALU_DEP_1)
	v_ldexp_f32 v51, v51, s19
	s_or_b32 s18, vcc_lo, s18
	v_dual_mul_f32 v51, v50, v51 :: v_dual_mov_b32 v50, v23
	s_delay_alu instid0(VALU_DEP_1)
	v_fma_f32 v23, v49, v23, -v51
	s_and_not1_b32 exec_lo, exec_lo, s18
	s_cbranch_execnz .LBB53_248
; %bb.249:
	s_or_b32 exec_lo, exec_lo, s18
.LBB53_250:
	s_delay_alu instid0(SALU_CYCLE_1)
	s_or_b32 exec_lo, exec_lo, s17
                                        ; implicit-def: $vgpr49
.LBB53_251:
	s_and_not1_saveexec_b32 s10, s16
; %bb.252:
	v_add_f32_e32 v23, v49, v49
; %bb.253:
	s_or_b32 exec_lo, exec_lo, s10
.LBB53_254:
	s_delay_alu instid0(SALU_CYCLE_1)
	s_or_b32 exec_lo, exec_lo, s14
.LBB53_255:
	s_delay_alu instid0(SALU_CYCLE_1) | instskip(SKIP_2) | instid1(VALU_DEP_1)
	s_or_b32 exec_lo, exec_lo, s13
	v_trunc_f32_e32 v33, v24
	s_mov_b32 s13, exec_lo
	v_mul_f32_e64 v34, 0x2f800000, |v33|
	s_delay_alu instid0(VALU_DEP_1) | instskip(NEXT) | instid1(VALU_DEP_1)
	v_floor_f32_e32 v34, v34
	v_fma_f32 v49, 0xcf800000, v34, |v33|
	v_ashrrev_i32_e32 v33, 31, v33
	v_cvt_u32_f32_e32 v34, v34
	s_delay_alu instid0(VALU_DEP_3) | instskip(NEXT) | instid1(VALU_DEP_2)
	v_cvt_u32_f32_e32 v49, v49
	v_xor_b32_e32 v34, v34, v33
	s_delay_alu instid0(VALU_DEP_2) | instskip(NEXT) | instid1(VALU_DEP_1)
	v_xor_b32_e32 v49, v49, v33
	v_sub_co_u32 v49, vcc_lo, v49, v33
	s_delay_alu instid0(VALU_DEP_3) | instskip(SKIP_2) | instid1(VALU_DEP_3)
	v_sub_co_ci_u32_e32 v33, vcc_lo, v34, v33, vcc_lo
	v_cmp_class_f32_e64 vcc_lo, v24, 0x1f8
	v_mov_b32_e32 v24, 0
	v_cndmask_b32_e32 v34, -1, v33, vcc_lo
	v_cndmask_b32_e32 v33, -1, v49, vcc_lo
	s_delay_alu instid0(VALU_DEP_1)
	v_cmpx_lt_i64_e32 -1, v[33:34]
	s_cbranch_execz .LBB53_267
; %bb.256:
	v_mov_b32_e32 v24, 1.0
	s_mov_b32 s14, exec_lo
	v_cmpx_lt_i64_e32 0, v[33:34]
	s_cbranch_execz .LBB53_266
; %bb.257:
	v_and_b32_e32 v48, 0xffff0000, v48
	s_mov_b32 s10, exec_lo
	v_cmpx_ne_u64_e32 1, v[33:34]
	s_xor_b32 s16, exec_lo, s10
	s_cbranch_execz .LBB53_263
; %bb.258:
	v_mov_b32_e32 v24, 0x7fc00000
	s_mov_b32 s17, exec_lo
	v_cmpx_gt_u64_e32 0x81, v[33:34]
	s_cbranch_execz .LBB53_262
; %bb.259:
	v_dual_add_f32 v48, v48, v48 :: v_dual_mov_b32 v49, 1.0
	v_lshlrev_b64 v[33:34], 1, v[33:34]
	s_mov_b64 s[10:11], 2
	s_mov_b32 s18, 0
	s_delay_alu instid0(VALU_DEP_2)
	v_mov_b32_e32 v24, v48
	.p2align	6
.LBB53_260:                             ; =>This Inner Loop Header: Depth=1
	s_clz_i32_u32 s19, s11
	s_delay_alu instid0(SALU_CYCLE_1) | instskip(NEXT) | instid1(SALU_CYCLE_1)
	s_min_u32 s19, s19, 32
	s_lshl_b64 s[20:21], s[10:11], s19
	s_sub_i32 s19, 32, s19
	s_min_u32 s20, s20, 1
	s_delay_alu instid0(SALU_CYCLE_1) | instskip(SKIP_3) | instid1(SALU_CYCLE_1)
	s_or_b32 s20, s21, s20
	s_add_u32 s10, s10, 2
	v_cvt_f32_u32_e32 v50, s20
	s_addc_u32 s11, s11, 0
	v_cmp_ge_u64_e32 vcc_lo, s[10:11], v[33:34]
	s_delay_alu instid0(VALU_DEP_2) | instskip(SKIP_1) | instid1(VALU_DEP_1)
	v_ldexp_f32 v50, v50, s19
	s_or_b32 s18, vcc_lo, s18
	v_dual_mul_f32 v50, v49, v50 :: v_dual_mov_b32 v49, v24
	s_delay_alu instid0(VALU_DEP_1)
	v_fma_f32 v24, v48, v24, -v50
	s_and_not1_b32 exec_lo, exec_lo, s18
	s_cbranch_execnz .LBB53_260
; %bb.261:
	s_or_b32 exec_lo, exec_lo, s18
.LBB53_262:
	s_delay_alu instid0(SALU_CYCLE_1)
	s_or_b32 exec_lo, exec_lo, s17
                                        ; implicit-def: $vgpr48
.LBB53_263:
	s_and_not1_saveexec_b32 s10, s16
; %bb.264:
	v_add_f32_e32 v24, v48, v48
; %bb.265:
	s_or_b32 exec_lo, exec_lo, s10
.LBB53_266:
	s_delay_alu instid0(SALU_CYCLE_1)
	s_or_b32 exec_lo, exec_lo, s14
.LBB53_267:
	s_delay_alu instid0(SALU_CYCLE_1) | instskip(SKIP_3) | instid1(VALU_DEP_1)
	s_or_b32 exec_lo, exec_lo, s13
	s_waitcnt vmcnt(4)
	v_trunc_f32_e32 v33, v19
	s_mov_b32 s13, exec_lo
	v_mul_f32_e64 v34, 0x2f800000, |v33|
	s_delay_alu instid0(VALU_DEP_1) | instskip(NEXT) | instid1(VALU_DEP_1)
	v_floor_f32_e32 v34, v34
	v_fma_f32 v48, 0xcf800000, v34, |v33|
	v_ashrrev_i32_e32 v33, 31, v33
	v_cvt_u32_f32_e32 v34, v34
	s_delay_alu instid0(VALU_DEP_3) | instskip(NEXT) | instid1(VALU_DEP_2)
	v_cvt_u32_f32_e32 v48, v48
	v_xor_b32_e32 v34, v34, v33
	s_delay_alu instid0(VALU_DEP_2) | instskip(NEXT) | instid1(VALU_DEP_1)
	v_xor_b32_e32 v48, v48, v33
	v_sub_co_u32 v48, vcc_lo, v48, v33
	s_delay_alu instid0(VALU_DEP_3) | instskip(SKIP_1) | instid1(VALU_DEP_2)
	v_sub_co_ci_u32_e32 v33, vcc_lo, v34, v33, vcc_lo
	v_cmp_class_f32_e64 vcc_lo, v19, 0x1f8
	v_dual_mov_b32 v19, 0 :: v_dual_cndmask_b32 v34, -1, v33
	s_delay_alu instid0(VALU_DEP_4) | instskip(NEXT) | instid1(VALU_DEP_1)
	v_cndmask_b32_e32 v33, -1, v48, vcc_lo
	v_cmpx_lt_i64_e32 -1, v[33:34]
	s_cbranch_execz .LBB53_279
; %bb.268:
	v_mov_b32_e32 v19, 1.0
	s_mov_b32 s14, exec_lo
	v_cmpx_lt_i64_e32 0, v[33:34]
	s_cbranch_execz .LBB53_278
; %bb.269:
	v_lshlrev_b32_e32 v48, 16, v47
                                        ; implicit-def: $vgpr19
	s_mov_b32 s10, exec_lo
	v_cmpx_ne_u64_e32 1, v[33:34]
	s_xor_b32 s16, exec_lo, s10
	s_cbranch_execz .LBB53_275
; %bb.270:
	v_mov_b32_e32 v19, 0x7fc00000
	s_mov_b32 s17, exec_lo
	v_cmpx_gt_u64_e32 0x81, v[33:34]
	s_cbranch_execz .LBB53_274
; %bb.271:
	v_dual_add_f32 v48, v48, v48 :: v_dual_mov_b32 v49, 1.0
	v_lshlrev_b64 v[33:34], 1, v[33:34]
	s_mov_b64 s[10:11], 2
	s_mov_b32 s18, 0
	s_delay_alu instid0(VALU_DEP_2)
	v_mov_b32_e32 v19, v48
	.p2align	6
.LBB53_272:                             ; =>This Inner Loop Header: Depth=1
	s_clz_i32_u32 s19, s11
	s_delay_alu instid0(SALU_CYCLE_1) | instskip(NEXT) | instid1(SALU_CYCLE_1)
	s_min_u32 s19, s19, 32
	s_lshl_b64 s[20:21], s[10:11], s19
	s_sub_i32 s19, 32, s19
	s_min_u32 s20, s20, 1
	s_delay_alu instid0(SALU_CYCLE_1) | instskip(SKIP_3) | instid1(SALU_CYCLE_1)
	s_or_b32 s20, s21, s20
	s_add_u32 s10, s10, 2
	v_cvt_f32_u32_e32 v50, s20
	s_addc_u32 s11, s11, 0
	v_cmp_ge_u64_e32 vcc_lo, s[10:11], v[33:34]
	s_delay_alu instid0(VALU_DEP_2) | instskip(SKIP_1) | instid1(VALU_DEP_1)
	v_ldexp_f32 v50, v50, s19
	s_or_b32 s18, vcc_lo, s18
	v_dual_mul_f32 v50, v49, v50 :: v_dual_mov_b32 v49, v19
	s_delay_alu instid0(VALU_DEP_1)
	v_fma_f32 v19, v48, v19, -v50
	s_and_not1_b32 exec_lo, exec_lo, s18
	s_cbranch_execnz .LBB53_272
; %bb.273:
	s_or_b32 exec_lo, exec_lo, s18
.LBB53_274:
	s_delay_alu instid0(SALU_CYCLE_1)
	s_or_b32 exec_lo, exec_lo, s17
                                        ; implicit-def: $vgpr48
.LBB53_275:
	s_and_not1_saveexec_b32 s10, s16
; %bb.276:
	v_add_f32_e32 v19, v48, v48
; %bb.277:
	s_or_b32 exec_lo, exec_lo, s10
.LBB53_278:
	s_delay_alu instid0(SALU_CYCLE_1)
	s_or_b32 exec_lo, exec_lo, s14
.LBB53_279:
	s_delay_alu instid0(SALU_CYCLE_1) | instskip(SKIP_2) | instid1(VALU_DEP_1)
	s_or_b32 exec_lo, exec_lo, s13
	v_trunc_f32_e32 v33, v20
	s_mov_b32 s13, exec_lo
	v_mul_f32_e64 v34, 0x2f800000, |v33|
	s_delay_alu instid0(VALU_DEP_1) | instskip(NEXT) | instid1(VALU_DEP_1)
	v_floor_f32_e32 v34, v34
	v_fma_f32 v48, 0xcf800000, v34, |v33|
	v_ashrrev_i32_e32 v33, 31, v33
	v_cvt_u32_f32_e32 v34, v34
	s_delay_alu instid0(VALU_DEP_3) | instskip(NEXT) | instid1(VALU_DEP_2)
	v_cvt_u32_f32_e32 v48, v48
	v_xor_b32_e32 v34, v34, v33
	s_delay_alu instid0(VALU_DEP_2) | instskip(NEXT) | instid1(VALU_DEP_1)
	v_xor_b32_e32 v48, v48, v33
	v_sub_co_u32 v48, vcc_lo, v48, v33
	s_delay_alu instid0(VALU_DEP_3) | instskip(SKIP_2) | instid1(VALU_DEP_3)
	v_sub_co_ci_u32_e32 v33, vcc_lo, v34, v33, vcc_lo
	v_cmp_class_f32_e64 vcc_lo, v20, 0x1f8
	v_mov_b32_e32 v20, 0
	v_dual_cndmask_b32 v34, -1, v33 :: v_dual_cndmask_b32 v33, -1, v48
	s_delay_alu instid0(VALU_DEP_1)
	v_cmpx_lt_i64_e32 -1, v[33:34]
	s_cbranch_execz .LBB53_291
; %bb.280:
	v_mov_b32_e32 v20, 1.0
	s_mov_b32 s14, exec_lo
	v_cmpx_lt_i64_e32 0, v[33:34]
	s_cbranch_execz .LBB53_290
; %bb.281:
	v_and_b32_e32 v47, 0xffff0000, v47
	s_mov_b32 s10, exec_lo
	v_cmpx_ne_u64_e32 1, v[33:34]
	s_xor_b32 s16, exec_lo, s10
	s_cbranch_execz .LBB53_287
; %bb.282:
	v_mov_b32_e32 v20, 0x7fc00000
	s_mov_b32 s17, exec_lo
	v_cmpx_gt_u64_e32 0x81, v[33:34]
	s_cbranch_execz .LBB53_286
; %bb.283:
	v_dual_add_f32 v47, v47, v47 :: v_dual_mov_b32 v48, 1.0
	v_lshlrev_b64 v[33:34], 1, v[33:34]
	s_mov_b64 s[10:11], 2
	s_mov_b32 s18, 0
	s_delay_alu instid0(VALU_DEP_2)
	v_mov_b32_e32 v20, v47
	.p2align	6
.LBB53_284:                             ; =>This Inner Loop Header: Depth=1
	s_clz_i32_u32 s19, s11
	s_delay_alu instid0(SALU_CYCLE_1) | instskip(NEXT) | instid1(SALU_CYCLE_1)
	s_min_u32 s19, s19, 32
	s_lshl_b64 s[20:21], s[10:11], s19
	s_sub_i32 s19, 32, s19
	s_min_u32 s20, s20, 1
	s_delay_alu instid0(SALU_CYCLE_1) | instskip(SKIP_3) | instid1(SALU_CYCLE_1)
	s_or_b32 s20, s21, s20
	s_add_u32 s10, s10, 2
	v_cvt_f32_u32_e32 v49, s20
	s_addc_u32 s11, s11, 0
	v_cmp_ge_u64_e32 vcc_lo, s[10:11], v[33:34]
	s_delay_alu instid0(VALU_DEP_2) | instskip(SKIP_1) | instid1(VALU_DEP_1)
	v_ldexp_f32 v49, v49, s19
	s_or_b32 s18, vcc_lo, s18
	v_mul_f32_e32 v49, v48, v49
	v_mov_b32_e32 v48, v20
	s_delay_alu instid0(VALU_DEP_2)
	v_fma_f32 v20, v47, v20, -v49
	s_and_not1_b32 exec_lo, exec_lo, s18
	s_cbranch_execnz .LBB53_284
; %bb.285:
	s_or_b32 exec_lo, exec_lo, s18
.LBB53_286:
	s_delay_alu instid0(SALU_CYCLE_1)
	s_or_b32 exec_lo, exec_lo, s17
                                        ; implicit-def: $vgpr47
.LBB53_287:
	s_and_not1_saveexec_b32 s10, s16
; %bb.288:
	v_add_f32_e32 v20, v47, v47
; %bb.289:
	s_or_b32 exec_lo, exec_lo, s10
.LBB53_290:
	s_delay_alu instid0(SALU_CYCLE_1)
	s_or_b32 exec_lo, exec_lo, s14
.LBB53_291:
	s_delay_alu instid0(SALU_CYCLE_1) | instskip(SKIP_3) | instid1(VALU_DEP_1)
	s_or_b32 exec_lo, exec_lo, s13
	s_waitcnt vmcnt(3)
	v_trunc_f32_e32 v33, v15
	s_mov_b32 s13, exec_lo
	v_mul_f32_e64 v34, 0x2f800000, |v33|
	s_delay_alu instid0(VALU_DEP_1) | instskip(NEXT) | instid1(VALU_DEP_1)
	v_floor_f32_e32 v34, v34
	v_fma_f32 v47, 0xcf800000, v34, |v33|
	v_ashrrev_i32_e32 v33, 31, v33
	v_cvt_u32_f32_e32 v34, v34
	s_delay_alu instid0(VALU_DEP_3) | instskip(NEXT) | instid1(VALU_DEP_2)
	v_cvt_u32_f32_e32 v47, v47
	v_xor_b32_e32 v34, v34, v33
	s_delay_alu instid0(VALU_DEP_2) | instskip(NEXT) | instid1(VALU_DEP_1)
	v_xor_b32_e32 v47, v47, v33
	v_sub_co_u32 v47, vcc_lo, v47, v33
	s_delay_alu instid0(VALU_DEP_3) | instskip(SKIP_1) | instid1(VALU_DEP_2)
	v_sub_co_ci_u32_e32 v33, vcc_lo, v34, v33, vcc_lo
	v_cmp_class_f32_e64 vcc_lo, v15, 0x1f8
	v_dual_mov_b32 v15, 0 :: v_dual_cndmask_b32 v34, -1, v33
	s_delay_alu instid0(VALU_DEP_4) | instskip(NEXT) | instid1(VALU_DEP_1)
	v_cndmask_b32_e32 v33, -1, v47, vcc_lo
	v_cmpx_lt_i64_e32 -1, v[33:34]
	s_cbranch_execz .LBB53_303
; %bb.292:
	v_mov_b32_e32 v15, 1.0
	s_mov_b32 s14, exec_lo
	v_cmpx_lt_i64_e32 0, v[33:34]
	s_cbranch_execz .LBB53_302
; %bb.293:
	v_lshlrev_b32_e32 v47, 16, v46
                                        ; implicit-def: $vgpr15
	s_mov_b32 s10, exec_lo
	v_cmpx_ne_u64_e32 1, v[33:34]
	s_xor_b32 s16, exec_lo, s10
	s_cbranch_execz .LBB53_299
; %bb.294:
	v_mov_b32_e32 v15, 0x7fc00000
	s_mov_b32 s17, exec_lo
	v_cmpx_gt_u64_e32 0x81, v[33:34]
	s_cbranch_execz .LBB53_298
; %bb.295:
	v_dual_add_f32 v47, v47, v47 :: v_dual_mov_b32 v48, 1.0
	v_lshlrev_b64 v[33:34], 1, v[33:34]
	s_mov_b64 s[10:11], 2
	s_mov_b32 s18, 0
	s_delay_alu instid0(VALU_DEP_2)
	v_mov_b32_e32 v15, v47
	.p2align	6
.LBB53_296:                             ; =>This Inner Loop Header: Depth=1
	s_clz_i32_u32 s19, s11
	s_delay_alu instid0(SALU_CYCLE_1) | instskip(NEXT) | instid1(SALU_CYCLE_1)
	s_min_u32 s19, s19, 32
	s_lshl_b64 s[20:21], s[10:11], s19
	s_sub_i32 s19, 32, s19
	s_min_u32 s20, s20, 1
	s_delay_alu instid0(SALU_CYCLE_1) | instskip(SKIP_3) | instid1(SALU_CYCLE_1)
	s_or_b32 s20, s21, s20
	s_add_u32 s10, s10, 2
	v_cvt_f32_u32_e32 v49, s20
	s_addc_u32 s11, s11, 0
	v_cmp_ge_u64_e32 vcc_lo, s[10:11], v[33:34]
	s_delay_alu instid0(VALU_DEP_2) | instskip(SKIP_1) | instid1(VALU_DEP_1)
	v_ldexp_f32 v49, v49, s19
	s_or_b32 s18, vcc_lo, s18
	v_dual_mul_f32 v49, v48, v49 :: v_dual_mov_b32 v48, v15
	s_delay_alu instid0(VALU_DEP_1)
	v_fma_f32 v15, v47, v15, -v49
	s_and_not1_b32 exec_lo, exec_lo, s18
	s_cbranch_execnz .LBB53_296
; %bb.297:
	s_or_b32 exec_lo, exec_lo, s18
.LBB53_298:
	s_delay_alu instid0(SALU_CYCLE_1)
	s_or_b32 exec_lo, exec_lo, s17
                                        ; implicit-def: $vgpr47
.LBB53_299:
	s_and_not1_saveexec_b32 s10, s16
; %bb.300:
	v_add_f32_e32 v15, v47, v47
; %bb.301:
	s_or_b32 exec_lo, exec_lo, s10
.LBB53_302:
	s_delay_alu instid0(SALU_CYCLE_1)
	s_or_b32 exec_lo, exec_lo, s14
.LBB53_303:
	s_delay_alu instid0(SALU_CYCLE_1) | instskip(SKIP_2) | instid1(VALU_DEP_1)
	s_or_b32 exec_lo, exec_lo, s13
	v_trunc_f32_e32 v33, v16
	s_mov_b32 s13, exec_lo
	v_mul_f32_e64 v34, 0x2f800000, |v33|
	s_delay_alu instid0(VALU_DEP_1) | instskip(NEXT) | instid1(VALU_DEP_1)
	v_floor_f32_e32 v34, v34
	v_fma_f32 v47, 0xcf800000, v34, |v33|
	v_ashrrev_i32_e32 v33, 31, v33
	v_cvt_u32_f32_e32 v34, v34
	s_delay_alu instid0(VALU_DEP_3) | instskip(NEXT) | instid1(VALU_DEP_2)
	v_cvt_u32_f32_e32 v47, v47
	v_xor_b32_e32 v34, v34, v33
	s_delay_alu instid0(VALU_DEP_2) | instskip(NEXT) | instid1(VALU_DEP_1)
	v_xor_b32_e32 v47, v47, v33
	v_sub_co_u32 v47, vcc_lo, v47, v33
	s_delay_alu instid0(VALU_DEP_3) | instskip(SKIP_2) | instid1(VALU_DEP_3)
	v_sub_co_ci_u32_e32 v33, vcc_lo, v34, v33, vcc_lo
	v_cmp_class_f32_e64 vcc_lo, v16, 0x1f8
	v_mov_b32_e32 v16, 0
	v_dual_cndmask_b32 v34, -1, v33 :: v_dual_cndmask_b32 v33, -1, v47
	s_delay_alu instid0(VALU_DEP_1)
	v_cmpx_lt_i64_e32 -1, v[33:34]
	s_cbranch_execz .LBB53_315
; %bb.304:
	v_mov_b32_e32 v16, 1.0
	s_mov_b32 s14, exec_lo
	v_cmpx_lt_i64_e32 0, v[33:34]
	s_cbranch_execz .LBB53_314
; %bb.305:
	v_and_b32_e32 v46, 0xffff0000, v46
	s_mov_b32 s10, exec_lo
	v_cmpx_ne_u64_e32 1, v[33:34]
	s_xor_b32 s16, exec_lo, s10
	s_cbranch_execz .LBB53_311
; %bb.306:
	v_mov_b32_e32 v16, 0x7fc00000
	s_mov_b32 s17, exec_lo
	v_cmpx_gt_u64_e32 0x81, v[33:34]
	s_cbranch_execz .LBB53_310
; %bb.307:
	v_dual_add_f32 v46, v46, v46 :: v_dual_mov_b32 v47, 1.0
	v_lshlrev_b64 v[33:34], 1, v[33:34]
	s_mov_b64 s[10:11], 2
	s_mov_b32 s18, 0
	s_delay_alu instid0(VALU_DEP_2)
	v_mov_b32_e32 v16, v46
	.p2align	6
.LBB53_308:                             ; =>This Inner Loop Header: Depth=1
	s_clz_i32_u32 s19, s11
	s_delay_alu instid0(SALU_CYCLE_1) | instskip(NEXT) | instid1(SALU_CYCLE_1)
	s_min_u32 s19, s19, 32
	s_lshl_b64 s[20:21], s[10:11], s19
	s_sub_i32 s19, 32, s19
	s_min_u32 s20, s20, 1
	s_delay_alu instid0(SALU_CYCLE_1) | instskip(SKIP_3) | instid1(SALU_CYCLE_1)
	s_or_b32 s20, s21, s20
	s_add_u32 s10, s10, 2
	v_cvt_f32_u32_e32 v48, s20
	s_addc_u32 s11, s11, 0
	v_cmp_ge_u64_e32 vcc_lo, s[10:11], v[33:34]
	s_delay_alu instid0(VALU_DEP_2) | instskip(SKIP_1) | instid1(VALU_DEP_1)
	v_ldexp_f32 v48, v48, s19
	s_or_b32 s18, vcc_lo, s18
	v_dual_mul_f32 v48, v47, v48 :: v_dual_mov_b32 v47, v16
	s_delay_alu instid0(VALU_DEP_1)
	v_fma_f32 v16, v46, v16, -v48
	s_and_not1_b32 exec_lo, exec_lo, s18
	s_cbranch_execnz .LBB53_308
; %bb.309:
	s_or_b32 exec_lo, exec_lo, s18
.LBB53_310:
	s_delay_alu instid0(SALU_CYCLE_1)
	s_or_b32 exec_lo, exec_lo, s17
                                        ; implicit-def: $vgpr46
.LBB53_311:
	s_and_not1_saveexec_b32 s10, s16
; %bb.312:
	v_add_f32_e32 v16, v46, v46
; %bb.313:
	s_or_b32 exec_lo, exec_lo, s10
.LBB53_314:
	s_delay_alu instid0(SALU_CYCLE_1)
	s_or_b32 exec_lo, exec_lo, s14
.LBB53_315:
	s_delay_alu instid0(SALU_CYCLE_1) | instskip(SKIP_3) | instid1(VALU_DEP_1)
	s_or_b32 exec_lo, exec_lo, s13
	s_waitcnt vmcnt(2)
	v_trunc_f32_e32 v33, v11
	s_mov_b32 s13, exec_lo
	v_mul_f32_e64 v34, 0x2f800000, |v33|
	s_delay_alu instid0(VALU_DEP_1) | instskip(NEXT) | instid1(VALU_DEP_1)
	v_floor_f32_e32 v34, v34
	v_fma_f32 v46, 0xcf800000, v34, |v33|
	v_ashrrev_i32_e32 v33, 31, v33
	v_cvt_u32_f32_e32 v34, v34
	s_delay_alu instid0(VALU_DEP_3) | instskip(NEXT) | instid1(VALU_DEP_2)
	v_cvt_u32_f32_e32 v46, v46
	v_xor_b32_e32 v34, v34, v33
	s_delay_alu instid0(VALU_DEP_2) | instskip(NEXT) | instid1(VALU_DEP_1)
	v_xor_b32_e32 v46, v46, v33
	v_sub_co_u32 v46, vcc_lo, v46, v33
	s_delay_alu instid0(VALU_DEP_3) | instskip(SKIP_1) | instid1(VALU_DEP_2)
	v_sub_co_ci_u32_e32 v33, vcc_lo, v34, v33, vcc_lo
	v_cmp_class_f32_e64 vcc_lo, v11, 0x1f8
	v_dual_mov_b32 v11, 0 :: v_dual_cndmask_b32 v34, -1, v33
	s_delay_alu instid0(VALU_DEP_4) | instskip(NEXT) | instid1(VALU_DEP_1)
	v_cndmask_b32_e32 v33, -1, v46, vcc_lo
	v_cmpx_lt_i64_e32 -1, v[33:34]
	s_cbranch_execz .LBB53_327
; %bb.316:
	v_mov_b32_e32 v11, 1.0
	s_mov_b32 s14, exec_lo
	v_cmpx_lt_i64_e32 0, v[33:34]
	s_cbranch_execz .LBB53_326
; %bb.317:
	v_lshlrev_b32_e32 v46, 16, v45
                                        ; implicit-def: $vgpr11
	s_mov_b32 s10, exec_lo
	v_cmpx_ne_u64_e32 1, v[33:34]
	s_xor_b32 s16, exec_lo, s10
	s_cbranch_execz .LBB53_323
; %bb.318:
	v_mov_b32_e32 v11, 0x7fc00000
	s_mov_b32 s17, exec_lo
	v_cmpx_gt_u64_e32 0x81, v[33:34]
	s_cbranch_execz .LBB53_322
; %bb.319:
	v_dual_add_f32 v46, v46, v46 :: v_dual_mov_b32 v47, 1.0
	v_lshlrev_b64 v[33:34], 1, v[33:34]
	s_mov_b64 s[10:11], 2
	s_mov_b32 s18, 0
	s_delay_alu instid0(VALU_DEP_2)
	v_mov_b32_e32 v11, v46
	.p2align	6
.LBB53_320:                             ; =>This Inner Loop Header: Depth=1
	s_clz_i32_u32 s19, s11
	s_delay_alu instid0(SALU_CYCLE_1) | instskip(NEXT) | instid1(SALU_CYCLE_1)
	s_min_u32 s19, s19, 32
	s_lshl_b64 s[20:21], s[10:11], s19
	s_sub_i32 s19, 32, s19
	s_min_u32 s20, s20, 1
	s_delay_alu instid0(SALU_CYCLE_1) | instskip(SKIP_3) | instid1(SALU_CYCLE_1)
	s_or_b32 s20, s21, s20
	s_add_u32 s10, s10, 2
	v_cvt_f32_u32_e32 v48, s20
	s_addc_u32 s11, s11, 0
	v_cmp_ge_u64_e32 vcc_lo, s[10:11], v[33:34]
	s_delay_alu instid0(VALU_DEP_2) | instskip(SKIP_1) | instid1(VALU_DEP_1)
	v_ldexp_f32 v48, v48, s19
	s_or_b32 s18, vcc_lo, s18
	v_mul_f32_e32 v48, v47, v48
	v_mov_b32_e32 v47, v11
	s_delay_alu instid0(VALU_DEP_2)
	v_fma_f32 v11, v46, v11, -v48
	s_and_not1_b32 exec_lo, exec_lo, s18
	s_cbranch_execnz .LBB53_320
; %bb.321:
	s_or_b32 exec_lo, exec_lo, s18
.LBB53_322:
	s_delay_alu instid0(SALU_CYCLE_1)
	s_or_b32 exec_lo, exec_lo, s17
                                        ; implicit-def: $vgpr46
.LBB53_323:
	s_and_not1_saveexec_b32 s10, s16
; %bb.324:
	v_add_f32_e32 v11, v46, v46
; %bb.325:
	s_or_b32 exec_lo, exec_lo, s10
.LBB53_326:
	s_delay_alu instid0(SALU_CYCLE_1)
	s_or_b32 exec_lo, exec_lo, s14
.LBB53_327:
	s_delay_alu instid0(SALU_CYCLE_1) | instskip(SKIP_2) | instid1(VALU_DEP_1)
	s_or_b32 exec_lo, exec_lo, s13
	v_trunc_f32_e32 v33, v12
	s_mov_b32 s13, exec_lo
	v_mul_f32_e64 v34, 0x2f800000, |v33|
	s_delay_alu instid0(VALU_DEP_1) | instskip(NEXT) | instid1(VALU_DEP_1)
	v_floor_f32_e32 v34, v34
	v_fma_f32 v46, 0xcf800000, v34, |v33|
	v_ashrrev_i32_e32 v33, 31, v33
	v_cvt_u32_f32_e32 v34, v34
	s_delay_alu instid0(VALU_DEP_3) | instskip(NEXT) | instid1(VALU_DEP_2)
	v_cvt_u32_f32_e32 v46, v46
	v_xor_b32_e32 v34, v34, v33
	s_delay_alu instid0(VALU_DEP_2) | instskip(NEXT) | instid1(VALU_DEP_1)
	v_xor_b32_e32 v46, v46, v33
	v_sub_co_u32 v46, vcc_lo, v46, v33
	s_delay_alu instid0(VALU_DEP_3) | instskip(SKIP_2) | instid1(VALU_DEP_3)
	v_sub_co_ci_u32_e32 v33, vcc_lo, v34, v33, vcc_lo
	v_cmp_class_f32_e64 vcc_lo, v12, 0x1f8
	v_mov_b32_e32 v12, 0
	v_dual_cndmask_b32 v34, -1, v33 :: v_dual_cndmask_b32 v33, -1, v46
	s_delay_alu instid0(VALU_DEP_1)
	v_cmpx_lt_i64_e32 -1, v[33:34]
	s_cbranch_execz .LBB53_339
; %bb.328:
	v_mov_b32_e32 v12, 1.0
	s_mov_b32 s14, exec_lo
	v_cmpx_lt_i64_e32 0, v[33:34]
	s_cbranch_execz .LBB53_338
; %bb.329:
	v_and_b32_e32 v45, 0xffff0000, v45
	s_mov_b32 s10, exec_lo
	v_cmpx_ne_u64_e32 1, v[33:34]
	s_xor_b32 s16, exec_lo, s10
	s_cbranch_execz .LBB53_335
; %bb.330:
	v_mov_b32_e32 v12, 0x7fc00000
	s_mov_b32 s17, exec_lo
	v_cmpx_gt_u64_e32 0x81, v[33:34]
	s_cbranch_execz .LBB53_334
; %bb.331:
	v_dual_add_f32 v45, v45, v45 :: v_dual_mov_b32 v46, 1.0
	v_lshlrev_b64 v[33:34], 1, v[33:34]
	s_mov_b64 s[10:11], 2
	s_mov_b32 s18, 0
	s_delay_alu instid0(VALU_DEP_2)
	v_mov_b32_e32 v12, v45
	.p2align	6
.LBB53_332:                             ; =>This Inner Loop Header: Depth=1
	s_clz_i32_u32 s19, s11
	s_delay_alu instid0(SALU_CYCLE_1) | instskip(NEXT) | instid1(SALU_CYCLE_1)
	s_min_u32 s19, s19, 32
	s_lshl_b64 s[20:21], s[10:11], s19
	s_sub_i32 s19, 32, s19
	s_min_u32 s20, s20, 1
	s_delay_alu instid0(SALU_CYCLE_1) | instskip(SKIP_3) | instid1(SALU_CYCLE_1)
	s_or_b32 s20, s21, s20
	s_add_u32 s10, s10, 2
	v_cvt_f32_u32_e32 v47, s20
	s_addc_u32 s11, s11, 0
	v_cmp_ge_u64_e32 vcc_lo, s[10:11], v[33:34]
	s_delay_alu instid0(VALU_DEP_2) | instskip(SKIP_1) | instid1(VALU_DEP_1)
	v_ldexp_f32 v47, v47, s19
	s_or_b32 s18, vcc_lo, s18
	v_dual_mul_f32 v47, v46, v47 :: v_dual_mov_b32 v46, v12
	s_delay_alu instid0(VALU_DEP_1)
	v_fma_f32 v12, v45, v12, -v47
	s_and_not1_b32 exec_lo, exec_lo, s18
	s_cbranch_execnz .LBB53_332
; %bb.333:
	s_or_b32 exec_lo, exec_lo, s18
.LBB53_334:
	s_delay_alu instid0(SALU_CYCLE_1)
	s_or_b32 exec_lo, exec_lo, s17
                                        ; implicit-def: $vgpr45
.LBB53_335:
	s_and_not1_saveexec_b32 s10, s16
; %bb.336:
	v_add_f32_e32 v12, v45, v45
; %bb.337:
	s_or_b32 exec_lo, exec_lo, s10
.LBB53_338:
	s_delay_alu instid0(SALU_CYCLE_1)
	s_or_b32 exec_lo, exec_lo, s14
.LBB53_339:
	s_delay_alu instid0(SALU_CYCLE_1) | instskip(SKIP_3) | instid1(VALU_DEP_1)
	s_or_b32 exec_lo, exec_lo, s13
	s_waitcnt vmcnt(1)
	v_trunc_f32_e32 v33, v7
	s_mov_b32 s13, exec_lo
	v_mul_f32_e64 v34, 0x2f800000, |v33|
	s_delay_alu instid0(VALU_DEP_1) | instskip(NEXT) | instid1(VALU_DEP_1)
	v_floor_f32_e32 v34, v34
	v_fma_f32 v45, 0xcf800000, v34, |v33|
	v_ashrrev_i32_e32 v33, 31, v33
	v_cvt_u32_f32_e32 v34, v34
	s_delay_alu instid0(VALU_DEP_3) | instskip(NEXT) | instid1(VALU_DEP_2)
	v_cvt_u32_f32_e32 v45, v45
	v_xor_b32_e32 v34, v34, v33
	s_delay_alu instid0(VALU_DEP_2) | instskip(NEXT) | instid1(VALU_DEP_1)
	v_xor_b32_e32 v45, v45, v33
	v_sub_co_u32 v45, vcc_lo, v45, v33
	s_delay_alu instid0(VALU_DEP_3) | instskip(SKIP_1) | instid1(VALU_DEP_2)
	v_sub_co_ci_u32_e32 v33, vcc_lo, v34, v33, vcc_lo
	v_cmp_class_f32_e64 vcc_lo, v7, 0x1f8
	v_dual_mov_b32 v7, 0 :: v_dual_cndmask_b32 v34, -1, v33
	s_delay_alu instid0(VALU_DEP_4) | instskip(NEXT) | instid1(VALU_DEP_1)
	v_cndmask_b32_e32 v33, -1, v45, vcc_lo
	v_cmpx_lt_i64_e32 -1, v[33:34]
	s_cbranch_execz .LBB53_351
; %bb.340:
	v_mov_b32_e32 v7, 1.0
	s_mov_b32 s14, exec_lo
	v_cmpx_lt_i64_e32 0, v[33:34]
	s_cbranch_execz .LBB53_350
; %bb.341:
	v_lshlrev_b32_e32 v45, 16, v44
                                        ; implicit-def: $vgpr7
	s_mov_b32 s10, exec_lo
	v_cmpx_ne_u64_e32 1, v[33:34]
	s_xor_b32 s16, exec_lo, s10
	s_cbranch_execz .LBB53_347
; %bb.342:
	v_mov_b32_e32 v7, 0x7fc00000
	s_mov_b32 s17, exec_lo
	v_cmpx_gt_u64_e32 0x81, v[33:34]
	s_cbranch_execz .LBB53_346
; %bb.343:
	v_dual_add_f32 v45, v45, v45 :: v_dual_mov_b32 v46, 1.0
	v_lshlrev_b64 v[33:34], 1, v[33:34]
	s_mov_b64 s[10:11], 2
	s_mov_b32 s18, 0
	s_delay_alu instid0(VALU_DEP_2)
	v_mov_b32_e32 v7, v45
	.p2align	6
.LBB53_344:                             ; =>This Inner Loop Header: Depth=1
	s_clz_i32_u32 s19, s11
	s_delay_alu instid0(SALU_CYCLE_1) | instskip(NEXT) | instid1(SALU_CYCLE_1)
	s_min_u32 s19, s19, 32
	s_lshl_b64 s[20:21], s[10:11], s19
	s_sub_i32 s19, 32, s19
	s_min_u32 s20, s20, 1
	s_delay_alu instid0(SALU_CYCLE_1) | instskip(SKIP_3) | instid1(SALU_CYCLE_1)
	s_or_b32 s20, s21, s20
	s_add_u32 s10, s10, 2
	v_cvt_f32_u32_e32 v47, s20
	s_addc_u32 s11, s11, 0
	v_cmp_ge_u64_e32 vcc_lo, s[10:11], v[33:34]
	s_delay_alu instid0(VALU_DEP_2) | instskip(SKIP_1) | instid1(VALU_DEP_1)
	v_ldexp_f32 v47, v47, s19
	s_or_b32 s18, vcc_lo, s18
	v_dual_mul_f32 v47, v46, v47 :: v_dual_mov_b32 v46, v7
	s_delay_alu instid0(VALU_DEP_1)
	v_fma_f32 v7, v45, v7, -v47
	s_and_not1_b32 exec_lo, exec_lo, s18
	s_cbranch_execnz .LBB53_344
; %bb.345:
	s_or_b32 exec_lo, exec_lo, s18
.LBB53_346:
	s_delay_alu instid0(SALU_CYCLE_1)
	s_or_b32 exec_lo, exec_lo, s17
                                        ; implicit-def: $vgpr45
.LBB53_347:
	s_and_not1_saveexec_b32 s10, s16
; %bb.348:
	v_add_f32_e32 v7, v45, v45
; %bb.349:
	s_or_b32 exec_lo, exec_lo, s10
.LBB53_350:
	s_delay_alu instid0(SALU_CYCLE_1)
	s_or_b32 exec_lo, exec_lo, s14
.LBB53_351:
	s_delay_alu instid0(SALU_CYCLE_1) | instskip(SKIP_2) | instid1(VALU_DEP_1)
	s_or_b32 exec_lo, exec_lo, s13
	v_trunc_f32_e32 v33, v8
	s_mov_b32 s13, exec_lo
	v_mul_f32_e64 v34, 0x2f800000, |v33|
	s_delay_alu instid0(VALU_DEP_1) | instskip(NEXT) | instid1(VALU_DEP_1)
	v_floor_f32_e32 v34, v34
	v_fma_f32 v45, 0xcf800000, v34, |v33|
	v_ashrrev_i32_e32 v33, 31, v33
	v_cvt_u32_f32_e32 v34, v34
	s_delay_alu instid0(VALU_DEP_3) | instskip(NEXT) | instid1(VALU_DEP_2)
	v_cvt_u32_f32_e32 v45, v45
	v_xor_b32_e32 v34, v34, v33
	s_delay_alu instid0(VALU_DEP_2) | instskip(NEXT) | instid1(VALU_DEP_1)
	v_xor_b32_e32 v45, v45, v33
	v_sub_co_u32 v45, vcc_lo, v45, v33
	s_delay_alu instid0(VALU_DEP_3) | instskip(SKIP_2) | instid1(VALU_DEP_3)
	v_sub_co_ci_u32_e32 v33, vcc_lo, v34, v33, vcc_lo
	v_cmp_class_f32_e64 vcc_lo, v8, 0x1f8
	v_mov_b32_e32 v8, 0
	v_cndmask_b32_e32 v34, -1, v33, vcc_lo
	v_cndmask_b32_e32 v33, -1, v45, vcc_lo
	s_delay_alu instid0(VALU_DEP_1)
	v_cmpx_lt_i64_e32 -1, v[33:34]
	s_cbranch_execz .LBB53_363
; %bb.352:
	v_mov_b32_e32 v8, 1.0
	s_mov_b32 s14, exec_lo
	v_cmpx_lt_i64_e32 0, v[33:34]
	s_cbranch_execz .LBB53_362
; %bb.353:
	v_and_b32_e32 v44, 0xffff0000, v44
	s_mov_b32 s10, exec_lo
	v_cmpx_ne_u64_e32 1, v[33:34]
	s_xor_b32 s16, exec_lo, s10
	s_cbranch_execz .LBB53_359
; %bb.354:
	v_mov_b32_e32 v8, 0x7fc00000
	s_mov_b32 s17, exec_lo
	v_cmpx_gt_u64_e32 0x81, v[33:34]
	s_cbranch_execz .LBB53_358
; %bb.355:
	v_dual_add_f32 v44, v44, v44 :: v_dual_mov_b32 v45, 1.0
	v_lshlrev_b64 v[33:34], 1, v[33:34]
	s_mov_b64 s[10:11], 2
	s_mov_b32 s18, 0
	s_delay_alu instid0(VALU_DEP_2)
	v_mov_b32_e32 v8, v44
	.p2align	6
.LBB53_356:                             ; =>This Inner Loop Header: Depth=1
	s_clz_i32_u32 s19, s11
	s_delay_alu instid0(SALU_CYCLE_1) | instskip(NEXT) | instid1(SALU_CYCLE_1)
	s_min_u32 s19, s19, 32
	s_lshl_b64 s[20:21], s[10:11], s19
	s_sub_i32 s19, 32, s19
	s_min_u32 s20, s20, 1
	s_delay_alu instid0(SALU_CYCLE_1) | instskip(SKIP_3) | instid1(SALU_CYCLE_1)
	s_or_b32 s20, s21, s20
	s_add_u32 s10, s10, 2
	v_cvt_f32_u32_e32 v46, s20
	s_addc_u32 s11, s11, 0
	v_cmp_ge_u64_e32 vcc_lo, s[10:11], v[33:34]
	s_delay_alu instid0(VALU_DEP_2) | instskip(SKIP_1) | instid1(VALU_DEP_1)
	v_ldexp_f32 v46, v46, s19
	s_or_b32 s18, vcc_lo, s18
	v_dual_mul_f32 v46, v45, v46 :: v_dual_mov_b32 v45, v8
	s_delay_alu instid0(VALU_DEP_1)
	v_fma_f32 v8, v44, v8, -v46
	s_and_not1_b32 exec_lo, exec_lo, s18
	s_cbranch_execnz .LBB53_356
; %bb.357:
	s_or_b32 exec_lo, exec_lo, s18
.LBB53_358:
	s_delay_alu instid0(SALU_CYCLE_1)
	s_or_b32 exec_lo, exec_lo, s17
                                        ; implicit-def: $vgpr44
.LBB53_359:
	s_and_not1_saveexec_b32 s10, s16
; %bb.360:
	v_add_f32_e32 v8, v44, v44
; %bb.361:
	s_or_b32 exec_lo, exec_lo, s10
.LBB53_362:
	s_delay_alu instid0(SALU_CYCLE_1)
	s_or_b32 exec_lo, exec_lo, s14
.LBB53_363:
	s_delay_alu instid0(SALU_CYCLE_1) | instskip(SKIP_3) | instid1(VALU_DEP_1)
	s_or_b32 exec_lo, exec_lo, s13
	s_waitcnt vmcnt(0)
	v_trunc_f32_e32 v33, v3
	s_mov_b32 s13, exec_lo
	v_mul_f32_e64 v34, 0x2f800000, |v33|
	s_delay_alu instid0(VALU_DEP_1) | instskip(NEXT) | instid1(VALU_DEP_1)
	v_floor_f32_e32 v34, v34
	v_fma_f32 v44, 0xcf800000, v34, |v33|
	v_ashrrev_i32_e32 v33, 31, v33
	v_cvt_u32_f32_e32 v34, v34
	s_delay_alu instid0(VALU_DEP_3) | instskip(NEXT) | instid1(VALU_DEP_2)
	v_cvt_u32_f32_e32 v44, v44
	v_xor_b32_e32 v34, v34, v33
	s_delay_alu instid0(VALU_DEP_2) | instskip(NEXT) | instid1(VALU_DEP_1)
	v_xor_b32_e32 v44, v44, v33
	v_sub_co_u32 v44, vcc_lo, v44, v33
	s_delay_alu instid0(VALU_DEP_3) | instskip(SKIP_1) | instid1(VALU_DEP_2)
	v_sub_co_ci_u32_e32 v33, vcc_lo, v34, v33, vcc_lo
	v_cmp_class_f32_e64 vcc_lo, v3, 0x1f8
	v_dual_mov_b32 v3, 0 :: v_dual_cndmask_b32 v34, -1, v33
	s_delay_alu instid0(VALU_DEP_4) | instskip(NEXT) | instid1(VALU_DEP_1)
	v_cndmask_b32_e32 v33, -1, v44, vcc_lo
	v_cmpx_lt_i64_e32 -1, v[33:34]
	s_cbranch_execz .LBB53_375
; %bb.364:
	v_mov_b32_e32 v3, 1.0
	s_mov_b32 s14, exec_lo
	v_cmpx_lt_i64_e32 0, v[33:34]
	s_cbranch_execz .LBB53_374
; %bb.365:
	v_lshlrev_b32_e32 v44, 16, v43
                                        ; implicit-def: $vgpr3
	s_mov_b32 s10, exec_lo
	v_cmpx_ne_u64_e32 1, v[33:34]
	s_xor_b32 s16, exec_lo, s10
	s_cbranch_execz .LBB53_371
; %bb.366:
	v_mov_b32_e32 v3, 0x7fc00000
	s_mov_b32 s17, exec_lo
	v_cmpx_gt_u64_e32 0x81, v[33:34]
	s_cbranch_execz .LBB53_370
; %bb.367:
	v_dual_add_f32 v44, v44, v44 :: v_dual_mov_b32 v45, 1.0
	v_lshlrev_b64 v[33:34], 1, v[33:34]
	s_mov_b64 s[10:11], 2
	s_mov_b32 s18, 0
	s_delay_alu instid0(VALU_DEP_2)
	v_mov_b32_e32 v3, v44
	.p2align	6
.LBB53_368:                             ; =>This Inner Loop Header: Depth=1
	s_clz_i32_u32 s19, s11
	s_delay_alu instid0(SALU_CYCLE_1) | instskip(NEXT) | instid1(SALU_CYCLE_1)
	s_min_u32 s19, s19, 32
	s_lshl_b64 s[20:21], s[10:11], s19
	s_sub_i32 s19, 32, s19
	s_min_u32 s20, s20, 1
	s_delay_alu instid0(SALU_CYCLE_1) | instskip(SKIP_3) | instid1(SALU_CYCLE_1)
	s_or_b32 s20, s21, s20
	s_add_u32 s10, s10, 2
	v_cvt_f32_u32_e32 v46, s20
	s_addc_u32 s11, s11, 0
	v_cmp_ge_u64_e32 vcc_lo, s[10:11], v[33:34]
	s_delay_alu instid0(VALU_DEP_2) | instskip(SKIP_1) | instid1(VALU_DEP_1)
	v_ldexp_f32 v46, v46, s19
	s_or_b32 s18, vcc_lo, s18
	v_dual_mul_f32 v46, v45, v46 :: v_dual_mov_b32 v45, v3
	s_delay_alu instid0(VALU_DEP_1)
	v_fma_f32 v3, v44, v3, -v46
	s_and_not1_b32 exec_lo, exec_lo, s18
	s_cbranch_execnz .LBB53_368
; %bb.369:
	s_or_b32 exec_lo, exec_lo, s18
.LBB53_370:
	s_delay_alu instid0(SALU_CYCLE_1)
	s_or_b32 exec_lo, exec_lo, s17
                                        ; implicit-def: $vgpr44
.LBB53_371:
	s_and_not1_saveexec_b32 s10, s16
; %bb.372:
	v_add_f32_e32 v3, v44, v44
; %bb.373:
	s_or_b32 exec_lo, exec_lo, s10
.LBB53_374:
	s_delay_alu instid0(SALU_CYCLE_1)
	s_or_b32 exec_lo, exec_lo, s14
.LBB53_375:
	s_delay_alu instid0(SALU_CYCLE_1) | instskip(SKIP_2) | instid1(VALU_DEP_1)
	s_or_b32 exec_lo, exec_lo, s13
	v_trunc_f32_e32 v33, v4
	s_mov_b32 s13, exec_lo
	v_mul_f32_e64 v34, 0x2f800000, |v33|
	s_delay_alu instid0(VALU_DEP_1) | instskip(NEXT) | instid1(VALU_DEP_1)
	v_floor_f32_e32 v34, v34
	v_fma_f32 v44, 0xcf800000, v34, |v33|
	v_ashrrev_i32_e32 v33, 31, v33
	v_cvt_u32_f32_e32 v34, v34
	s_delay_alu instid0(VALU_DEP_3) | instskip(NEXT) | instid1(VALU_DEP_2)
	v_cvt_u32_f32_e32 v44, v44
	v_xor_b32_e32 v34, v34, v33
	s_delay_alu instid0(VALU_DEP_2) | instskip(NEXT) | instid1(VALU_DEP_1)
	v_xor_b32_e32 v44, v44, v33
	v_sub_co_u32 v44, vcc_lo, v44, v33
	s_delay_alu instid0(VALU_DEP_3) | instskip(SKIP_2) | instid1(VALU_DEP_3)
	v_sub_co_ci_u32_e32 v33, vcc_lo, v34, v33, vcc_lo
	v_cmp_class_f32_e64 vcc_lo, v4, 0x1f8
	v_mov_b32_e32 v4, 0
	v_dual_cndmask_b32 v34, -1, v33 :: v_dual_cndmask_b32 v33, -1, v44
	s_delay_alu instid0(VALU_DEP_1)
	v_cmpx_lt_i64_e32 -1, v[33:34]
	s_cbranch_execz .LBB53_387
; %bb.376:
	v_mov_b32_e32 v4, 1.0
	s_mov_b32 s14, exec_lo
	v_cmpx_lt_i64_e32 0, v[33:34]
	s_cbranch_execz .LBB53_386
; %bb.377:
	v_and_b32_e32 v43, 0xffff0000, v43
	s_mov_b32 s10, exec_lo
	v_cmpx_ne_u64_e32 1, v[33:34]
	s_xor_b32 s16, exec_lo, s10
	s_cbranch_execz .LBB53_383
; %bb.378:
	v_mov_b32_e32 v4, 0x7fc00000
	s_mov_b32 s17, exec_lo
	v_cmpx_gt_u64_e32 0x81, v[33:34]
	s_cbranch_execz .LBB53_382
; %bb.379:
	v_dual_add_f32 v43, v43, v43 :: v_dual_mov_b32 v44, 1.0
	v_lshlrev_b64 v[33:34], 1, v[33:34]
	s_mov_b64 s[10:11], 2
	s_mov_b32 s18, 0
	s_delay_alu instid0(VALU_DEP_2)
	v_mov_b32_e32 v4, v43
	.p2align	6
.LBB53_380:                             ; =>This Inner Loop Header: Depth=1
	s_clz_i32_u32 s19, s11
	s_delay_alu instid0(SALU_CYCLE_1) | instskip(NEXT) | instid1(SALU_CYCLE_1)
	s_min_u32 s19, s19, 32
	s_lshl_b64 s[20:21], s[10:11], s19
	s_sub_i32 s19, 32, s19
	s_min_u32 s20, s20, 1
	s_delay_alu instid0(SALU_CYCLE_1) | instskip(SKIP_3) | instid1(SALU_CYCLE_1)
	s_or_b32 s20, s21, s20
	s_add_u32 s10, s10, 2
	v_cvt_f32_u32_e32 v45, s20
	s_addc_u32 s11, s11, 0
	v_cmp_ge_u64_e32 vcc_lo, s[10:11], v[33:34]
	s_delay_alu instid0(VALU_DEP_2) | instskip(SKIP_1) | instid1(VALU_DEP_1)
	v_ldexp_f32 v45, v45, s19
	s_or_b32 s18, vcc_lo, s18
	v_mul_f32_e32 v45, v44, v45
	v_mov_b32_e32 v44, v4
	s_delay_alu instid0(VALU_DEP_2)
	v_fma_f32 v4, v43, v4, -v45
	s_and_not1_b32 exec_lo, exec_lo, s18
	s_cbranch_execnz .LBB53_380
; %bb.381:
	s_or_b32 exec_lo, exec_lo, s18
.LBB53_382:
	s_delay_alu instid0(SALU_CYCLE_1)
	s_or_b32 exec_lo, exec_lo, s17
                                        ; implicit-def: $vgpr43
.LBB53_383:
	s_and_not1_saveexec_b32 s10, s16
; %bb.384:
	v_add_f32_e32 v4, v43, v43
; %bb.385:
	s_or_b32 exec_lo, exec_lo, s10
.LBB53_386:
	s_delay_alu instid0(SALU_CYCLE_1)
	s_or_b32 exec_lo, exec_lo, s14
.LBB53_387:
	s_delay_alu instid0(SALU_CYCLE_1) | instskip(SKIP_3) | instid1(VALU_DEP_1)
	s_or_b32 exec_lo, exec_lo, s13
	s_add_u32 s10, s4, s8
	s_addc_u32 s11, s5, s9
	v_add_co_u32 v49, s8, s10, v36
	v_add_co_ci_u32_e64 v50, null, s11, 0, s8
	s_delay_alu instid0(VALU_DEP_2) | instskip(NEXT) | instid1(VALU_DEP_2)
	v_add_co_u32 v33, vcc_lo, 0x1000, v49
	v_add_co_ci_u32_e32 v34, vcc_lo, 0, v50, vcc_lo
	v_add_co_u32 v43, vcc_lo, 0x3000, v49
	v_add_co_ci_u32_e32 v44, vcc_lo, 0, v50, vcc_lo
	;; [unrolled: 2-line block ×4, first 2 shown]
	s_clause 0x7
	global_store_b64 v36, v[1:2], s[10:11]
	global_store_b64 v40, v[9:10], s[10:11]
	;; [unrolled: 1-line block ×4, first 2 shown]
	global_store_b64 v[33:34], v[5:6], off
	global_store_b64 v[43:44], v[13:14], off
	;; [unrolled: 1-line block ×4, first 2 shown]
	v_add_co_u32 v1, vcc_lo, 0x9000, v49
	v_add_co_ci_u32_e32 v2, vcc_lo, 0, v50, vcc_lo
	v_add_co_u32 v5, vcc_lo, 0xb000, v49
	v_add_co_ci_u32_e32 v6, vcc_lo, 0, v50, vcc_lo
	;; [unrolled: 2-line block ×4, first 2 shown]
	s_clause 0x7
	global_store_b64 v35, v[31:32], s[10:11]
	global_store_b64 v37, v[23:24], s[10:11]
	;; [unrolled: 1-line block ×4, first 2 shown]
	global_store_b64 v[1:2], v[27:28], off
	global_store_b64 v[5:6], v[19:20], off
	;; [unrolled: 1-line block ×4, first 2 shown]
	s_branch .LBB53_2
.LBB53_388:
	s_clause 0x1
	s_load_b32 s10, s[0:1], 0x24
	s_load_b128 s[16:19], s[0:1], 0x28
	v_dual_mov_b32 v31, v0 :: v_dual_mov_b32 v0, s4
	v_dual_mov_b32 v1, s5 :: v_dual_mov_b32 v2, s6
	;; [unrolled: 1-line block ×4, first 2 shown]
	s_add_u32 s8, s0, 56
	s_addc_u32 s9, s1, 0
	s_mov_b32 s12, s15
	s_getpc_b64 s[0:1]
	s_add_u32 s0, s0, _ZN2at6native25elementwise_kernel_helperILb1ENS0_13BinaryFunctorIfffZZZNS0_12_GLOBAL__N_132hermite_polynomial_h_kernel_cudaERNS_18TensorIteratorBaseEENKUlvE_clEvENKUlvE0_clEvEUlffE_EENS0_6memory8policies11unroll_baseILi512ESt5arrayIPcLm3EE23TrivialOffsetCalculatorILi2EjESG_ILi1EjENSA_12LoadWithCastILi2EEENSA_13StoreWithCastILi1EEELi32ELi1EEEEEvT0_T1_@rel32@lo+4
	s_addc_u32 s1, s1, _ZN2at6native25elementwise_kernel_helperILb1ENS0_13BinaryFunctorIfffZZZNS0_12_GLOBAL__N_132hermite_polynomial_h_kernel_cudaERNS_18TensorIteratorBaseEENKUlvE_clEvENKUlvE0_clEvEUlffE_EENS0_6memory8policies11unroll_baseILi512ESt5arrayIPcLm3EE23TrivialOffsetCalculatorILi2EjESG_ILi1EjENSA_12LoadWithCastILi2EEENSA_13StoreWithCastILi1EEELi32ELi1EEEEEvT0_T1_@rel32@hi+12
	s_waitcnt lgkmcnt(0)
	v_lshrrev_b16 v8, 8, s10
	v_dual_mov_b32 v7, s10 :: v_dual_mov_b32 v10, s17
	v_dual_mov_b32 v9, s16 :: v_dual_mov_b32 v12, s19
	v_mov_b32_e32 v11, s18
	s_swappc_b64 s[30:31], s[0:1]
	s_endpgm
	.section	.rodata,"a",@progbits
	.p2align	6, 0x0
	.amdhsa_kernel _ZN2at6native39vectorized_templated_elementwise_kernelILi2ENS0_13BinaryFunctorIfffZZZNS0_12_GLOBAL__N_132hermite_polynomial_h_kernel_cudaERNS_18TensorIteratorBaseEENKUlvE_clEvENKUlvE0_clEvEUlffE_EESt5arrayIPcLm3EE23TrivialOffsetCalculatorILi2EjESD_ILi1EjENS0_6memory12LoadWithCastILi2EEENSG_13StoreWithCastILi1EEEfJN3c108BFloat16EfEEEviT0_T1_T2_T3_T4_T5_
		.amdhsa_group_segment_fixed_size 0
		.amdhsa_private_segment_fixed_size 272
		.amdhsa_kernarg_size 312
		.amdhsa_user_sgpr_count 15
		.amdhsa_user_sgpr_dispatch_ptr 0
		.amdhsa_user_sgpr_queue_ptr 0
		.amdhsa_user_sgpr_kernarg_segment_ptr 1
		.amdhsa_user_sgpr_dispatch_id 0
		.amdhsa_user_sgpr_private_segment_size 0
		.amdhsa_wavefront_size32 1
		.amdhsa_uses_dynamic_stack 0
		.amdhsa_enable_private_segment 1
		.amdhsa_system_sgpr_workgroup_id_x 1
		.amdhsa_system_sgpr_workgroup_id_y 0
		.amdhsa_system_sgpr_workgroup_id_z 0
		.amdhsa_system_sgpr_workgroup_info 0
		.amdhsa_system_vgpr_workitem_id 0
		.amdhsa_next_free_vgpr 68
		.amdhsa_next_free_sgpr 77
		.amdhsa_reserve_vcc 1
		.amdhsa_float_round_mode_32 0
		.amdhsa_float_round_mode_16_64 0
		.amdhsa_float_denorm_mode_32 3
		.amdhsa_float_denorm_mode_16_64 3
		.amdhsa_dx10_clamp 1
		.amdhsa_ieee_mode 1
		.amdhsa_fp16_overflow 0
		.amdhsa_workgroup_processor_mode 1
		.amdhsa_memory_ordered 1
		.amdhsa_forward_progress 0
		.amdhsa_shared_vgpr_count 0
		.amdhsa_exception_fp_ieee_invalid_op 0
		.amdhsa_exception_fp_denorm_src 0
		.amdhsa_exception_fp_ieee_div_zero 0
		.amdhsa_exception_fp_ieee_overflow 0
		.amdhsa_exception_fp_ieee_underflow 0
		.amdhsa_exception_fp_ieee_inexact 0
		.amdhsa_exception_int_div_zero 0
	.end_amdhsa_kernel
	.section	.text._ZN2at6native39vectorized_templated_elementwise_kernelILi2ENS0_13BinaryFunctorIfffZZZNS0_12_GLOBAL__N_132hermite_polynomial_h_kernel_cudaERNS_18TensorIteratorBaseEENKUlvE_clEvENKUlvE0_clEvEUlffE_EESt5arrayIPcLm3EE23TrivialOffsetCalculatorILi2EjESD_ILi1EjENS0_6memory12LoadWithCastILi2EEENSG_13StoreWithCastILi1EEEfJN3c108BFloat16EfEEEviT0_T1_T2_T3_T4_T5_,"axG",@progbits,_ZN2at6native39vectorized_templated_elementwise_kernelILi2ENS0_13BinaryFunctorIfffZZZNS0_12_GLOBAL__N_132hermite_polynomial_h_kernel_cudaERNS_18TensorIteratorBaseEENKUlvE_clEvENKUlvE0_clEvEUlffE_EESt5arrayIPcLm3EE23TrivialOffsetCalculatorILi2EjESD_ILi1EjENS0_6memory12LoadWithCastILi2EEENSG_13StoreWithCastILi1EEEfJN3c108BFloat16EfEEEviT0_T1_T2_T3_T4_T5_,comdat
.Lfunc_end53:
	.size	_ZN2at6native39vectorized_templated_elementwise_kernelILi2ENS0_13BinaryFunctorIfffZZZNS0_12_GLOBAL__N_132hermite_polynomial_h_kernel_cudaERNS_18TensorIteratorBaseEENKUlvE_clEvENKUlvE0_clEvEUlffE_EESt5arrayIPcLm3EE23TrivialOffsetCalculatorILi2EjESD_ILi1EjENS0_6memory12LoadWithCastILi2EEENSG_13StoreWithCastILi1EEEfJN3c108BFloat16EfEEEviT0_T1_T2_T3_T4_T5_, .Lfunc_end53-_ZN2at6native39vectorized_templated_elementwise_kernelILi2ENS0_13BinaryFunctorIfffZZZNS0_12_GLOBAL__N_132hermite_polynomial_h_kernel_cudaERNS_18TensorIteratorBaseEENKUlvE_clEvENKUlvE0_clEvEUlffE_EESt5arrayIPcLm3EE23TrivialOffsetCalculatorILi2EjESD_ILi1EjENS0_6memory12LoadWithCastILi2EEENSG_13StoreWithCastILi1EEEfJN3c108BFloat16EfEEEviT0_T1_T2_T3_T4_T5_
                                        ; -- End function
	.section	.AMDGPU.csdata,"",@progbits
; Kernel info:
; codeLenInByte = 12360
; NumSgprs: 79
; NumVgprs: 68
; ScratchSize: 272
; MemoryBound: 0
; FloatMode: 240
; IeeeMode: 1
; LDSByteSize: 0 bytes/workgroup (compile time only)
; SGPRBlocks: 9
; VGPRBlocks: 8
; NumSGPRsForWavesPerEU: 79
; NumVGPRsForWavesPerEU: 68
; Occupancy: 16
; WaveLimiterHint : 0
; COMPUTE_PGM_RSRC2:SCRATCH_EN: 1
; COMPUTE_PGM_RSRC2:USER_SGPR: 15
; COMPUTE_PGM_RSRC2:TRAP_HANDLER: 0
; COMPUTE_PGM_RSRC2:TGID_X_EN: 1
; COMPUTE_PGM_RSRC2:TGID_Y_EN: 0
; COMPUTE_PGM_RSRC2:TGID_Z_EN: 0
; COMPUTE_PGM_RSRC2:TIDIG_COMP_CNT: 0
	.section	.text._ZN2at6native39vectorized_templated_elementwise_kernelILi8ENS0_13BinaryFunctorIfffZZZNS0_12_GLOBAL__N_132hermite_polynomial_h_kernel_cudaERNS_18TensorIteratorBaseEENKUlvE_clEvENKUlvE0_clEvEUlffE_EESt5arrayIPcLm3EE23TrivialOffsetCalculatorILi2EjESD_ILi1EjENS0_6memory12LoadWithCastILi2EEENSG_13StoreWithCastILi1EEEN3c108BFloat16EJSM_fEEEviT0_T1_T2_T3_T4_T5_,"axG",@progbits,_ZN2at6native39vectorized_templated_elementwise_kernelILi8ENS0_13BinaryFunctorIfffZZZNS0_12_GLOBAL__N_132hermite_polynomial_h_kernel_cudaERNS_18TensorIteratorBaseEENKUlvE_clEvENKUlvE0_clEvEUlffE_EESt5arrayIPcLm3EE23TrivialOffsetCalculatorILi2EjESD_ILi1EjENS0_6memory12LoadWithCastILi2EEENSG_13StoreWithCastILi1EEEN3c108BFloat16EJSM_fEEEviT0_T1_T2_T3_T4_T5_,comdat
	.globl	_ZN2at6native39vectorized_templated_elementwise_kernelILi8ENS0_13BinaryFunctorIfffZZZNS0_12_GLOBAL__N_132hermite_polynomial_h_kernel_cudaERNS_18TensorIteratorBaseEENKUlvE_clEvENKUlvE0_clEvEUlffE_EESt5arrayIPcLm3EE23TrivialOffsetCalculatorILi2EjESD_ILi1EjENS0_6memory12LoadWithCastILi2EEENSG_13StoreWithCastILi1EEEN3c108BFloat16EJSM_fEEEviT0_T1_T2_T3_T4_T5_ ; -- Begin function _ZN2at6native39vectorized_templated_elementwise_kernelILi8ENS0_13BinaryFunctorIfffZZZNS0_12_GLOBAL__N_132hermite_polynomial_h_kernel_cudaERNS_18TensorIteratorBaseEENKUlvE_clEvENKUlvE0_clEvEUlffE_EESt5arrayIPcLm3EE23TrivialOffsetCalculatorILi2EjESD_ILi1EjENS0_6memory12LoadWithCastILi2EEENSG_13StoreWithCastILi1EEEN3c108BFloat16EJSM_fEEEviT0_T1_T2_T3_T4_T5_
	.p2align	8
	.type	_ZN2at6native39vectorized_templated_elementwise_kernelILi8ENS0_13BinaryFunctorIfffZZZNS0_12_GLOBAL__N_132hermite_polynomial_h_kernel_cudaERNS_18TensorIteratorBaseEENKUlvE_clEvENKUlvE0_clEvEUlffE_EESt5arrayIPcLm3EE23TrivialOffsetCalculatorILi2EjESD_ILi1EjENS0_6memory12LoadWithCastILi2EEENSG_13StoreWithCastILi1EEEN3c108BFloat16EJSM_fEEEviT0_T1_T2_T3_T4_T5_,@function
_ZN2at6native39vectorized_templated_elementwise_kernelILi8ENS0_13BinaryFunctorIfffZZZNS0_12_GLOBAL__N_132hermite_polynomial_h_kernel_cudaERNS_18TensorIteratorBaseEENKUlvE_clEvENKUlvE0_clEvEUlffE_EESt5arrayIPcLm3EE23TrivialOffsetCalculatorILi2EjESD_ILi1EjENS0_6memory12LoadWithCastILi2EEENSG_13StoreWithCastILi1EEEN3c108BFloat16EJSM_fEEEviT0_T1_T2_T3_T4_T5_: ; @_ZN2at6native39vectorized_templated_elementwise_kernelILi8ENS0_13BinaryFunctorIfffZZZNS0_12_GLOBAL__N_132hermite_polynomial_h_kernel_cudaERNS_18TensorIteratorBaseEENKUlvE_clEvENKUlvE0_clEvEUlffE_EESt5arrayIPcLm3EE23TrivialOffsetCalculatorILi2EjESD_ILi1EjENS0_6memory12LoadWithCastILi2EEENSG_13StoreWithCastILi1EEEN3c108BFloat16EJSM_fEEEviT0_T1_T2_T3_T4_T5_
; %bb.0:
	s_clause 0x3
	s_load_b32 s2, s[0:1], 0x38
	s_load_b32 s3, s[0:1], 0x0
	s_load_b64 s[10:11], s[0:1], 0x18
	s_load_b128 s[4:7], s[0:1], 0x8
	s_not_b32 s8, s15
	s_mov_b32 s32, 0
	s_waitcnt lgkmcnt(0)
	s_add_i32 s2, s2, s8
	s_mov_b32 s8, -1
	s_lshl_b32 s2, s2, 14
	s_delay_alu instid0(SALU_CYCLE_1) | instskip(NEXT) | instid1(SALU_CYCLE_1)
	s_sub_i32 s12, s3, s2
	s_cmpk_gt_i32 s12, 0x3fff
	s_cbranch_scc1 .LBB54_3
; %bb.1:
	s_and_b32 vcc_lo, exec_lo, s8
	s_cbranch_vccnz .LBB54_388
.LBB54_2:
	s_nop 0
	s_sendmsg sendmsg(MSG_DEALLOC_VGPRS)
	s_endpgm
.LBB54_3:
	s_ashr_i32 s3, s2, 31
	v_lshlrev_b32_e32 v1, 5, v0
	s_lshl_b64 s[8:9], s[2:3], 1
	v_lshlrev_b32_e32 v51, 4, v0
	s_add_u32 s16, s6, s8
	s_addc_u32 s17, s7, s9
	s_lshl_b64 s[2:3], s[2:3], 2
	v_or_b32_e32 v2, 0x400, v0
	s_add_u32 s2, s10, s2
	s_addc_u32 s3, s11, s3
	v_add_co_u32 v3, s13, s16, v51
	s_clause 0x1
	global_load_b128 v[45:48], v1, s[2:3]
	global_load_b128 v[41:44], v1, s[2:3] offset:16
	v_lshlrev_b32_e32 v52, 4, v2
	v_lshlrev_b32_e32 v2, 5, v2
	v_add_co_ci_u32_e64 v4, null, s17, 0, s13
	v_add_co_u32 v7, s13, s2, v1
	v_add_co_u32 v1, vcc_lo, 0x2000, v3
	s_clause 0x1
	global_load_b128 v[17:20], v2, s[2:3] offset:16
	global_load_b128 v[21:24], v2, s[2:3]
	v_add_co_ci_u32_e32 v2, vcc_lo, 0, v4, vcc_lo
	v_add_co_ci_u32_e64 v8, null, s3, 0, s13
	v_add_co_u32 v3, vcc_lo, 0x6000, v3
	v_add_co_ci_u32_e32 v4, vcc_lo, 0, v4, vcc_lo
	v_add_co_u32 v5, vcc_lo, 0x4000, v7
	s_delay_alu instid0(VALU_DEP_4)
	v_add_co_ci_u32_e32 v6, vcc_lo, 0, v8, vcc_lo
	v_add_co_u32 v7, vcc_lo, 0xc000, v7
	v_add_co_ci_u32_e32 v8, vcc_lo, 0, v8, vcc_lo
	s_mov_b32 s13, exec_lo
	s_waitcnt vmcnt(3)
	v_bfe_u32 v49, v45, 16, 1
	v_cmp_u_f32_e32 vcc_lo, v45, v45
	s_delay_alu instid0(VALU_DEP_2) | instskip(NEXT) | instid1(VALU_DEP_1)
	v_add3_u32 v49, v45, v49, 0x7fff
	v_and_b32_e32 v49, 0xffff0000, v49
	s_delay_alu instid0(VALU_DEP_1) | instskip(SKIP_1) | instid1(VALU_DEP_2)
	v_cndmask_b32_e64 v45, v49, 0x7fc00000, vcc_lo
	v_and_b32_e32 v49, 0x7fffffff, v49
	v_trunc_f32_e32 v45, v45
	s_delay_alu instid0(VALU_DEP_2) | instskip(NEXT) | instid1(VALU_DEP_2)
	v_cmp_nlg_f32_e64 s2, 0x7f800000, v49
	v_mul_f32_e64 v50, 0x2f800000, |v45|
	s_delay_alu instid0(VALU_DEP_2) | instskip(NEXT) | instid1(VALU_DEP_1)
	s_or_b32 s2, vcc_lo, s2
	v_floor_f32_e32 v50, v50
	s_delay_alu instid0(VALU_DEP_1) | instskip(SKIP_2) | instid1(VALU_DEP_3)
	v_fma_f32 v53, 0xcf800000, v50, |v45|
	v_ashrrev_i32_e32 v45, 31, v45
	v_cvt_u32_f32_e32 v50, v50
	v_cvt_u32_f32_e32 v53, v53
	s_delay_alu instid0(VALU_DEP_2) | instskip(NEXT) | instid1(VALU_DEP_2)
	v_xor_b32_e32 v50, v50, v45
	v_xor_b32_e32 v53, v53, v45
	s_delay_alu instid0(VALU_DEP_1)
	v_sub_co_u32 v49, s3, v53, v45
	v_mov_b32_e32 v53, 0
	s_clause 0x3
	global_load_b128 v[37:40], v51, s[16:17]
	global_load_b128 v[25:28], v[1:2], off
	global_load_b128 v[13:16], v52, s[16:17]
	global_load_b128 v[1:4], v[3:4], off
	s_clause 0x3
	global_load_b128 v[33:36], v[5:6], off
	global_load_b128 v[29:32], v[5:6], off offset:16
	global_load_b128 v[9:12], v[7:8], off
	global_load_b128 v[5:8], v[7:8], off offset:16
	v_sub_co_ci_u32_e64 v45, s3, v50, v45, s3
	v_cndmask_b32_e64 v49, v49, -1, s2
	s_delay_alu instid0(VALU_DEP_2) | instskip(NEXT) | instid1(VALU_DEP_1)
	v_cndmask_b32_e64 v50, v45, -1, s2
	v_cmpx_lt_i64_e32 -1, v[49:50]
	s_cbranch_execz .LBB54_15
; %bb.4:
	v_mov_b32_e32 v53, 1.0
	s_mov_b32 s14, exec_lo
	v_cmpx_lt_i64_e32 0, v[49:50]
	s_cbranch_execz .LBB54_14
; %bb.5:
	s_waitcnt vmcnt(7)
	v_lshlrev_b32_e32 v45, 16, v37
                                        ; implicit-def: $vgpr53
	s_mov_b32 s2, exec_lo
	v_cmpx_ne_u64_e32 1, v[49:50]
	s_xor_b32 s16, exec_lo, s2
	s_cbranch_execz .LBB54_11
; %bb.6:
	v_mov_b32_e32 v53, 0x7fc00000
	s_mov_b32 s17, exec_lo
	v_cmpx_gt_u64_e32 0x81, v[49:50]
	s_cbranch_execz .LBB54_10
; %bb.7:
	v_dual_add_f32 v45, v45, v45 :: v_dual_mov_b32 v54, 1.0
	v_lshlrev_b64 v[49:50], 1, v[49:50]
	s_mov_b64 s[2:3], 2
	s_mov_b32 s18, 0
	s_delay_alu instid0(VALU_DEP_2)
	v_mov_b32_e32 v53, v45
	.p2align	6
.LBB54_8:                               ; =>This Inner Loop Header: Depth=1
	s_clz_i32_u32 s19, s3
	s_delay_alu instid0(SALU_CYCLE_1) | instskip(NEXT) | instid1(SALU_CYCLE_1)
	s_min_u32 s19, s19, 32
	s_lshl_b64 s[20:21], s[2:3], s19
	s_sub_i32 s19, 32, s19
	s_min_u32 s20, s20, 1
	s_delay_alu instid0(SALU_CYCLE_1) | instskip(SKIP_3) | instid1(SALU_CYCLE_1)
	s_or_b32 s20, s21, s20
	s_add_u32 s2, s2, 2
	v_cvt_f32_u32_e32 v55, s20
	s_addc_u32 s3, s3, 0
	v_cmp_ge_u64_e32 vcc_lo, s[2:3], v[49:50]
	s_delay_alu instid0(VALU_DEP_2) | instskip(SKIP_1) | instid1(VALU_DEP_1)
	v_ldexp_f32 v55, v55, s19
	s_or_b32 s18, vcc_lo, s18
	v_dual_mul_f32 v55, v54, v55 :: v_dual_mov_b32 v54, v53
	s_delay_alu instid0(VALU_DEP_1)
	v_fma_f32 v53, v45, v53, -v55
	s_and_not1_b32 exec_lo, exec_lo, s18
	s_cbranch_execnz .LBB54_8
; %bb.9:
	s_or_b32 exec_lo, exec_lo, s18
.LBB54_10:
	s_delay_alu instid0(SALU_CYCLE_1)
	s_or_b32 exec_lo, exec_lo, s17
                                        ; implicit-def: $vgpr45
.LBB54_11:
	s_and_not1_saveexec_b32 s2, s16
; %bb.12:
	v_add_f32_e32 v53, v45, v45
; %bb.13:
	s_or_b32 exec_lo, exec_lo, s2
.LBB54_14:
	s_delay_alu instid0(SALU_CYCLE_1)
	s_or_b32 exec_lo, exec_lo, s14
.LBB54_15:
	s_delay_alu instid0(SALU_CYCLE_1) | instskip(SKIP_3) | instid1(VALU_DEP_2)
	s_or_b32 exec_lo, exec_lo, s13
	v_bfe_u32 v45, v46, 16, 1
	v_cmp_u_f32_e32 vcc_lo, v46, v46
	s_mov_b32 s13, exec_lo
	v_add3_u32 v45, v46, v45, 0x7fff
	s_delay_alu instid0(VALU_DEP_1) | instskip(NEXT) | instid1(VALU_DEP_1)
	v_and_b32_e32 v45, 0xffff0000, v45
	v_cndmask_b32_e64 v46, v45, 0x7fc00000, vcc_lo
	v_and_b32_e32 v45, 0x7fffffff, v45
	s_delay_alu instid0(VALU_DEP_2) | instskip(NEXT) | instid1(VALU_DEP_2)
	v_trunc_f32_e32 v46, v46
	v_cmp_nlg_f32_e64 s2, 0x7f800000, v45
	s_delay_alu instid0(VALU_DEP_2) | instskip(NEXT) | instid1(VALU_DEP_2)
	v_mul_f32_e64 v49, 0x2f800000, |v46|
	s_or_b32 s2, vcc_lo, s2
	s_delay_alu instid0(VALU_DEP_1) | instskip(NEXT) | instid1(VALU_DEP_1)
	v_floor_f32_e32 v49, v49
	v_fma_f32 v50, 0xcf800000, v49, |v46|
	v_ashrrev_i32_e32 v46, 31, v46
	v_cvt_u32_f32_e32 v49, v49
	s_delay_alu instid0(VALU_DEP_3) | instskip(NEXT) | instid1(VALU_DEP_2)
	v_cvt_u32_f32_e32 v50, v50
	v_xor_b32_e32 v49, v49, v46
	s_delay_alu instid0(VALU_DEP_2) | instskip(NEXT) | instid1(VALU_DEP_1)
	v_xor_b32_e32 v50, v50, v46
	v_sub_co_u32 v45, s3, v50, v46
	s_delay_alu instid0(VALU_DEP_1) | instskip(SKIP_1) | instid1(VALU_DEP_3)
	v_sub_co_ci_u32_e64 v46, s3, v49, v46, s3
	v_mov_b32_e32 v49, 0
	v_cndmask_b32_e64 v45, v45, -1, s2
	s_delay_alu instid0(VALU_DEP_3) | instskip(NEXT) | instid1(VALU_DEP_1)
	v_cndmask_b32_e64 v46, v46, -1, s2
	v_cmpx_lt_i64_e32 -1, v[45:46]
	s_cbranch_execz .LBB54_27
; %bb.16:
	v_mov_b32_e32 v49, 1.0
	s_mov_b32 s14, exec_lo
	v_cmpx_lt_i64_e32 0, v[45:46]
	s_cbranch_execz .LBB54_26
; %bb.17:
	s_waitcnt vmcnt(7)
	v_and_b32_e32 v37, 0xffff0000, v37
                                        ; implicit-def: $vgpr49
	s_mov_b32 s2, exec_lo
	v_cmpx_ne_u64_e32 1, v[45:46]
	s_xor_b32 s16, exec_lo, s2
	s_cbranch_execz .LBB54_23
; %bb.18:
	v_mov_b32_e32 v49, 0x7fc00000
	s_mov_b32 s17, exec_lo
	v_cmpx_gt_u64_e32 0x81, v[45:46]
	s_cbranch_execz .LBB54_22
; %bb.19:
	v_dual_add_f32 v37, v37, v37 :: v_dual_mov_b32 v50, 1.0
	v_lshlrev_b64 v[45:46], 1, v[45:46]
	s_mov_b64 s[2:3], 2
	s_mov_b32 s18, 0
	s_delay_alu instid0(VALU_DEP_2)
	v_mov_b32_e32 v49, v37
	.p2align	6
.LBB54_20:                              ; =>This Inner Loop Header: Depth=1
	s_clz_i32_u32 s19, s3
	s_delay_alu instid0(SALU_CYCLE_1) | instskip(NEXT) | instid1(SALU_CYCLE_1)
	s_min_u32 s19, s19, 32
	s_lshl_b64 s[20:21], s[2:3], s19
	s_sub_i32 s19, 32, s19
	s_min_u32 s20, s20, 1
	s_delay_alu instid0(SALU_CYCLE_1) | instskip(SKIP_3) | instid1(SALU_CYCLE_1)
	s_or_b32 s20, s21, s20
	s_add_u32 s2, s2, 2
	v_cvt_f32_u32_e32 v54, s20
	s_addc_u32 s3, s3, 0
	v_cmp_ge_u64_e32 vcc_lo, s[2:3], v[45:46]
	s_delay_alu instid0(VALU_DEP_2) | instskip(SKIP_1) | instid1(VALU_DEP_1)
	v_ldexp_f32 v54, v54, s19
	s_or_b32 s18, vcc_lo, s18
	v_mul_f32_e32 v54, v50, v54
	v_mov_b32_e32 v50, v49
	s_delay_alu instid0(VALU_DEP_2)
	v_fma_f32 v49, v37, v49, -v54
	s_and_not1_b32 exec_lo, exec_lo, s18
	s_cbranch_execnz .LBB54_20
; %bb.21:
	s_or_b32 exec_lo, exec_lo, s18
.LBB54_22:
	s_delay_alu instid0(SALU_CYCLE_1)
	s_or_b32 exec_lo, exec_lo, s17
                                        ; implicit-def: $vgpr37
.LBB54_23:
	s_and_not1_saveexec_b32 s2, s16
; %bb.24:
	v_add_f32_e32 v49, v37, v37
; %bb.25:
	s_or_b32 exec_lo, exec_lo, s2
.LBB54_26:
	s_delay_alu instid0(SALU_CYCLE_1)
	s_or_b32 exec_lo, exec_lo, s14
.LBB54_27:
	s_delay_alu instid0(SALU_CYCLE_1) | instskip(SKIP_4) | instid1(VALU_DEP_2)
	s_or_b32 exec_lo, exec_lo, s13
	s_waitcnt vmcnt(7)
	v_bfe_u32 v37, v47, 16, 1
	v_cmp_u_f32_e32 vcc_lo, v47, v47
	s_mov_b32 s13, exec_lo
	v_add3_u32 v37, v47, v37, 0x7fff
	s_delay_alu instid0(VALU_DEP_1) | instskip(NEXT) | instid1(VALU_DEP_1)
	v_and_b32_e32 v37, 0xffff0000, v37
	v_cndmask_b32_e64 v45, v37, 0x7fc00000, vcc_lo
	v_and_b32_e32 v37, 0x7fffffff, v37
	s_delay_alu instid0(VALU_DEP_2) | instskip(NEXT) | instid1(VALU_DEP_2)
	v_trunc_f32_e32 v45, v45
	v_cmp_nlg_f32_e64 s2, 0x7f800000, v37
	s_delay_alu instid0(VALU_DEP_2) | instskip(NEXT) | instid1(VALU_DEP_2)
	v_mul_f32_e64 v46, 0x2f800000, |v45|
	s_or_b32 s2, vcc_lo, s2
	s_delay_alu instid0(VALU_DEP_1) | instskip(NEXT) | instid1(VALU_DEP_1)
	v_floor_f32_e32 v46, v46
	v_fma_f32 v47, 0xcf800000, v46, |v45|
	v_ashrrev_i32_e32 v45, 31, v45
	v_cvt_u32_f32_e32 v46, v46
	s_delay_alu instid0(VALU_DEP_3) | instskip(NEXT) | instid1(VALU_DEP_2)
	v_cvt_u32_f32_e32 v47, v47
	v_xor_b32_e32 v46, v46, v45
	s_delay_alu instid0(VALU_DEP_2) | instskip(NEXT) | instid1(VALU_DEP_1)
	v_xor_b32_e32 v47, v47, v45
	v_sub_co_u32 v37, s3, v47, v45
	s_delay_alu instid0(VALU_DEP_1) | instskip(SKIP_1) | instid1(VALU_DEP_2)
	v_sub_co_ci_u32_e64 v45, s3, v46, v45, s3
	v_mov_b32_e32 v47, 0
	v_cndmask_b32_e64 v46, v45, -1, s2
	s_delay_alu instid0(VALU_DEP_4) | instskip(NEXT) | instid1(VALU_DEP_1)
	v_cndmask_b32_e64 v45, v37, -1, s2
	v_cmpx_lt_i64_e32 -1, v[45:46]
	s_cbranch_execz .LBB54_39
; %bb.28:
	v_mov_b32_e32 v47, 1.0
	s_mov_b32 s14, exec_lo
	v_cmpx_lt_i64_e32 0, v[45:46]
	s_cbranch_execz .LBB54_38
; %bb.29:
	v_lshlrev_b32_e32 v37, 16, v38
                                        ; implicit-def: $vgpr47
	s_mov_b32 s2, exec_lo
	v_cmpx_ne_u64_e32 1, v[45:46]
	s_xor_b32 s16, exec_lo, s2
	s_cbranch_execz .LBB54_35
; %bb.30:
	v_mov_b32_e32 v47, 0x7fc00000
	s_mov_b32 s17, exec_lo
	v_cmpx_gt_u64_e32 0x81, v[45:46]
	s_cbranch_execz .LBB54_34
; %bb.31:
	v_dual_add_f32 v37, v37, v37 :: v_dual_mov_b32 v50, 1.0
	v_lshlrev_b64 v[45:46], 1, v[45:46]
	s_mov_b64 s[2:3], 2
	s_mov_b32 s18, 0
	s_delay_alu instid0(VALU_DEP_2)
	v_mov_b32_e32 v47, v37
	.p2align	6
.LBB54_32:                              ; =>This Inner Loop Header: Depth=1
	s_clz_i32_u32 s19, s3
	s_delay_alu instid0(SALU_CYCLE_1) | instskip(NEXT) | instid1(SALU_CYCLE_1)
	s_min_u32 s19, s19, 32
	s_lshl_b64 s[20:21], s[2:3], s19
	s_sub_i32 s19, 32, s19
	s_min_u32 s20, s20, 1
	s_delay_alu instid0(SALU_CYCLE_1) | instskip(SKIP_3) | instid1(SALU_CYCLE_1)
	s_or_b32 s20, s21, s20
	s_add_u32 s2, s2, 2
	v_cvt_f32_u32_e32 v54, s20
	s_addc_u32 s3, s3, 0
	v_cmp_ge_u64_e32 vcc_lo, s[2:3], v[45:46]
	s_delay_alu instid0(VALU_DEP_2) | instskip(SKIP_1) | instid1(VALU_DEP_1)
	v_ldexp_f32 v54, v54, s19
	s_or_b32 s18, vcc_lo, s18
	v_mul_f32_e32 v54, v50, v54
	v_mov_b32_e32 v50, v47
	s_delay_alu instid0(VALU_DEP_2)
	v_fma_f32 v47, v37, v47, -v54
	s_and_not1_b32 exec_lo, exec_lo, s18
	s_cbranch_execnz .LBB54_32
; %bb.33:
	s_or_b32 exec_lo, exec_lo, s18
.LBB54_34:
	s_delay_alu instid0(SALU_CYCLE_1)
	s_or_b32 exec_lo, exec_lo, s17
                                        ; implicit-def: $vgpr37
.LBB54_35:
	s_and_not1_saveexec_b32 s2, s16
; %bb.36:
	v_add_f32_e32 v47, v37, v37
; %bb.37:
	s_or_b32 exec_lo, exec_lo, s2
.LBB54_38:
	s_delay_alu instid0(SALU_CYCLE_1)
	s_or_b32 exec_lo, exec_lo, s14
.LBB54_39:
	s_delay_alu instid0(SALU_CYCLE_1) | instskip(SKIP_3) | instid1(VALU_DEP_2)
	s_or_b32 exec_lo, exec_lo, s13
	v_bfe_u32 v37, v48, 16, 1
	v_cmp_u_f32_e32 vcc_lo, v48, v48
	s_mov_b32 s13, exec_lo
	v_add3_u32 v37, v48, v37, 0x7fff
	s_delay_alu instid0(VALU_DEP_1) | instskip(NEXT) | instid1(VALU_DEP_1)
	v_and_b32_e32 v37, 0xffff0000, v37
	v_cndmask_b32_e64 v45, v37, 0x7fc00000, vcc_lo
	v_and_b32_e32 v37, 0x7fffffff, v37
	s_delay_alu instid0(VALU_DEP_2) | instskip(NEXT) | instid1(VALU_DEP_2)
	v_trunc_f32_e32 v45, v45
	v_cmp_nlg_f32_e64 s2, 0x7f800000, v37
	s_delay_alu instid0(VALU_DEP_2) | instskip(NEXT) | instid1(VALU_DEP_2)
	v_mul_f32_e64 v46, 0x2f800000, |v45|
	s_or_b32 s2, vcc_lo, s2
	s_delay_alu instid0(VALU_DEP_1) | instskip(NEXT) | instid1(VALU_DEP_1)
	v_floor_f32_e32 v46, v46
	v_fma_f32 v48, 0xcf800000, v46, |v45|
	v_ashrrev_i32_e32 v45, 31, v45
	v_cvt_u32_f32_e32 v46, v46
	s_delay_alu instid0(VALU_DEP_3) | instskip(NEXT) | instid1(VALU_DEP_2)
	v_cvt_u32_f32_e32 v48, v48
	v_xor_b32_e32 v46, v46, v45
	s_delay_alu instid0(VALU_DEP_2) | instskip(NEXT) | instid1(VALU_DEP_1)
	v_xor_b32_e32 v48, v48, v45
	v_sub_co_u32 v37, s3, v48, v45
	v_mov_b32_e32 v48, 0
	s_delay_alu instid0(VALU_DEP_4) | instskip(NEXT) | instid1(VALU_DEP_1)
	v_sub_co_ci_u32_e64 v45, s3, v46, v45, s3
	v_cndmask_b32_e64 v46, v45, -1, s2
	s_delay_alu instid0(VALU_DEP_4) | instskip(NEXT) | instid1(VALU_DEP_1)
	v_cndmask_b32_e64 v45, v37, -1, s2
	v_cmpx_lt_i64_e32 -1, v[45:46]
	s_cbranch_execz .LBB54_51
; %bb.40:
	v_mov_b32_e32 v48, 1.0
	s_mov_b32 s14, exec_lo
	v_cmpx_lt_i64_e32 0, v[45:46]
	s_cbranch_execz .LBB54_50
; %bb.41:
	v_and_b32_e32 v37, 0xffff0000, v38
                                        ; implicit-def: $vgpr48
	s_mov_b32 s2, exec_lo
	v_cmpx_ne_u64_e32 1, v[45:46]
	s_xor_b32 s16, exec_lo, s2
	s_cbranch_execz .LBB54_47
; %bb.42:
	v_mov_b32_e32 v48, 0x7fc00000
	s_mov_b32 s17, exec_lo
	v_cmpx_gt_u64_e32 0x81, v[45:46]
	s_cbranch_execz .LBB54_46
; %bb.43:
	v_add_f32_e32 v50, v37, v37
	v_lshlrev_b64 v[37:38], 1, v[45:46]
	v_mov_b32_e32 v45, 1.0
	s_mov_b64 s[2:3], 2
	s_mov_b32 s18, 0
	v_mov_b32_e32 v48, v50
	.p2align	6
.LBB54_44:                              ; =>This Inner Loop Header: Depth=1
	s_clz_i32_u32 s19, s3
	s_delay_alu instid0(SALU_CYCLE_1) | instskip(NEXT) | instid1(SALU_CYCLE_1)
	s_min_u32 s19, s19, 32
	s_lshl_b64 s[20:21], s[2:3], s19
	s_sub_i32 s19, 32, s19
	s_min_u32 s20, s20, 1
	s_delay_alu instid0(SALU_CYCLE_1) | instskip(SKIP_3) | instid1(SALU_CYCLE_1)
	s_or_b32 s20, s21, s20
	s_add_u32 s2, s2, 2
	v_cvt_f32_u32_e32 v46, s20
	s_addc_u32 s3, s3, 0
	v_cmp_ge_u64_e32 vcc_lo, s[2:3], v[37:38]
	s_delay_alu instid0(VALU_DEP_2) | instskip(SKIP_1) | instid1(VALU_DEP_1)
	v_ldexp_f32 v46, v46, s19
	s_or_b32 s18, vcc_lo, s18
	v_dual_mul_f32 v46, v45, v46 :: v_dual_mov_b32 v45, v48
	s_delay_alu instid0(VALU_DEP_1)
	v_fma_f32 v48, v50, v48, -v46
	s_and_not1_b32 exec_lo, exec_lo, s18
	s_cbranch_execnz .LBB54_44
; %bb.45:
	s_or_b32 exec_lo, exec_lo, s18
.LBB54_46:
	s_delay_alu instid0(SALU_CYCLE_1)
	s_or_b32 exec_lo, exec_lo, s17
                                        ; implicit-def: $vgpr37
.LBB54_47:
	s_and_not1_saveexec_b32 s2, s16
; %bb.48:
	v_add_f32_e32 v48, v37, v37
; %bb.49:
	s_or_b32 exec_lo, exec_lo, s2
.LBB54_50:
	s_delay_alu instid0(SALU_CYCLE_1)
	s_or_b32 exec_lo, exec_lo, s14
.LBB54_51:
	s_delay_alu instid0(SALU_CYCLE_1) | instskip(SKIP_3) | instid1(VALU_DEP_2)
	s_or_b32 exec_lo, exec_lo, s13
	v_bfe_u32 v37, v41, 16, 1
	v_cmp_u_f32_e32 vcc_lo, v41, v41
	s_mov_b32 s13, exec_lo
	v_add3_u32 v37, v41, v37, 0x7fff
	s_delay_alu instid0(VALU_DEP_1) | instskip(NEXT) | instid1(VALU_DEP_1)
	v_and_b32_e32 v37, 0xffff0000, v37
	v_cndmask_b32_e64 v38, v37, 0x7fc00000, vcc_lo
	v_and_b32_e32 v37, 0x7fffffff, v37
	s_delay_alu instid0(VALU_DEP_2) | instskip(NEXT) | instid1(VALU_DEP_2)
	v_trunc_f32_e32 v38, v38
	v_cmp_nlg_f32_e64 s2, 0x7f800000, v37
	s_delay_alu instid0(VALU_DEP_2) | instskip(NEXT) | instid1(VALU_DEP_2)
	v_mul_f32_e64 v41, 0x2f800000, |v38|
	s_or_b32 s2, vcc_lo, s2
	s_delay_alu instid0(VALU_DEP_1) | instskip(NEXT) | instid1(VALU_DEP_1)
	v_floor_f32_e32 v41, v41
	v_fma_f32 v45, 0xcf800000, v41, |v38|
	v_ashrrev_i32_e32 v38, 31, v38
	v_cvt_u32_f32_e32 v41, v41
	s_delay_alu instid0(VALU_DEP_3) | instskip(NEXT) | instid1(VALU_DEP_2)
	v_cvt_u32_f32_e32 v45, v45
	v_xor_b32_e32 v41, v41, v38
	s_delay_alu instid0(VALU_DEP_2) | instskip(NEXT) | instid1(VALU_DEP_1)
	v_xor_b32_e32 v45, v45, v38
	v_sub_co_u32 v37, s3, v45, v38
	s_delay_alu instid0(VALU_DEP_1) | instskip(SKIP_1) | instid1(VALU_DEP_3)
	v_sub_co_ci_u32_e64 v38, s3, v41, v38, s3
	v_mov_b32_e32 v41, 0
	v_cndmask_b32_e64 v37, v37, -1, s2
	s_delay_alu instid0(VALU_DEP_3) | instskip(NEXT) | instid1(VALU_DEP_1)
	v_cndmask_b32_e64 v38, v38, -1, s2
	v_cmpx_lt_i64_e32 -1, v[37:38]
	s_cbranch_execz .LBB54_63
; %bb.52:
	v_mov_b32_e32 v41, 1.0
	s_mov_b32 s14, exec_lo
	v_cmpx_lt_i64_e32 0, v[37:38]
	s_cbranch_execz .LBB54_62
; %bb.53:
	v_lshlrev_b32_e32 v45, 16, v39
                                        ; implicit-def: $vgpr41
	s_mov_b32 s2, exec_lo
	v_cmpx_ne_u64_e32 1, v[37:38]
	s_xor_b32 s16, exec_lo, s2
	s_cbranch_execz .LBB54_59
; %bb.54:
	v_mov_b32_e32 v41, 0x7fc00000
	s_mov_b32 s17, exec_lo
	v_cmpx_gt_u64_e32 0x81, v[37:38]
	s_cbranch_execz .LBB54_58
; %bb.55:
	v_dual_add_f32 v45, v45, v45 :: v_dual_mov_b32 v46, 1.0
	v_lshlrev_b64 v[37:38], 1, v[37:38]
	s_mov_b64 s[2:3], 2
	s_mov_b32 s18, 0
	s_delay_alu instid0(VALU_DEP_2)
	v_mov_b32_e32 v41, v45
	.p2align	6
.LBB54_56:                              ; =>This Inner Loop Header: Depth=1
	s_clz_i32_u32 s19, s3
	s_delay_alu instid0(SALU_CYCLE_1) | instskip(NEXT) | instid1(SALU_CYCLE_1)
	s_min_u32 s19, s19, 32
	s_lshl_b64 s[20:21], s[2:3], s19
	s_sub_i32 s19, 32, s19
	s_min_u32 s20, s20, 1
	s_delay_alu instid0(SALU_CYCLE_1) | instskip(SKIP_3) | instid1(SALU_CYCLE_1)
	s_or_b32 s20, s21, s20
	s_add_u32 s2, s2, 2
	v_cvt_f32_u32_e32 v50, s20
	s_addc_u32 s3, s3, 0
	v_cmp_ge_u64_e32 vcc_lo, s[2:3], v[37:38]
	s_delay_alu instid0(VALU_DEP_2) | instskip(SKIP_1) | instid1(VALU_DEP_1)
	v_ldexp_f32 v50, v50, s19
	s_or_b32 s18, vcc_lo, s18
	v_mul_f32_e32 v50, v46, v50
	v_mov_b32_e32 v46, v41
	s_delay_alu instid0(VALU_DEP_2)
	v_fma_f32 v41, v45, v41, -v50
	s_and_not1_b32 exec_lo, exec_lo, s18
	s_cbranch_execnz .LBB54_56
; %bb.57:
	s_or_b32 exec_lo, exec_lo, s18
.LBB54_58:
	s_delay_alu instid0(SALU_CYCLE_1)
	s_or_b32 exec_lo, exec_lo, s17
                                        ; implicit-def: $vgpr45
.LBB54_59:
	s_and_not1_saveexec_b32 s2, s16
; %bb.60:
	v_add_f32_e32 v41, v45, v45
; %bb.61:
	s_or_b32 exec_lo, exec_lo, s2
.LBB54_62:
	s_delay_alu instid0(SALU_CYCLE_1)
	s_or_b32 exec_lo, exec_lo, s14
.LBB54_63:
	s_delay_alu instid0(SALU_CYCLE_1) | instskip(SKIP_3) | instid1(VALU_DEP_2)
	s_or_b32 exec_lo, exec_lo, s13
	v_bfe_u32 v37, v42, 16, 1
	v_cmp_u_f32_e32 vcc_lo, v42, v42
	s_mov_b32 s13, exec_lo
	v_add3_u32 v37, v42, v37, 0x7fff
	s_delay_alu instid0(VALU_DEP_1) | instskip(NEXT) | instid1(VALU_DEP_1)
	v_and_b32_e32 v37, 0xffff0000, v37
	v_cndmask_b32_e64 v38, v37, 0x7fc00000, vcc_lo
	v_and_b32_e32 v37, 0x7fffffff, v37
	s_delay_alu instid0(VALU_DEP_2) | instskip(NEXT) | instid1(VALU_DEP_2)
	v_trunc_f32_e32 v38, v38
	v_cmp_nlg_f32_e64 s2, 0x7f800000, v37
	s_delay_alu instid0(VALU_DEP_2) | instskip(NEXT) | instid1(VALU_DEP_2)
	v_mul_f32_e64 v42, 0x2f800000, |v38|
	s_or_b32 s2, vcc_lo, s2
	s_delay_alu instid0(VALU_DEP_1) | instskip(NEXT) | instid1(VALU_DEP_1)
	v_floor_f32_e32 v42, v42
	v_fma_f32 v45, 0xcf800000, v42, |v38|
	v_ashrrev_i32_e32 v38, 31, v38
	v_cvt_u32_f32_e32 v42, v42
	s_delay_alu instid0(VALU_DEP_3) | instskip(NEXT) | instid1(VALU_DEP_2)
	v_cvt_u32_f32_e32 v45, v45
	v_xor_b32_e32 v42, v42, v38
	s_delay_alu instid0(VALU_DEP_2) | instskip(NEXT) | instid1(VALU_DEP_1)
	v_xor_b32_e32 v45, v45, v38
	v_sub_co_u32 v37, s3, v45, v38
	s_delay_alu instid0(VALU_DEP_1) | instskip(SKIP_1) | instid1(VALU_DEP_3)
	v_sub_co_ci_u32_e64 v38, s3, v42, v38, s3
	v_mov_b32_e32 v42, 0
	v_cndmask_b32_e64 v37, v37, -1, s2
	s_delay_alu instid0(VALU_DEP_3) | instskip(NEXT) | instid1(VALU_DEP_1)
	v_cndmask_b32_e64 v38, v38, -1, s2
	v_cmpx_lt_i64_e32 -1, v[37:38]
	s_cbranch_execz .LBB54_75
; %bb.64:
	v_mov_b32_e32 v42, 1.0
	s_mov_b32 s14, exec_lo
	v_cmpx_lt_i64_e32 0, v[37:38]
	s_cbranch_execz .LBB54_74
; %bb.65:
	v_and_b32_e32 v39, 0xffff0000, v39
                                        ; implicit-def: $vgpr42
	s_mov_b32 s2, exec_lo
	v_cmpx_ne_u64_e32 1, v[37:38]
	s_xor_b32 s16, exec_lo, s2
	s_cbranch_execz .LBB54_71
; %bb.66:
	v_mov_b32_e32 v42, 0x7fc00000
	s_mov_b32 s17, exec_lo
	v_cmpx_gt_u64_e32 0x81, v[37:38]
	s_cbranch_execz .LBB54_70
; %bb.67:
	v_add_f32_e32 v39, v39, v39
	v_lshlrev_b64 v[37:38], 1, v[37:38]
	v_mov_b32_e32 v45, 1.0
	s_mov_b64 s[2:3], 2
	s_mov_b32 s18, 0
	v_mov_b32_e32 v42, v39
	.p2align	6
.LBB54_68:                              ; =>This Inner Loop Header: Depth=1
	s_clz_i32_u32 s19, s3
	s_delay_alu instid0(SALU_CYCLE_1) | instskip(NEXT) | instid1(SALU_CYCLE_1)
	s_min_u32 s19, s19, 32
	s_lshl_b64 s[20:21], s[2:3], s19
	s_sub_i32 s19, 32, s19
	s_min_u32 s20, s20, 1
	s_delay_alu instid0(SALU_CYCLE_1) | instskip(SKIP_3) | instid1(SALU_CYCLE_1)
	s_or_b32 s20, s21, s20
	s_add_u32 s2, s2, 2
	v_cvt_f32_u32_e32 v46, s20
	s_addc_u32 s3, s3, 0
	v_cmp_ge_u64_e32 vcc_lo, s[2:3], v[37:38]
	s_delay_alu instid0(VALU_DEP_2) | instskip(SKIP_1) | instid1(VALU_DEP_1)
	v_ldexp_f32 v46, v46, s19
	s_or_b32 s18, vcc_lo, s18
	v_dual_mul_f32 v46, v45, v46 :: v_dual_mov_b32 v45, v42
	s_delay_alu instid0(VALU_DEP_1)
	v_fma_f32 v42, v39, v42, -v46
	s_and_not1_b32 exec_lo, exec_lo, s18
	s_cbranch_execnz .LBB54_68
; %bb.69:
	s_or_b32 exec_lo, exec_lo, s18
.LBB54_70:
	s_delay_alu instid0(SALU_CYCLE_1)
	s_or_b32 exec_lo, exec_lo, s17
                                        ; implicit-def: $vgpr39
.LBB54_71:
	s_and_not1_saveexec_b32 s2, s16
; %bb.72:
	v_add_f32_e32 v42, v39, v39
; %bb.73:
	s_or_b32 exec_lo, exec_lo, s2
.LBB54_74:
	s_delay_alu instid0(SALU_CYCLE_1)
	s_or_b32 exec_lo, exec_lo, s14
.LBB54_75:
	s_delay_alu instid0(SALU_CYCLE_1) | instskip(SKIP_3) | instid1(VALU_DEP_2)
	s_or_b32 exec_lo, exec_lo, s13
	v_bfe_u32 v37, v43, 16, 1
	v_cmp_u_f32_e32 vcc_lo, v43, v43
	s_mov_b32 s13, exec_lo
	v_add3_u32 v37, v43, v37, 0x7fff
	s_delay_alu instid0(VALU_DEP_1) | instskip(NEXT) | instid1(VALU_DEP_1)
	v_and_b32_e32 v37, 0xffff0000, v37
	v_cndmask_b32_e64 v38, v37, 0x7fc00000, vcc_lo
	v_and_b32_e32 v37, 0x7fffffff, v37
	s_delay_alu instid0(VALU_DEP_2) | instskip(NEXT) | instid1(VALU_DEP_2)
	v_trunc_f32_e32 v38, v38
	v_cmp_nlg_f32_e64 s2, 0x7f800000, v37
	s_delay_alu instid0(VALU_DEP_2) | instskip(NEXT) | instid1(VALU_DEP_2)
	v_mul_f32_e64 v39, 0x2f800000, |v38|
	s_or_b32 s2, vcc_lo, s2
	s_delay_alu instid0(VALU_DEP_1) | instskip(NEXT) | instid1(VALU_DEP_1)
	v_floor_f32_e32 v39, v39
	v_fma_f32 v43, 0xcf800000, v39, |v38|
	v_ashrrev_i32_e32 v38, 31, v38
	v_cvt_u32_f32_e32 v39, v39
	s_delay_alu instid0(VALU_DEP_3) | instskip(NEXT) | instid1(VALU_DEP_2)
	v_cvt_u32_f32_e32 v43, v43
	v_xor_b32_e32 v39, v39, v38
	s_delay_alu instid0(VALU_DEP_2) | instskip(NEXT) | instid1(VALU_DEP_1)
	v_xor_b32_e32 v43, v43, v38
	v_sub_co_u32 v37, s3, v43, v38
	s_delay_alu instid0(VALU_DEP_1) | instskip(SKIP_1) | instid1(VALU_DEP_3)
	v_sub_co_ci_u32_e64 v38, s3, v39, v38, s3
	v_mov_b32_e32 v39, 0
	v_cndmask_b32_e64 v37, v37, -1, s2
	s_delay_alu instid0(VALU_DEP_3) | instskip(NEXT) | instid1(VALU_DEP_1)
	v_cndmask_b32_e64 v38, v38, -1, s2
	v_cmpx_lt_i64_e32 -1, v[37:38]
	s_cbranch_execz .LBB54_87
; %bb.76:
	v_mov_b32_e32 v39, 1.0
	s_mov_b32 s14, exec_lo
	v_cmpx_lt_i64_e32 0, v[37:38]
	s_cbranch_execz .LBB54_86
; %bb.77:
	v_lshlrev_b32_e32 v43, 16, v40
                                        ; implicit-def: $vgpr39
	s_mov_b32 s2, exec_lo
	v_cmpx_ne_u64_e32 1, v[37:38]
	s_xor_b32 s16, exec_lo, s2
	s_cbranch_execz .LBB54_83
; %bb.78:
	v_mov_b32_e32 v39, 0x7fc00000
	s_mov_b32 s17, exec_lo
	v_cmpx_gt_u64_e32 0x81, v[37:38]
	s_cbranch_execz .LBB54_82
; %bb.79:
	v_add_f32_e32 v43, v43, v43
	v_lshlrev_b64 v[37:38], 1, v[37:38]
	v_mov_b32_e32 v45, 1.0
	s_mov_b64 s[2:3], 2
	s_mov_b32 s18, 0
	v_mov_b32_e32 v39, v43
	.p2align	6
.LBB54_80:                              ; =>This Inner Loop Header: Depth=1
	s_clz_i32_u32 s19, s3
	s_delay_alu instid0(SALU_CYCLE_1) | instskip(NEXT) | instid1(SALU_CYCLE_1)
	s_min_u32 s19, s19, 32
	s_lshl_b64 s[20:21], s[2:3], s19
	s_sub_i32 s19, 32, s19
	s_min_u32 s20, s20, 1
	s_delay_alu instid0(SALU_CYCLE_1) | instskip(SKIP_3) | instid1(SALU_CYCLE_1)
	s_or_b32 s20, s21, s20
	s_add_u32 s2, s2, 2
	v_cvt_f32_u32_e32 v46, s20
	s_addc_u32 s3, s3, 0
	v_cmp_ge_u64_e32 vcc_lo, s[2:3], v[37:38]
	s_delay_alu instid0(VALU_DEP_2) | instskip(SKIP_1) | instid1(VALU_DEP_1)
	v_ldexp_f32 v46, v46, s19
	s_or_b32 s18, vcc_lo, s18
	v_dual_mul_f32 v46, v45, v46 :: v_dual_mov_b32 v45, v39
	s_delay_alu instid0(VALU_DEP_1)
	v_fma_f32 v39, v43, v39, -v46
	s_and_not1_b32 exec_lo, exec_lo, s18
	s_cbranch_execnz .LBB54_80
; %bb.81:
	s_or_b32 exec_lo, exec_lo, s18
.LBB54_82:
	s_delay_alu instid0(SALU_CYCLE_1)
	s_or_b32 exec_lo, exec_lo, s17
                                        ; implicit-def: $vgpr43
.LBB54_83:
	s_and_not1_saveexec_b32 s2, s16
; %bb.84:
	v_add_f32_e32 v39, v43, v43
; %bb.85:
	s_or_b32 exec_lo, exec_lo, s2
.LBB54_86:
	s_delay_alu instid0(SALU_CYCLE_1)
	s_or_b32 exec_lo, exec_lo, s14
.LBB54_87:
	s_delay_alu instid0(SALU_CYCLE_1) | instskip(SKIP_3) | instid1(VALU_DEP_2)
	s_or_b32 exec_lo, exec_lo, s13
	v_bfe_u32 v37, v44, 16, 1
	v_cmp_u_f32_e32 vcc_lo, v44, v44
	s_mov_b32 s13, exec_lo
	v_add3_u32 v37, v44, v37, 0x7fff
	s_delay_alu instid0(VALU_DEP_1) | instskip(NEXT) | instid1(VALU_DEP_1)
	v_and_b32_e32 v37, 0xffff0000, v37
	v_cndmask_b32_e64 v38, v37, 0x7fc00000, vcc_lo
	v_and_b32_e32 v37, 0x7fffffff, v37
	s_delay_alu instid0(VALU_DEP_2) | instskip(NEXT) | instid1(VALU_DEP_2)
	v_trunc_f32_e32 v38, v38
	v_cmp_nlg_f32_e64 s2, 0x7f800000, v37
	s_delay_alu instid0(VALU_DEP_2) | instskip(NEXT) | instid1(VALU_DEP_2)
	v_mul_f32_e64 v43, 0x2f800000, |v38|
	s_or_b32 s2, vcc_lo, s2
	s_delay_alu instid0(VALU_DEP_1) | instskip(NEXT) | instid1(VALU_DEP_1)
	v_floor_f32_e32 v43, v43
	v_fma_f32 v44, 0xcf800000, v43, |v38|
	v_ashrrev_i32_e32 v38, 31, v38
	v_cvt_u32_f32_e32 v43, v43
	s_delay_alu instid0(VALU_DEP_3) | instskip(NEXT) | instid1(VALU_DEP_2)
	v_cvt_u32_f32_e32 v44, v44
	v_xor_b32_e32 v43, v43, v38
	s_delay_alu instid0(VALU_DEP_2) | instskip(NEXT) | instid1(VALU_DEP_1)
	v_xor_b32_e32 v44, v44, v38
	v_sub_co_u32 v37, s3, v44, v38
	s_delay_alu instid0(VALU_DEP_1) | instskip(SKIP_1) | instid1(VALU_DEP_3)
	v_sub_co_ci_u32_e64 v38, s3, v43, v38, s3
	v_mov_b32_e32 v43, 0
	v_cndmask_b32_e64 v37, v37, -1, s2
	s_delay_alu instid0(VALU_DEP_3) | instskip(NEXT) | instid1(VALU_DEP_1)
	v_cndmask_b32_e64 v38, v38, -1, s2
	v_cmpx_lt_i64_e32 -1, v[37:38]
	s_cbranch_execz .LBB54_99
; %bb.88:
	v_mov_b32_e32 v43, 1.0
	s_mov_b32 s14, exec_lo
	v_cmpx_lt_i64_e32 0, v[37:38]
	s_cbranch_execz .LBB54_98
; %bb.89:
	v_and_b32_e32 v40, 0xffff0000, v40
                                        ; implicit-def: $vgpr43
	s_mov_b32 s2, exec_lo
	v_cmpx_ne_u64_e32 1, v[37:38]
	s_xor_b32 s16, exec_lo, s2
	s_cbranch_execz .LBB54_95
; %bb.90:
	v_mov_b32_e32 v43, 0x7fc00000
	s_mov_b32 s17, exec_lo
	v_cmpx_gt_u64_e32 0x81, v[37:38]
	s_cbranch_execz .LBB54_94
; %bb.91:
	v_add_f32_e32 v40, v40, v40
	v_lshlrev_b64 v[37:38], 1, v[37:38]
	v_mov_b32_e32 v44, 1.0
	s_mov_b64 s[2:3], 2
	s_mov_b32 s18, 0
	v_mov_b32_e32 v43, v40
	.p2align	6
.LBB54_92:                              ; =>This Inner Loop Header: Depth=1
	s_clz_i32_u32 s19, s3
	s_delay_alu instid0(SALU_CYCLE_1) | instskip(NEXT) | instid1(SALU_CYCLE_1)
	s_min_u32 s19, s19, 32
	s_lshl_b64 s[20:21], s[2:3], s19
	s_sub_i32 s19, 32, s19
	s_min_u32 s20, s20, 1
	s_delay_alu instid0(SALU_CYCLE_1) | instskip(SKIP_3) | instid1(SALU_CYCLE_1)
	s_or_b32 s20, s21, s20
	s_add_u32 s2, s2, 2
	v_cvt_f32_u32_e32 v45, s20
	s_addc_u32 s3, s3, 0
	v_cmp_ge_u64_e32 vcc_lo, s[2:3], v[37:38]
	s_delay_alu instid0(VALU_DEP_2) | instskip(SKIP_1) | instid1(VALU_DEP_1)
	v_ldexp_f32 v45, v45, s19
	s_or_b32 s18, vcc_lo, s18
	v_dual_mul_f32 v45, v44, v45 :: v_dual_mov_b32 v44, v43
	s_delay_alu instid0(VALU_DEP_1)
	v_fma_f32 v43, v40, v43, -v45
	s_and_not1_b32 exec_lo, exec_lo, s18
	s_cbranch_execnz .LBB54_92
; %bb.93:
	s_or_b32 exec_lo, exec_lo, s18
.LBB54_94:
	s_delay_alu instid0(SALU_CYCLE_1)
	s_or_b32 exec_lo, exec_lo, s17
                                        ; implicit-def: $vgpr40
.LBB54_95:
	s_and_not1_saveexec_b32 s2, s16
; %bb.96:
	v_add_f32_e32 v43, v40, v40
; %bb.97:
	s_or_b32 exec_lo, exec_lo, s2
.LBB54_98:
	s_delay_alu instid0(SALU_CYCLE_1)
	s_or_b32 exec_lo, exec_lo, s14
.LBB54_99:
	s_delay_alu instid0(SALU_CYCLE_1) | instskip(SKIP_4) | instid1(VALU_DEP_2)
	s_or_b32 exec_lo, exec_lo, s13
	s_waitcnt vmcnt(3)
	v_bfe_u32 v37, v33, 16, 1
	v_cmp_u_f32_e32 vcc_lo, v33, v33
	s_mov_b32 s13, exec_lo
	v_add3_u32 v37, v33, v37, 0x7fff
	s_delay_alu instid0(VALU_DEP_1) | instskip(NEXT) | instid1(VALU_DEP_1)
	v_and_b32_e32 v37, 0xffff0000, v37
	v_cndmask_b32_e64 v33, v37, 0x7fc00000, vcc_lo
	v_and_b32_e32 v37, 0x7fffffff, v37
	s_delay_alu instid0(VALU_DEP_2) | instskip(NEXT) | instid1(VALU_DEP_2)
	v_trunc_f32_e32 v33, v33
	v_cmp_nlg_f32_e64 s2, 0x7f800000, v37
	s_delay_alu instid0(VALU_DEP_2) | instskip(NEXT) | instid1(VALU_DEP_2)
	v_mul_f32_e64 v38, 0x2f800000, |v33|
	s_or_b32 s2, vcc_lo, s2
	s_delay_alu instid0(VALU_DEP_1) | instskip(NEXT) | instid1(VALU_DEP_1)
	v_floor_f32_e32 v38, v38
	v_fma_f32 v40, 0xcf800000, v38, |v33|
	v_ashrrev_i32_e32 v33, 31, v33
	v_cvt_u32_f32_e32 v38, v38
	s_delay_alu instid0(VALU_DEP_3) | instskip(NEXT) | instid1(VALU_DEP_2)
	v_cvt_u32_f32_e32 v40, v40
	v_xor_b32_e32 v38, v38, v33
	s_delay_alu instid0(VALU_DEP_2) | instskip(NEXT) | instid1(VALU_DEP_1)
	v_xor_b32_e32 v40, v40, v33
	v_sub_co_u32 v37, s3, v40, v33
	v_mov_b32_e32 v40, 0
	s_delay_alu instid0(VALU_DEP_4) | instskip(NEXT) | instid1(VALU_DEP_3)
	v_sub_co_ci_u32_e64 v33, s3, v38, v33, s3
	v_cndmask_b32_e64 v37, v37, -1, s2
	s_delay_alu instid0(VALU_DEP_2) | instskip(NEXT) | instid1(VALU_DEP_1)
	v_cndmask_b32_e64 v38, v33, -1, s2
	v_cmpx_lt_i64_e32 -1, v[37:38]
	s_cbranch_execz .LBB54_111
; %bb.100:
	v_mov_b32_e32 v40, 1.0
	s_mov_b32 s14, exec_lo
	v_cmpx_lt_i64_e32 0, v[37:38]
	s_cbranch_execz .LBB54_110
; %bb.101:
	v_lshlrev_b32_e32 v33, 16, v25
                                        ; implicit-def: $vgpr40
	s_mov_b32 s2, exec_lo
	v_cmpx_ne_u64_e32 1, v[37:38]
	s_xor_b32 s16, exec_lo, s2
	s_cbranch_execz .LBB54_107
; %bb.102:
	v_mov_b32_e32 v40, 0x7fc00000
	s_mov_b32 s17, exec_lo
	v_cmpx_gt_u64_e32 0x81, v[37:38]
	s_cbranch_execz .LBB54_106
; %bb.103:
	v_dual_add_f32 v33, v33, v33 :: v_dual_mov_b32 v44, 1.0
	v_lshlrev_b64 v[37:38], 1, v[37:38]
	s_mov_b64 s[2:3], 2
	s_mov_b32 s18, 0
	s_delay_alu instid0(VALU_DEP_2)
	v_mov_b32_e32 v40, v33
	.p2align	6
.LBB54_104:                             ; =>This Inner Loop Header: Depth=1
	s_clz_i32_u32 s19, s3
	s_delay_alu instid0(SALU_CYCLE_1) | instskip(NEXT) | instid1(SALU_CYCLE_1)
	s_min_u32 s19, s19, 32
	s_lshl_b64 s[20:21], s[2:3], s19
	s_sub_i32 s19, 32, s19
	s_min_u32 s20, s20, 1
	s_delay_alu instid0(SALU_CYCLE_1) | instskip(SKIP_3) | instid1(SALU_CYCLE_1)
	s_or_b32 s20, s21, s20
	s_add_u32 s2, s2, 2
	v_cvt_f32_u32_e32 v45, s20
	s_addc_u32 s3, s3, 0
	v_cmp_ge_u64_e32 vcc_lo, s[2:3], v[37:38]
	s_delay_alu instid0(VALU_DEP_2) | instskip(SKIP_1) | instid1(VALU_DEP_1)
	v_ldexp_f32 v45, v45, s19
	s_or_b32 s18, vcc_lo, s18
	v_mul_f32_e32 v45, v44, v45
	v_mov_b32_e32 v44, v40
	s_delay_alu instid0(VALU_DEP_2)
	v_fma_f32 v40, v33, v40, -v45
	s_and_not1_b32 exec_lo, exec_lo, s18
	s_cbranch_execnz .LBB54_104
; %bb.105:
	s_or_b32 exec_lo, exec_lo, s18
.LBB54_106:
	s_delay_alu instid0(SALU_CYCLE_1)
	s_or_b32 exec_lo, exec_lo, s17
                                        ; implicit-def: $vgpr33
.LBB54_107:
	s_and_not1_saveexec_b32 s2, s16
; %bb.108:
	v_add_f32_e32 v40, v33, v33
; %bb.109:
	s_or_b32 exec_lo, exec_lo, s2
.LBB54_110:
	s_delay_alu instid0(SALU_CYCLE_1)
	s_or_b32 exec_lo, exec_lo, s14
.LBB54_111:
	s_delay_alu instid0(SALU_CYCLE_1) | instskip(SKIP_3) | instid1(VALU_DEP_2)
	s_or_b32 exec_lo, exec_lo, s13
	v_bfe_u32 v33, v34, 16, 1
	v_cmp_u_f32_e32 vcc_lo, v34, v34
	s_mov_b32 s13, exec_lo
	v_add3_u32 v33, v34, v33, 0x7fff
	s_delay_alu instid0(VALU_DEP_1) | instskip(NEXT) | instid1(VALU_DEP_1)
	v_and_b32_e32 v33, 0xffff0000, v33
	v_cndmask_b32_e64 v34, v33, 0x7fc00000, vcc_lo
	v_and_b32_e32 v33, 0x7fffffff, v33
	s_delay_alu instid0(VALU_DEP_2) | instskip(NEXT) | instid1(VALU_DEP_2)
	v_trunc_f32_e32 v34, v34
	v_cmp_nlg_f32_e64 s2, 0x7f800000, v33
	s_delay_alu instid0(VALU_DEP_2) | instskip(NEXT) | instid1(VALU_DEP_2)
	v_mul_f32_e64 v37, 0x2f800000, |v34|
	s_or_b32 s2, vcc_lo, s2
	s_delay_alu instid0(VALU_DEP_1) | instskip(NEXT) | instid1(VALU_DEP_1)
	v_floor_f32_e32 v37, v37
	v_fma_f32 v38, 0xcf800000, v37, |v34|
	v_ashrrev_i32_e32 v34, 31, v34
	v_cvt_u32_f32_e32 v37, v37
	s_delay_alu instid0(VALU_DEP_3) | instskip(NEXT) | instid1(VALU_DEP_2)
	v_cvt_u32_f32_e32 v38, v38
	v_xor_b32_e32 v37, v37, v34
	s_delay_alu instid0(VALU_DEP_2) | instskip(NEXT) | instid1(VALU_DEP_1)
	v_xor_b32_e32 v38, v38, v34
	v_sub_co_u32 v33, s3, v38, v34
	s_delay_alu instid0(VALU_DEP_1) | instskip(SKIP_1) | instid1(VALU_DEP_3)
	v_sub_co_ci_u32_e64 v34, s3, v37, v34, s3
	v_mov_b32_e32 v37, 0
	v_cndmask_b32_e64 v33, v33, -1, s2
	s_delay_alu instid0(VALU_DEP_3) | instskip(NEXT) | instid1(VALU_DEP_1)
	v_cndmask_b32_e64 v34, v34, -1, s2
	v_cmpx_lt_i64_e32 -1, v[33:34]
	s_cbranch_execz .LBB54_123
; %bb.112:
	v_mov_b32_e32 v37, 1.0
	s_mov_b32 s14, exec_lo
	v_cmpx_lt_i64_e32 0, v[33:34]
	s_cbranch_execz .LBB54_122
; %bb.113:
	v_and_b32_e32 v25, 0xffff0000, v25
                                        ; implicit-def: $vgpr37
	s_mov_b32 s2, exec_lo
	v_cmpx_ne_u64_e32 1, v[33:34]
	s_xor_b32 s16, exec_lo, s2
	s_cbranch_execz .LBB54_119
; %bb.114:
	v_mov_b32_e32 v37, 0x7fc00000
	s_mov_b32 s17, exec_lo
	v_cmpx_gt_u64_e32 0x81, v[33:34]
	s_cbranch_execz .LBB54_118
; %bb.115:
	v_dual_add_f32 v25, v25, v25 :: v_dual_mov_b32 v38, 1.0
	v_lshlrev_b64 v[33:34], 1, v[33:34]
	s_mov_b64 s[2:3], 2
	s_mov_b32 s18, 0
	s_delay_alu instid0(VALU_DEP_2)
	v_mov_b32_e32 v37, v25
	.p2align	6
.LBB54_116:                             ; =>This Inner Loop Header: Depth=1
	s_clz_i32_u32 s19, s3
	s_delay_alu instid0(SALU_CYCLE_1) | instskip(NEXT) | instid1(SALU_CYCLE_1)
	s_min_u32 s19, s19, 32
	s_lshl_b64 s[20:21], s[2:3], s19
	s_sub_i32 s19, 32, s19
	s_min_u32 s20, s20, 1
	s_delay_alu instid0(SALU_CYCLE_1) | instskip(SKIP_3) | instid1(SALU_CYCLE_1)
	s_or_b32 s20, s21, s20
	s_add_u32 s2, s2, 2
	v_cvt_f32_u32_e32 v44, s20
	s_addc_u32 s3, s3, 0
	v_cmp_ge_u64_e32 vcc_lo, s[2:3], v[33:34]
	s_delay_alu instid0(VALU_DEP_2) | instskip(SKIP_1) | instid1(VALU_DEP_1)
	v_ldexp_f32 v44, v44, s19
	s_or_b32 s18, vcc_lo, s18
	v_mul_f32_e32 v44, v38, v44
	v_mov_b32_e32 v38, v37
	s_delay_alu instid0(VALU_DEP_2)
	v_fma_f32 v37, v25, v37, -v44
	s_and_not1_b32 exec_lo, exec_lo, s18
	s_cbranch_execnz .LBB54_116
; %bb.117:
	s_or_b32 exec_lo, exec_lo, s18
.LBB54_118:
	s_delay_alu instid0(SALU_CYCLE_1)
	s_or_b32 exec_lo, exec_lo, s17
                                        ; implicit-def: $vgpr25
.LBB54_119:
	s_and_not1_saveexec_b32 s2, s16
; %bb.120:
	v_add_f32_e32 v37, v25, v25
; %bb.121:
	s_or_b32 exec_lo, exec_lo, s2
.LBB54_122:
	s_delay_alu instid0(SALU_CYCLE_1)
	s_or_b32 exec_lo, exec_lo, s14
.LBB54_123:
	s_delay_alu instid0(SALU_CYCLE_1) | instskip(SKIP_3) | instid1(VALU_DEP_2)
	s_or_b32 exec_lo, exec_lo, s13
	v_bfe_u32 v25, v35, 16, 1
	v_cmp_u_f32_e32 vcc_lo, v35, v35
	s_mov_b32 s13, exec_lo
	v_add3_u32 v25, v35, v25, 0x7fff
	s_delay_alu instid0(VALU_DEP_1) | instskip(NEXT) | instid1(VALU_DEP_1)
	v_and_b32_e32 v25, 0xffff0000, v25
	v_cndmask_b32_e64 v33, v25, 0x7fc00000, vcc_lo
	v_and_b32_e32 v25, 0x7fffffff, v25
	s_delay_alu instid0(VALU_DEP_2) | instskip(NEXT) | instid1(VALU_DEP_2)
	v_trunc_f32_e32 v33, v33
	v_cmp_nlg_f32_e64 s2, 0x7f800000, v25
	s_delay_alu instid0(VALU_DEP_2) | instskip(NEXT) | instid1(VALU_DEP_2)
	v_mul_f32_e64 v34, 0x2f800000, |v33|
	s_or_b32 s2, vcc_lo, s2
	s_delay_alu instid0(VALU_DEP_1) | instskip(NEXT) | instid1(VALU_DEP_1)
	v_floor_f32_e32 v34, v34
	v_fma_f32 v35, 0xcf800000, v34, |v33|
	v_ashrrev_i32_e32 v33, 31, v33
	v_cvt_u32_f32_e32 v34, v34
	s_delay_alu instid0(VALU_DEP_3) | instskip(NEXT) | instid1(VALU_DEP_2)
	v_cvt_u32_f32_e32 v35, v35
	v_xor_b32_e32 v34, v34, v33
	s_delay_alu instid0(VALU_DEP_2) | instskip(NEXT) | instid1(VALU_DEP_1)
	v_xor_b32_e32 v35, v35, v33
	v_sub_co_u32 v25, s3, v35, v33
	s_delay_alu instid0(VALU_DEP_1) | instskip(SKIP_1) | instid1(VALU_DEP_2)
	v_sub_co_ci_u32_e64 v33, s3, v34, v33, s3
	v_mov_b32_e32 v35, 0
	v_cndmask_b32_e64 v34, v33, -1, s2
	s_delay_alu instid0(VALU_DEP_4) | instskip(NEXT) | instid1(VALU_DEP_1)
	v_cndmask_b32_e64 v33, v25, -1, s2
	v_cmpx_lt_i64_e32 -1, v[33:34]
	s_cbranch_execz .LBB54_135
; %bb.124:
	v_mov_b32_e32 v35, 1.0
	s_mov_b32 s14, exec_lo
	v_cmpx_lt_i64_e32 0, v[33:34]
	s_cbranch_execz .LBB54_134
; %bb.125:
	v_lshlrev_b32_e32 v25, 16, v26
                                        ; implicit-def: $vgpr35
	s_mov_b32 s2, exec_lo
	v_cmpx_ne_u64_e32 1, v[33:34]
	s_xor_b32 s16, exec_lo, s2
	s_cbranch_execz .LBB54_131
; %bb.126:
	v_mov_b32_e32 v35, 0x7fc00000
	s_mov_b32 s17, exec_lo
	v_cmpx_gt_u64_e32 0x81, v[33:34]
	s_cbranch_execz .LBB54_130
; %bb.127:
	v_dual_add_f32 v25, v25, v25 :: v_dual_mov_b32 v38, 1.0
	v_lshlrev_b64 v[33:34], 1, v[33:34]
	s_mov_b64 s[2:3], 2
	s_mov_b32 s18, 0
	s_delay_alu instid0(VALU_DEP_2)
	v_mov_b32_e32 v35, v25
	.p2align	6
.LBB54_128:                             ; =>This Inner Loop Header: Depth=1
	s_clz_i32_u32 s19, s3
	s_delay_alu instid0(SALU_CYCLE_1) | instskip(NEXT) | instid1(SALU_CYCLE_1)
	s_min_u32 s19, s19, 32
	s_lshl_b64 s[20:21], s[2:3], s19
	s_sub_i32 s19, 32, s19
	s_min_u32 s20, s20, 1
	s_delay_alu instid0(SALU_CYCLE_1) | instskip(SKIP_3) | instid1(SALU_CYCLE_1)
	s_or_b32 s20, s21, s20
	s_add_u32 s2, s2, 2
	v_cvt_f32_u32_e32 v44, s20
	s_addc_u32 s3, s3, 0
	v_cmp_ge_u64_e32 vcc_lo, s[2:3], v[33:34]
	s_delay_alu instid0(VALU_DEP_2) | instskip(SKIP_1) | instid1(VALU_DEP_1)
	v_ldexp_f32 v44, v44, s19
	s_or_b32 s18, vcc_lo, s18
	v_mul_f32_e32 v44, v38, v44
	v_mov_b32_e32 v38, v35
	s_delay_alu instid0(VALU_DEP_2)
	v_fma_f32 v35, v25, v35, -v44
	s_and_not1_b32 exec_lo, exec_lo, s18
	s_cbranch_execnz .LBB54_128
; %bb.129:
	s_or_b32 exec_lo, exec_lo, s18
.LBB54_130:
	s_delay_alu instid0(SALU_CYCLE_1)
	s_or_b32 exec_lo, exec_lo, s17
                                        ; implicit-def: $vgpr25
.LBB54_131:
	s_and_not1_saveexec_b32 s2, s16
; %bb.132:
	v_add_f32_e32 v35, v25, v25
; %bb.133:
	s_or_b32 exec_lo, exec_lo, s2
.LBB54_134:
	s_delay_alu instid0(SALU_CYCLE_1)
	s_or_b32 exec_lo, exec_lo, s14
.LBB54_135:
	s_delay_alu instid0(SALU_CYCLE_1) | instskip(SKIP_3) | instid1(VALU_DEP_2)
	s_or_b32 exec_lo, exec_lo, s13
	v_bfe_u32 v25, v36, 16, 1
	v_cmp_u_f32_e32 vcc_lo, v36, v36
	s_mov_b32 s13, exec_lo
	v_add3_u32 v25, v36, v25, 0x7fff
	s_delay_alu instid0(VALU_DEP_1) | instskip(NEXT) | instid1(VALU_DEP_1)
	v_and_b32_e32 v25, 0xffff0000, v25
	v_cndmask_b32_e64 v33, v25, 0x7fc00000, vcc_lo
	v_and_b32_e32 v25, 0x7fffffff, v25
	s_delay_alu instid0(VALU_DEP_2) | instskip(NEXT) | instid1(VALU_DEP_2)
	v_trunc_f32_e32 v33, v33
	v_cmp_nlg_f32_e64 s2, 0x7f800000, v25
	s_delay_alu instid0(VALU_DEP_2) | instskip(NEXT) | instid1(VALU_DEP_2)
	v_mul_f32_e64 v34, 0x2f800000, |v33|
	s_or_b32 s2, vcc_lo, s2
	s_delay_alu instid0(VALU_DEP_1) | instskip(NEXT) | instid1(VALU_DEP_1)
	v_floor_f32_e32 v34, v34
	v_fma_f32 v36, 0xcf800000, v34, |v33|
	v_ashrrev_i32_e32 v33, 31, v33
	v_cvt_u32_f32_e32 v34, v34
	s_delay_alu instid0(VALU_DEP_3) | instskip(NEXT) | instid1(VALU_DEP_2)
	v_cvt_u32_f32_e32 v36, v36
	v_xor_b32_e32 v34, v34, v33
	s_delay_alu instid0(VALU_DEP_2) | instskip(NEXT) | instid1(VALU_DEP_1)
	v_xor_b32_e32 v36, v36, v33
	v_sub_co_u32 v25, s3, v36, v33
	v_mov_b32_e32 v36, 0
	s_delay_alu instid0(VALU_DEP_4) | instskip(NEXT) | instid1(VALU_DEP_1)
	v_sub_co_ci_u32_e64 v33, s3, v34, v33, s3
	v_cndmask_b32_e64 v34, v33, -1, s2
	s_delay_alu instid0(VALU_DEP_4) | instskip(NEXT) | instid1(VALU_DEP_1)
	v_cndmask_b32_e64 v33, v25, -1, s2
	v_cmpx_lt_i64_e32 -1, v[33:34]
	s_cbranch_execz .LBB54_147
; %bb.136:
	v_mov_b32_e32 v36, 1.0
	s_mov_b32 s14, exec_lo
	v_cmpx_lt_i64_e32 0, v[33:34]
	s_cbranch_execz .LBB54_146
; %bb.137:
	v_and_b32_e32 v25, 0xffff0000, v26
                                        ; implicit-def: $vgpr36
	s_mov_b32 s2, exec_lo
	v_cmpx_ne_u64_e32 1, v[33:34]
	s_xor_b32 s16, exec_lo, s2
	s_cbranch_execz .LBB54_143
; %bb.138:
	v_mov_b32_e32 v36, 0x7fc00000
	s_mov_b32 s17, exec_lo
	v_cmpx_gt_u64_e32 0x81, v[33:34]
	s_cbranch_execz .LBB54_142
; %bb.139:
	v_add_f32_e32 v38, v25, v25
	v_lshlrev_b64 v[25:26], 1, v[33:34]
	v_mov_b32_e32 v33, 1.0
	s_mov_b64 s[2:3], 2
	s_mov_b32 s18, 0
	v_mov_b32_e32 v36, v38
	.p2align	6
.LBB54_140:                             ; =>This Inner Loop Header: Depth=1
	s_clz_i32_u32 s19, s3
	s_delay_alu instid0(SALU_CYCLE_1) | instskip(NEXT) | instid1(SALU_CYCLE_1)
	s_min_u32 s19, s19, 32
	s_lshl_b64 s[20:21], s[2:3], s19
	s_sub_i32 s19, 32, s19
	s_min_u32 s20, s20, 1
	s_delay_alu instid0(SALU_CYCLE_1) | instskip(SKIP_3) | instid1(SALU_CYCLE_1)
	s_or_b32 s20, s21, s20
	s_add_u32 s2, s2, 2
	v_cvt_f32_u32_e32 v34, s20
	s_addc_u32 s3, s3, 0
	v_cmp_ge_u64_e32 vcc_lo, s[2:3], v[25:26]
	s_delay_alu instid0(VALU_DEP_2) | instskip(SKIP_1) | instid1(VALU_DEP_1)
	v_ldexp_f32 v34, v34, s19
	s_or_b32 s18, vcc_lo, s18
	v_dual_mul_f32 v34, v33, v34 :: v_dual_mov_b32 v33, v36
	s_delay_alu instid0(VALU_DEP_1)
	v_fma_f32 v36, v38, v36, -v34
	s_and_not1_b32 exec_lo, exec_lo, s18
	s_cbranch_execnz .LBB54_140
; %bb.141:
	s_or_b32 exec_lo, exec_lo, s18
.LBB54_142:
	s_delay_alu instid0(SALU_CYCLE_1)
	s_or_b32 exec_lo, exec_lo, s17
                                        ; implicit-def: $vgpr25
.LBB54_143:
	s_and_not1_saveexec_b32 s2, s16
; %bb.144:
	v_add_f32_e32 v36, v25, v25
; %bb.145:
	s_or_b32 exec_lo, exec_lo, s2
.LBB54_146:
	s_delay_alu instid0(SALU_CYCLE_1)
	s_or_b32 exec_lo, exec_lo, s14
.LBB54_147:
	s_delay_alu instid0(SALU_CYCLE_1) | instskip(SKIP_4) | instid1(VALU_DEP_2)
	s_or_b32 exec_lo, exec_lo, s13
	s_waitcnt vmcnt(2)
	v_bfe_u32 v25, v29, 16, 1
	v_cmp_u_f32_e32 vcc_lo, v29, v29
	s_mov_b32 s13, exec_lo
	v_add3_u32 v25, v29, v25, 0x7fff
	s_delay_alu instid0(VALU_DEP_1) | instskip(NEXT) | instid1(VALU_DEP_1)
	v_and_b32_e32 v25, 0xffff0000, v25
	v_cndmask_b32_e64 v26, v25, 0x7fc00000, vcc_lo
	v_and_b32_e32 v25, 0x7fffffff, v25
	s_delay_alu instid0(VALU_DEP_2) | instskip(NEXT) | instid1(VALU_DEP_2)
	v_trunc_f32_e32 v26, v26
	v_cmp_nlg_f32_e64 s2, 0x7f800000, v25
	s_delay_alu instid0(VALU_DEP_2) | instskip(NEXT) | instid1(VALU_DEP_2)
	v_mul_f32_e64 v29, 0x2f800000, |v26|
	s_or_b32 s2, vcc_lo, s2
	s_delay_alu instid0(VALU_DEP_1) | instskip(NEXT) | instid1(VALU_DEP_1)
	v_floor_f32_e32 v29, v29
	v_fma_f32 v33, 0xcf800000, v29, |v26|
	v_ashrrev_i32_e32 v26, 31, v26
	v_cvt_u32_f32_e32 v29, v29
	s_delay_alu instid0(VALU_DEP_3) | instskip(NEXT) | instid1(VALU_DEP_2)
	v_cvt_u32_f32_e32 v33, v33
	v_xor_b32_e32 v29, v29, v26
	s_delay_alu instid0(VALU_DEP_2) | instskip(NEXT) | instid1(VALU_DEP_1)
	v_xor_b32_e32 v33, v33, v26
	v_sub_co_u32 v25, s3, v33, v26
	s_delay_alu instid0(VALU_DEP_1) | instskip(SKIP_1) | instid1(VALU_DEP_3)
	v_sub_co_ci_u32_e64 v26, s3, v29, v26, s3
	v_mov_b32_e32 v29, 0
	v_cndmask_b32_e64 v25, v25, -1, s2
	s_delay_alu instid0(VALU_DEP_3) | instskip(NEXT) | instid1(VALU_DEP_1)
	v_cndmask_b32_e64 v26, v26, -1, s2
	v_cmpx_lt_i64_e32 -1, v[25:26]
	s_cbranch_execz .LBB54_159
; %bb.148:
	v_mov_b32_e32 v29, 1.0
	s_mov_b32 s14, exec_lo
	v_cmpx_lt_i64_e32 0, v[25:26]
	s_cbranch_execz .LBB54_158
; %bb.149:
	v_lshlrev_b32_e32 v33, 16, v27
                                        ; implicit-def: $vgpr29
	s_mov_b32 s2, exec_lo
	v_cmpx_ne_u64_e32 1, v[25:26]
	s_xor_b32 s16, exec_lo, s2
	s_cbranch_execz .LBB54_155
; %bb.150:
	v_mov_b32_e32 v29, 0x7fc00000
	s_mov_b32 s17, exec_lo
	v_cmpx_gt_u64_e32 0x81, v[25:26]
	s_cbranch_execz .LBB54_154
; %bb.151:
	v_dual_add_f32 v33, v33, v33 :: v_dual_mov_b32 v34, 1.0
	v_lshlrev_b64 v[25:26], 1, v[25:26]
	s_mov_b64 s[2:3], 2
	s_mov_b32 s18, 0
	s_delay_alu instid0(VALU_DEP_2)
	v_mov_b32_e32 v29, v33
	.p2align	6
.LBB54_152:                             ; =>This Inner Loop Header: Depth=1
	s_clz_i32_u32 s19, s3
	s_delay_alu instid0(SALU_CYCLE_1) | instskip(NEXT) | instid1(SALU_CYCLE_1)
	s_min_u32 s19, s19, 32
	s_lshl_b64 s[20:21], s[2:3], s19
	s_sub_i32 s19, 32, s19
	s_min_u32 s20, s20, 1
	s_delay_alu instid0(SALU_CYCLE_1) | instskip(SKIP_3) | instid1(SALU_CYCLE_1)
	s_or_b32 s20, s21, s20
	s_add_u32 s2, s2, 2
	v_cvt_f32_u32_e32 v38, s20
	s_addc_u32 s3, s3, 0
	v_cmp_ge_u64_e32 vcc_lo, s[2:3], v[25:26]
	s_delay_alu instid0(VALU_DEP_2) | instskip(SKIP_1) | instid1(VALU_DEP_1)
	v_ldexp_f32 v38, v38, s19
	s_or_b32 s18, vcc_lo, s18
	v_mul_f32_e32 v38, v34, v38
	v_mov_b32_e32 v34, v29
	s_delay_alu instid0(VALU_DEP_2)
	v_fma_f32 v29, v33, v29, -v38
	s_and_not1_b32 exec_lo, exec_lo, s18
	s_cbranch_execnz .LBB54_152
; %bb.153:
	s_or_b32 exec_lo, exec_lo, s18
.LBB54_154:
	s_delay_alu instid0(SALU_CYCLE_1)
	s_or_b32 exec_lo, exec_lo, s17
                                        ; implicit-def: $vgpr33
.LBB54_155:
	s_and_not1_saveexec_b32 s2, s16
; %bb.156:
	v_add_f32_e32 v29, v33, v33
; %bb.157:
	s_or_b32 exec_lo, exec_lo, s2
.LBB54_158:
	s_delay_alu instid0(SALU_CYCLE_1)
	s_or_b32 exec_lo, exec_lo, s14
.LBB54_159:
	s_delay_alu instid0(SALU_CYCLE_1) | instskip(SKIP_3) | instid1(VALU_DEP_2)
	s_or_b32 exec_lo, exec_lo, s13
	v_bfe_u32 v25, v30, 16, 1
	v_cmp_u_f32_e32 vcc_lo, v30, v30
	s_mov_b32 s13, exec_lo
	v_add3_u32 v25, v30, v25, 0x7fff
	s_delay_alu instid0(VALU_DEP_1) | instskip(NEXT) | instid1(VALU_DEP_1)
	v_and_b32_e32 v25, 0xffff0000, v25
	v_cndmask_b32_e64 v26, v25, 0x7fc00000, vcc_lo
	v_and_b32_e32 v25, 0x7fffffff, v25
	s_delay_alu instid0(VALU_DEP_2) | instskip(NEXT) | instid1(VALU_DEP_2)
	v_trunc_f32_e32 v26, v26
	v_cmp_nlg_f32_e64 s2, 0x7f800000, v25
	s_delay_alu instid0(VALU_DEP_2) | instskip(NEXT) | instid1(VALU_DEP_2)
	v_mul_f32_e64 v30, 0x2f800000, |v26|
	s_or_b32 s2, vcc_lo, s2
	s_delay_alu instid0(VALU_DEP_1) | instskip(NEXT) | instid1(VALU_DEP_1)
	v_floor_f32_e32 v30, v30
	v_fma_f32 v33, 0xcf800000, v30, |v26|
	v_ashrrev_i32_e32 v26, 31, v26
	v_cvt_u32_f32_e32 v30, v30
	s_delay_alu instid0(VALU_DEP_3) | instskip(NEXT) | instid1(VALU_DEP_2)
	v_cvt_u32_f32_e32 v33, v33
	v_xor_b32_e32 v30, v30, v26
	s_delay_alu instid0(VALU_DEP_2) | instskip(NEXT) | instid1(VALU_DEP_1)
	v_xor_b32_e32 v33, v33, v26
	v_sub_co_u32 v25, s3, v33, v26
	s_delay_alu instid0(VALU_DEP_1) | instskip(SKIP_1) | instid1(VALU_DEP_3)
	v_sub_co_ci_u32_e64 v26, s3, v30, v26, s3
	v_mov_b32_e32 v30, 0
	v_cndmask_b32_e64 v25, v25, -1, s2
	s_delay_alu instid0(VALU_DEP_3) | instskip(NEXT) | instid1(VALU_DEP_1)
	v_cndmask_b32_e64 v26, v26, -1, s2
	v_cmpx_lt_i64_e32 -1, v[25:26]
	s_cbranch_execz .LBB54_171
; %bb.160:
	v_mov_b32_e32 v30, 1.0
	s_mov_b32 s14, exec_lo
	v_cmpx_lt_i64_e32 0, v[25:26]
	s_cbranch_execz .LBB54_170
; %bb.161:
	v_and_b32_e32 v27, 0xffff0000, v27
                                        ; implicit-def: $vgpr30
	s_mov_b32 s2, exec_lo
	v_cmpx_ne_u64_e32 1, v[25:26]
	s_xor_b32 s16, exec_lo, s2
	s_cbranch_execz .LBB54_167
; %bb.162:
	v_mov_b32_e32 v30, 0x7fc00000
	s_mov_b32 s17, exec_lo
	v_cmpx_gt_u64_e32 0x81, v[25:26]
	s_cbranch_execz .LBB54_166
; %bb.163:
	v_add_f32_e32 v27, v27, v27
	v_lshlrev_b64 v[25:26], 1, v[25:26]
	v_mov_b32_e32 v33, 1.0
	s_mov_b64 s[2:3], 2
	s_mov_b32 s18, 0
	v_mov_b32_e32 v30, v27
	.p2align	6
.LBB54_164:                             ; =>This Inner Loop Header: Depth=1
	s_clz_i32_u32 s19, s3
	s_delay_alu instid0(SALU_CYCLE_1) | instskip(NEXT) | instid1(SALU_CYCLE_1)
	s_min_u32 s19, s19, 32
	s_lshl_b64 s[20:21], s[2:3], s19
	s_sub_i32 s19, 32, s19
	s_min_u32 s20, s20, 1
	s_delay_alu instid0(SALU_CYCLE_1) | instskip(SKIP_3) | instid1(SALU_CYCLE_1)
	s_or_b32 s20, s21, s20
	s_add_u32 s2, s2, 2
	v_cvt_f32_u32_e32 v34, s20
	s_addc_u32 s3, s3, 0
	v_cmp_ge_u64_e32 vcc_lo, s[2:3], v[25:26]
	s_delay_alu instid0(VALU_DEP_2) | instskip(SKIP_1) | instid1(VALU_DEP_1)
	v_ldexp_f32 v34, v34, s19
	s_or_b32 s18, vcc_lo, s18
	v_dual_mul_f32 v34, v33, v34 :: v_dual_mov_b32 v33, v30
	s_delay_alu instid0(VALU_DEP_1)
	v_fma_f32 v30, v27, v30, -v34
	s_and_not1_b32 exec_lo, exec_lo, s18
	s_cbranch_execnz .LBB54_164
; %bb.165:
	s_or_b32 exec_lo, exec_lo, s18
.LBB54_166:
	s_delay_alu instid0(SALU_CYCLE_1)
	s_or_b32 exec_lo, exec_lo, s17
                                        ; implicit-def: $vgpr27
.LBB54_167:
	s_and_not1_saveexec_b32 s2, s16
; %bb.168:
	v_add_f32_e32 v30, v27, v27
; %bb.169:
	s_or_b32 exec_lo, exec_lo, s2
.LBB54_170:
	s_delay_alu instid0(SALU_CYCLE_1)
	s_or_b32 exec_lo, exec_lo, s14
.LBB54_171:
	s_delay_alu instid0(SALU_CYCLE_1) | instskip(SKIP_3) | instid1(VALU_DEP_2)
	s_or_b32 exec_lo, exec_lo, s13
	v_bfe_u32 v25, v31, 16, 1
	v_cmp_u_f32_e32 vcc_lo, v31, v31
	s_mov_b32 s13, exec_lo
	v_add3_u32 v25, v31, v25, 0x7fff
	s_delay_alu instid0(VALU_DEP_1) | instskip(NEXT) | instid1(VALU_DEP_1)
	v_and_b32_e32 v25, 0xffff0000, v25
	v_cndmask_b32_e64 v26, v25, 0x7fc00000, vcc_lo
	v_and_b32_e32 v25, 0x7fffffff, v25
	s_delay_alu instid0(VALU_DEP_2) | instskip(NEXT) | instid1(VALU_DEP_2)
	v_trunc_f32_e32 v26, v26
	v_cmp_nlg_f32_e64 s2, 0x7f800000, v25
	s_delay_alu instid0(VALU_DEP_2) | instskip(NEXT) | instid1(VALU_DEP_2)
	v_mul_f32_e64 v27, 0x2f800000, |v26|
	s_or_b32 s2, vcc_lo, s2
	s_delay_alu instid0(VALU_DEP_1) | instskip(NEXT) | instid1(VALU_DEP_1)
	v_floor_f32_e32 v27, v27
	v_fma_f32 v31, 0xcf800000, v27, |v26|
	v_ashrrev_i32_e32 v26, 31, v26
	v_cvt_u32_f32_e32 v27, v27
	s_delay_alu instid0(VALU_DEP_3) | instskip(NEXT) | instid1(VALU_DEP_2)
	v_cvt_u32_f32_e32 v31, v31
	v_xor_b32_e32 v27, v27, v26
	s_delay_alu instid0(VALU_DEP_2) | instskip(NEXT) | instid1(VALU_DEP_1)
	v_xor_b32_e32 v31, v31, v26
	v_sub_co_u32 v25, s3, v31, v26
	s_delay_alu instid0(VALU_DEP_1) | instskip(SKIP_1) | instid1(VALU_DEP_3)
	v_sub_co_ci_u32_e64 v26, s3, v27, v26, s3
	v_mov_b32_e32 v27, 0
	v_cndmask_b32_e64 v25, v25, -1, s2
	s_delay_alu instid0(VALU_DEP_3) | instskip(NEXT) | instid1(VALU_DEP_1)
	v_cndmask_b32_e64 v26, v26, -1, s2
	v_cmpx_lt_i64_e32 -1, v[25:26]
	s_cbranch_execz .LBB54_183
; %bb.172:
	v_mov_b32_e32 v27, 1.0
	s_mov_b32 s14, exec_lo
	v_cmpx_lt_i64_e32 0, v[25:26]
	s_cbranch_execz .LBB54_182
; %bb.173:
	v_lshlrev_b32_e32 v31, 16, v28
                                        ; implicit-def: $vgpr27
	s_mov_b32 s2, exec_lo
	v_cmpx_ne_u64_e32 1, v[25:26]
	s_xor_b32 s16, exec_lo, s2
	s_cbranch_execz .LBB54_179
; %bb.174:
	v_mov_b32_e32 v27, 0x7fc00000
	s_mov_b32 s17, exec_lo
	v_cmpx_gt_u64_e32 0x81, v[25:26]
	s_cbranch_execz .LBB54_178
; %bb.175:
	v_add_f32_e32 v31, v31, v31
	v_lshlrev_b64 v[25:26], 1, v[25:26]
	v_mov_b32_e32 v33, 1.0
	s_mov_b64 s[2:3], 2
	s_mov_b32 s18, 0
	v_mov_b32_e32 v27, v31
	.p2align	6
.LBB54_176:                             ; =>This Inner Loop Header: Depth=1
	s_clz_i32_u32 s19, s3
	s_delay_alu instid0(SALU_CYCLE_1) | instskip(NEXT) | instid1(SALU_CYCLE_1)
	s_min_u32 s19, s19, 32
	s_lshl_b64 s[20:21], s[2:3], s19
	s_sub_i32 s19, 32, s19
	s_min_u32 s20, s20, 1
	s_delay_alu instid0(SALU_CYCLE_1) | instskip(SKIP_3) | instid1(SALU_CYCLE_1)
	s_or_b32 s20, s21, s20
	s_add_u32 s2, s2, 2
	v_cvt_f32_u32_e32 v34, s20
	s_addc_u32 s3, s3, 0
	v_cmp_ge_u64_e32 vcc_lo, s[2:3], v[25:26]
	s_delay_alu instid0(VALU_DEP_2) | instskip(SKIP_1) | instid1(VALU_DEP_1)
	v_ldexp_f32 v34, v34, s19
	s_or_b32 s18, vcc_lo, s18
	v_dual_mul_f32 v34, v33, v34 :: v_dual_mov_b32 v33, v27
	s_delay_alu instid0(VALU_DEP_1)
	v_fma_f32 v27, v31, v27, -v34
	s_and_not1_b32 exec_lo, exec_lo, s18
	s_cbranch_execnz .LBB54_176
; %bb.177:
	s_or_b32 exec_lo, exec_lo, s18
.LBB54_178:
	s_delay_alu instid0(SALU_CYCLE_1)
	s_or_b32 exec_lo, exec_lo, s17
                                        ; implicit-def: $vgpr31
.LBB54_179:
	s_and_not1_saveexec_b32 s2, s16
; %bb.180:
	v_add_f32_e32 v27, v31, v31
; %bb.181:
	s_or_b32 exec_lo, exec_lo, s2
.LBB54_182:
	s_delay_alu instid0(SALU_CYCLE_1)
	s_or_b32 exec_lo, exec_lo, s14
.LBB54_183:
	s_delay_alu instid0(SALU_CYCLE_1) | instskip(SKIP_3) | instid1(VALU_DEP_2)
	s_or_b32 exec_lo, exec_lo, s13
	v_bfe_u32 v25, v32, 16, 1
	v_cmp_u_f32_e32 vcc_lo, v32, v32
	s_mov_b32 s13, exec_lo
	v_add3_u32 v25, v32, v25, 0x7fff
	s_delay_alu instid0(VALU_DEP_1) | instskip(NEXT) | instid1(VALU_DEP_1)
	v_and_b32_e32 v25, 0xffff0000, v25
	v_cndmask_b32_e64 v26, v25, 0x7fc00000, vcc_lo
	v_and_b32_e32 v25, 0x7fffffff, v25
	s_delay_alu instid0(VALU_DEP_2) | instskip(NEXT) | instid1(VALU_DEP_2)
	v_trunc_f32_e32 v26, v26
	v_cmp_nlg_f32_e64 s2, 0x7f800000, v25
	s_delay_alu instid0(VALU_DEP_2) | instskip(NEXT) | instid1(VALU_DEP_2)
	v_mul_f32_e64 v31, 0x2f800000, |v26|
	s_or_b32 s2, vcc_lo, s2
	s_delay_alu instid0(VALU_DEP_1) | instskip(NEXT) | instid1(VALU_DEP_1)
	v_floor_f32_e32 v31, v31
	v_fma_f32 v32, 0xcf800000, v31, |v26|
	v_ashrrev_i32_e32 v26, 31, v26
	v_cvt_u32_f32_e32 v31, v31
	s_delay_alu instid0(VALU_DEP_3) | instskip(NEXT) | instid1(VALU_DEP_2)
	v_cvt_u32_f32_e32 v32, v32
	v_xor_b32_e32 v31, v31, v26
	s_delay_alu instid0(VALU_DEP_2) | instskip(NEXT) | instid1(VALU_DEP_1)
	v_xor_b32_e32 v32, v32, v26
	v_sub_co_u32 v25, s3, v32, v26
	s_delay_alu instid0(VALU_DEP_1) | instskip(SKIP_1) | instid1(VALU_DEP_3)
	v_sub_co_ci_u32_e64 v26, s3, v31, v26, s3
	v_mov_b32_e32 v31, 0
	v_cndmask_b32_e64 v25, v25, -1, s2
	s_delay_alu instid0(VALU_DEP_3) | instskip(NEXT) | instid1(VALU_DEP_1)
	v_cndmask_b32_e64 v26, v26, -1, s2
	v_cmpx_lt_i64_e32 -1, v[25:26]
	s_cbranch_execz .LBB54_195
; %bb.184:
	v_mov_b32_e32 v31, 1.0
	s_mov_b32 s14, exec_lo
	v_cmpx_lt_i64_e32 0, v[25:26]
	s_cbranch_execz .LBB54_194
; %bb.185:
	v_and_b32_e32 v28, 0xffff0000, v28
                                        ; implicit-def: $vgpr31
	s_mov_b32 s2, exec_lo
	v_cmpx_ne_u64_e32 1, v[25:26]
	s_xor_b32 s16, exec_lo, s2
	s_cbranch_execz .LBB54_191
; %bb.186:
	v_mov_b32_e32 v31, 0x7fc00000
	s_mov_b32 s17, exec_lo
	v_cmpx_gt_u64_e32 0x81, v[25:26]
	s_cbranch_execz .LBB54_190
; %bb.187:
	v_add_f32_e32 v28, v28, v28
	v_lshlrev_b64 v[25:26], 1, v[25:26]
	v_mov_b32_e32 v32, 1.0
	s_mov_b64 s[2:3], 2
	s_mov_b32 s18, 0
	v_mov_b32_e32 v31, v28
	.p2align	6
.LBB54_188:                             ; =>This Inner Loop Header: Depth=1
	s_clz_i32_u32 s19, s3
	s_delay_alu instid0(SALU_CYCLE_1) | instskip(NEXT) | instid1(SALU_CYCLE_1)
	s_min_u32 s19, s19, 32
	s_lshl_b64 s[20:21], s[2:3], s19
	s_sub_i32 s19, 32, s19
	s_min_u32 s20, s20, 1
	s_delay_alu instid0(SALU_CYCLE_1) | instskip(SKIP_3) | instid1(SALU_CYCLE_1)
	s_or_b32 s20, s21, s20
	s_add_u32 s2, s2, 2
	v_cvt_f32_u32_e32 v33, s20
	s_addc_u32 s3, s3, 0
	v_cmp_ge_u64_e32 vcc_lo, s[2:3], v[25:26]
	s_delay_alu instid0(VALU_DEP_2) | instskip(SKIP_1) | instid1(VALU_DEP_1)
	v_ldexp_f32 v33, v33, s19
	s_or_b32 s18, vcc_lo, s18
	v_dual_mul_f32 v33, v32, v33 :: v_dual_mov_b32 v32, v31
	s_delay_alu instid0(VALU_DEP_1)
	v_fma_f32 v31, v28, v31, -v33
	s_and_not1_b32 exec_lo, exec_lo, s18
	s_cbranch_execnz .LBB54_188
; %bb.189:
	s_or_b32 exec_lo, exec_lo, s18
.LBB54_190:
	s_delay_alu instid0(SALU_CYCLE_1)
	s_or_b32 exec_lo, exec_lo, s17
                                        ; implicit-def: $vgpr28
.LBB54_191:
	s_and_not1_saveexec_b32 s2, s16
; %bb.192:
	v_add_f32_e32 v31, v28, v28
; %bb.193:
	s_or_b32 exec_lo, exec_lo, s2
.LBB54_194:
	s_delay_alu instid0(SALU_CYCLE_1)
	s_or_b32 exec_lo, exec_lo, s14
.LBB54_195:
	s_delay_alu instid0(SALU_CYCLE_1) | instskip(SKIP_3) | instid1(VALU_DEP_2)
	s_or_b32 exec_lo, exec_lo, s13
	v_bfe_u32 v25, v21, 16, 1
	v_cmp_u_f32_e32 vcc_lo, v21, v21
	s_mov_b32 s13, exec_lo
	v_add3_u32 v25, v21, v25, 0x7fff
	s_delay_alu instid0(VALU_DEP_1) | instskip(NEXT) | instid1(VALU_DEP_1)
	v_and_b32_e32 v25, 0xffff0000, v25
	v_cndmask_b32_e64 v21, v25, 0x7fc00000, vcc_lo
	v_and_b32_e32 v25, 0x7fffffff, v25
	s_delay_alu instid0(VALU_DEP_2) | instskip(NEXT) | instid1(VALU_DEP_2)
	v_trunc_f32_e32 v21, v21
	v_cmp_nlg_f32_e64 s2, 0x7f800000, v25
	s_delay_alu instid0(VALU_DEP_2) | instskip(NEXT) | instid1(VALU_DEP_2)
	v_mul_f32_e64 v26, 0x2f800000, |v21|
	s_or_b32 s2, vcc_lo, s2
	s_delay_alu instid0(VALU_DEP_1) | instskip(NEXT) | instid1(VALU_DEP_1)
	v_floor_f32_e32 v26, v26
	v_fma_f32 v28, 0xcf800000, v26, |v21|
	v_ashrrev_i32_e32 v21, 31, v21
	v_cvt_u32_f32_e32 v26, v26
	s_delay_alu instid0(VALU_DEP_3) | instskip(NEXT) | instid1(VALU_DEP_2)
	v_cvt_u32_f32_e32 v28, v28
	v_xor_b32_e32 v26, v26, v21
	s_delay_alu instid0(VALU_DEP_2) | instskip(NEXT) | instid1(VALU_DEP_1)
	v_xor_b32_e32 v28, v28, v21
	v_sub_co_u32 v25, s3, v28, v21
	v_mov_b32_e32 v28, 0
	s_delay_alu instid0(VALU_DEP_4) | instskip(NEXT) | instid1(VALU_DEP_3)
	v_sub_co_ci_u32_e64 v21, s3, v26, v21, s3
	v_cndmask_b32_e64 v25, v25, -1, s2
	s_delay_alu instid0(VALU_DEP_2) | instskip(NEXT) | instid1(VALU_DEP_1)
	v_cndmask_b32_e64 v26, v21, -1, s2
	v_cmpx_lt_i64_e32 -1, v[25:26]
	s_cbranch_execz .LBB54_207
; %bb.196:
	v_mov_b32_e32 v28, 1.0
	s_mov_b32 s14, exec_lo
	v_cmpx_lt_i64_e32 0, v[25:26]
	s_cbranch_execz .LBB54_206
; %bb.197:
	v_lshlrev_b32_e32 v21, 16, v13
                                        ; implicit-def: $vgpr28
	s_mov_b32 s2, exec_lo
	v_cmpx_ne_u64_e32 1, v[25:26]
	s_xor_b32 s16, exec_lo, s2
	s_cbranch_execz .LBB54_203
; %bb.198:
	v_mov_b32_e32 v28, 0x7fc00000
	s_mov_b32 s17, exec_lo
	v_cmpx_gt_u64_e32 0x81, v[25:26]
	s_cbranch_execz .LBB54_202
; %bb.199:
	v_dual_add_f32 v21, v21, v21 :: v_dual_mov_b32 v32, 1.0
	v_lshlrev_b64 v[25:26], 1, v[25:26]
	s_mov_b64 s[2:3], 2
	s_mov_b32 s18, 0
	s_delay_alu instid0(VALU_DEP_2)
	v_mov_b32_e32 v28, v21
	.p2align	6
.LBB54_200:                             ; =>This Inner Loop Header: Depth=1
	s_clz_i32_u32 s19, s3
	s_delay_alu instid0(SALU_CYCLE_1) | instskip(NEXT) | instid1(SALU_CYCLE_1)
	s_min_u32 s19, s19, 32
	s_lshl_b64 s[20:21], s[2:3], s19
	s_sub_i32 s19, 32, s19
	s_min_u32 s20, s20, 1
	s_delay_alu instid0(SALU_CYCLE_1) | instskip(SKIP_3) | instid1(SALU_CYCLE_1)
	s_or_b32 s20, s21, s20
	s_add_u32 s2, s2, 2
	v_cvt_f32_u32_e32 v33, s20
	s_addc_u32 s3, s3, 0
	v_cmp_ge_u64_e32 vcc_lo, s[2:3], v[25:26]
	s_delay_alu instid0(VALU_DEP_2) | instskip(SKIP_1) | instid1(VALU_DEP_1)
	v_ldexp_f32 v33, v33, s19
	s_or_b32 s18, vcc_lo, s18
	v_mul_f32_e32 v33, v32, v33
	v_mov_b32_e32 v32, v28
	s_delay_alu instid0(VALU_DEP_2)
	v_fma_f32 v28, v21, v28, -v33
	s_and_not1_b32 exec_lo, exec_lo, s18
	s_cbranch_execnz .LBB54_200
; %bb.201:
	s_or_b32 exec_lo, exec_lo, s18
.LBB54_202:
	s_delay_alu instid0(SALU_CYCLE_1)
	s_or_b32 exec_lo, exec_lo, s17
                                        ; implicit-def: $vgpr21
.LBB54_203:
	s_and_not1_saveexec_b32 s2, s16
; %bb.204:
	v_add_f32_e32 v28, v21, v21
; %bb.205:
	s_or_b32 exec_lo, exec_lo, s2
.LBB54_206:
	s_delay_alu instid0(SALU_CYCLE_1)
	s_or_b32 exec_lo, exec_lo, s14
.LBB54_207:
	s_delay_alu instid0(SALU_CYCLE_1) | instskip(SKIP_3) | instid1(VALU_DEP_2)
	s_or_b32 exec_lo, exec_lo, s13
	v_bfe_u32 v21, v22, 16, 1
	v_cmp_u_f32_e32 vcc_lo, v22, v22
	s_mov_b32 s13, exec_lo
	v_add3_u32 v21, v22, v21, 0x7fff
	s_delay_alu instid0(VALU_DEP_1) | instskip(NEXT) | instid1(VALU_DEP_1)
	v_and_b32_e32 v21, 0xffff0000, v21
	v_cndmask_b32_e64 v22, v21, 0x7fc00000, vcc_lo
	v_and_b32_e32 v21, 0x7fffffff, v21
	s_delay_alu instid0(VALU_DEP_2) | instskip(NEXT) | instid1(VALU_DEP_2)
	v_trunc_f32_e32 v22, v22
	v_cmp_nlg_f32_e64 s2, 0x7f800000, v21
	s_delay_alu instid0(VALU_DEP_2) | instskip(NEXT) | instid1(VALU_DEP_2)
	v_mul_f32_e64 v25, 0x2f800000, |v22|
	s_or_b32 s2, vcc_lo, s2
	s_delay_alu instid0(VALU_DEP_1) | instskip(NEXT) | instid1(VALU_DEP_1)
	v_floor_f32_e32 v25, v25
	v_fma_f32 v26, 0xcf800000, v25, |v22|
	v_ashrrev_i32_e32 v22, 31, v22
	v_cvt_u32_f32_e32 v25, v25
	s_delay_alu instid0(VALU_DEP_3) | instskip(NEXT) | instid1(VALU_DEP_2)
	v_cvt_u32_f32_e32 v26, v26
	v_xor_b32_e32 v25, v25, v22
	s_delay_alu instid0(VALU_DEP_2) | instskip(NEXT) | instid1(VALU_DEP_1)
	v_xor_b32_e32 v26, v26, v22
	v_sub_co_u32 v21, s3, v26, v22
	s_delay_alu instid0(VALU_DEP_1) | instskip(SKIP_1) | instid1(VALU_DEP_3)
	v_sub_co_ci_u32_e64 v22, s3, v25, v22, s3
	v_mov_b32_e32 v25, 0
	v_cndmask_b32_e64 v21, v21, -1, s2
	s_delay_alu instid0(VALU_DEP_3) | instskip(NEXT) | instid1(VALU_DEP_1)
	v_cndmask_b32_e64 v22, v22, -1, s2
	v_cmpx_lt_i64_e32 -1, v[21:22]
	s_cbranch_execz .LBB54_219
; %bb.208:
	v_mov_b32_e32 v25, 1.0
	s_mov_b32 s14, exec_lo
	v_cmpx_lt_i64_e32 0, v[21:22]
	s_cbranch_execz .LBB54_218
; %bb.209:
	v_and_b32_e32 v13, 0xffff0000, v13
                                        ; implicit-def: $vgpr25
	s_mov_b32 s2, exec_lo
	v_cmpx_ne_u64_e32 1, v[21:22]
	s_xor_b32 s16, exec_lo, s2
	s_cbranch_execz .LBB54_215
; %bb.210:
	v_mov_b32_e32 v25, 0x7fc00000
	s_mov_b32 s17, exec_lo
	v_cmpx_gt_u64_e32 0x81, v[21:22]
	s_cbranch_execz .LBB54_214
; %bb.211:
	v_dual_add_f32 v13, v13, v13 :: v_dual_mov_b32 v26, 1.0
	v_lshlrev_b64 v[21:22], 1, v[21:22]
	s_mov_b64 s[2:3], 2
	s_mov_b32 s18, 0
	s_delay_alu instid0(VALU_DEP_2)
	v_mov_b32_e32 v25, v13
	.p2align	6
.LBB54_212:                             ; =>This Inner Loop Header: Depth=1
	s_clz_i32_u32 s19, s3
	s_delay_alu instid0(SALU_CYCLE_1) | instskip(NEXT) | instid1(SALU_CYCLE_1)
	s_min_u32 s19, s19, 32
	s_lshl_b64 s[20:21], s[2:3], s19
	s_sub_i32 s19, 32, s19
	s_min_u32 s20, s20, 1
	s_delay_alu instid0(SALU_CYCLE_1) | instskip(SKIP_3) | instid1(SALU_CYCLE_1)
	s_or_b32 s20, s21, s20
	s_add_u32 s2, s2, 2
	v_cvt_f32_u32_e32 v32, s20
	s_addc_u32 s3, s3, 0
	v_cmp_ge_u64_e32 vcc_lo, s[2:3], v[21:22]
	s_delay_alu instid0(VALU_DEP_2) | instskip(SKIP_1) | instid1(VALU_DEP_1)
	v_ldexp_f32 v32, v32, s19
	s_or_b32 s18, vcc_lo, s18
	v_mul_f32_e32 v32, v26, v32
	v_mov_b32_e32 v26, v25
	s_delay_alu instid0(VALU_DEP_2)
	v_fma_f32 v25, v13, v25, -v32
	s_and_not1_b32 exec_lo, exec_lo, s18
	s_cbranch_execnz .LBB54_212
; %bb.213:
	s_or_b32 exec_lo, exec_lo, s18
.LBB54_214:
	s_delay_alu instid0(SALU_CYCLE_1)
	s_or_b32 exec_lo, exec_lo, s17
                                        ; implicit-def: $vgpr13
.LBB54_215:
	s_and_not1_saveexec_b32 s2, s16
; %bb.216:
	v_add_f32_e32 v25, v13, v13
; %bb.217:
	s_or_b32 exec_lo, exec_lo, s2
.LBB54_218:
	s_delay_alu instid0(SALU_CYCLE_1)
	s_or_b32 exec_lo, exec_lo, s14
.LBB54_219:
	s_delay_alu instid0(SALU_CYCLE_1) | instskip(SKIP_3) | instid1(VALU_DEP_2)
	s_or_b32 exec_lo, exec_lo, s13
	v_bfe_u32 v13, v23, 16, 1
	v_cmp_u_f32_e32 vcc_lo, v23, v23
	s_mov_b32 s13, exec_lo
	v_add3_u32 v13, v23, v13, 0x7fff
	s_delay_alu instid0(VALU_DEP_1) | instskip(NEXT) | instid1(VALU_DEP_1)
	v_and_b32_e32 v13, 0xffff0000, v13
	v_cndmask_b32_e64 v21, v13, 0x7fc00000, vcc_lo
	v_and_b32_e32 v13, 0x7fffffff, v13
	s_delay_alu instid0(VALU_DEP_2) | instskip(NEXT) | instid1(VALU_DEP_2)
	v_trunc_f32_e32 v21, v21
	v_cmp_nlg_f32_e64 s2, 0x7f800000, v13
	s_delay_alu instid0(VALU_DEP_2) | instskip(NEXT) | instid1(VALU_DEP_2)
	v_mul_f32_e64 v22, 0x2f800000, |v21|
	s_or_b32 s2, vcc_lo, s2
	s_delay_alu instid0(VALU_DEP_1) | instskip(NEXT) | instid1(VALU_DEP_1)
	v_floor_f32_e32 v22, v22
	v_fma_f32 v23, 0xcf800000, v22, |v21|
	v_ashrrev_i32_e32 v21, 31, v21
	v_cvt_u32_f32_e32 v22, v22
	s_delay_alu instid0(VALU_DEP_3) | instskip(NEXT) | instid1(VALU_DEP_2)
	v_cvt_u32_f32_e32 v23, v23
	v_xor_b32_e32 v22, v22, v21
	s_delay_alu instid0(VALU_DEP_2) | instskip(NEXT) | instid1(VALU_DEP_1)
	v_xor_b32_e32 v23, v23, v21
	v_sub_co_u32 v13, s3, v23, v21
	s_delay_alu instid0(VALU_DEP_1) | instskip(SKIP_1) | instid1(VALU_DEP_2)
	v_sub_co_ci_u32_e64 v21, s3, v22, v21, s3
	v_mov_b32_e32 v23, 0
	v_cndmask_b32_e64 v22, v21, -1, s2
	s_delay_alu instid0(VALU_DEP_4) | instskip(NEXT) | instid1(VALU_DEP_1)
	v_cndmask_b32_e64 v21, v13, -1, s2
	v_cmpx_lt_i64_e32 -1, v[21:22]
	s_cbranch_execz .LBB54_231
; %bb.220:
	v_mov_b32_e32 v23, 1.0
	s_mov_b32 s14, exec_lo
	v_cmpx_lt_i64_e32 0, v[21:22]
	s_cbranch_execz .LBB54_230
; %bb.221:
	v_lshlrev_b32_e32 v13, 16, v14
                                        ; implicit-def: $vgpr23
	s_mov_b32 s2, exec_lo
	v_cmpx_ne_u64_e32 1, v[21:22]
	s_xor_b32 s16, exec_lo, s2
	s_cbranch_execz .LBB54_227
; %bb.222:
	v_mov_b32_e32 v23, 0x7fc00000
	s_mov_b32 s17, exec_lo
	v_cmpx_gt_u64_e32 0x81, v[21:22]
	s_cbranch_execz .LBB54_226
; %bb.223:
	v_dual_add_f32 v13, v13, v13 :: v_dual_mov_b32 v26, 1.0
	v_lshlrev_b64 v[21:22], 1, v[21:22]
	s_mov_b64 s[2:3], 2
	s_mov_b32 s18, 0
	s_delay_alu instid0(VALU_DEP_2)
	v_mov_b32_e32 v23, v13
	.p2align	6
.LBB54_224:                             ; =>This Inner Loop Header: Depth=1
	s_clz_i32_u32 s19, s3
	s_delay_alu instid0(SALU_CYCLE_1) | instskip(NEXT) | instid1(SALU_CYCLE_1)
	s_min_u32 s19, s19, 32
	s_lshl_b64 s[20:21], s[2:3], s19
	s_sub_i32 s19, 32, s19
	s_min_u32 s20, s20, 1
	s_delay_alu instid0(SALU_CYCLE_1) | instskip(SKIP_3) | instid1(SALU_CYCLE_1)
	s_or_b32 s20, s21, s20
	s_add_u32 s2, s2, 2
	v_cvt_f32_u32_e32 v32, s20
	s_addc_u32 s3, s3, 0
	v_cmp_ge_u64_e32 vcc_lo, s[2:3], v[21:22]
	s_delay_alu instid0(VALU_DEP_2) | instskip(SKIP_1) | instid1(VALU_DEP_1)
	v_ldexp_f32 v32, v32, s19
	s_or_b32 s18, vcc_lo, s18
	v_mul_f32_e32 v32, v26, v32
	v_mov_b32_e32 v26, v23
	s_delay_alu instid0(VALU_DEP_2)
	v_fma_f32 v23, v13, v23, -v32
	s_and_not1_b32 exec_lo, exec_lo, s18
	s_cbranch_execnz .LBB54_224
; %bb.225:
	s_or_b32 exec_lo, exec_lo, s18
.LBB54_226:
	s_delay_alu instid0(SALU_CYCLE_1)
	s_or_b32 exec_lo, exec_lo, s17
                                        ; implicit-def: $vgpr13
.LBB54_227:
	s_and_not1_saveexec_b32 s2, s16
; %bb.228:
	v_add_f32_e32 v23, v13, v13
; %bb.229:
	s_or_b32 exec_lo, exec_lo, s2
.LBB54_230:
	s_delay_alu instid0(SALU_CYCLE_1)
	s_or_b32 exec_lo, exec_lo, s14
.LBB54_231:
	s_delay_alu instid0(SALU_CYCLE_1) | instskip(SKIP_3) | instid1(VALU_DEP_2)
	s_or_b32 exec_lo, exec_lo, s13
	v_bfe_u32 v13, v24, 16, 1
	v_cmp_u_f32_e32 vcc_lo, v24, v24
	s_mov_b32 s13, exec_lo
	v_add3_u32 v13, v24, v13, 0x7fff
	s_delay_alu instid0(VALU_DEP_1) | instskip(NEXT) | instid1(VALU_DEP_1)
	v_and_b32_e32 v13, 0xffff0000, v13
	v_cndmask_b32_e64 v21, v13, 0x7fc00000, vcc_lo
	v_and_b32_e32 v13, 0x7fffffff, v13
	s_delay_alu instid0(VALU_DEP_2) | instskip(NEXT) | instid1(VALU_DEP_2)
	v_trunc_f32_e32 v21, v21
	v_cmp_nlg_f32_e64 s2, 0x7f800000, v13
	s_delay_alu instid0(VALU_DEP_2) | instskip(NEXT) | instid1(VALU_DEP_2)
	v_mul_f32_e64 v22, 0x2f800000, |v21|
	s_or_b32 s2, vcc_lo, s2
	s_delay_alu instid0(VALU_DEP_1) | instskip(NEXT) | instid1(VALU_DEP_1)
	v_floor_f32_e32 v22, v22
	v_fma_f32 v24, 0xcf800000, v22, |v21|
	v_ashrrev_i32_e32 v21, 31, v21
	v_cvt_u32_f32_e32 v22, v22
	s_delay_alu instid0(VALU_DEP_3) | instskip(NEXT) | instid1(VALU_DEP_2)
	v_cvt_u32_f32_e32 v24, v24
	v_xor_b32_e32 v22, v22, v21
	s_delay_alu instid0(VALU_DEP_2) | instskip(NEXT) | instid1(VALU_DEP_1)
	v_xor_b32_e32 v24, v24, v21
	v_sub_co_u32 v13, s3, v24, v21
	v_mov_b32_e32 v24, 0
	s_delay_alu instid0(VALU_DEP_4) | instskip(NEXT) | instid1(VALU_DEP_1)
	v_sub_co_ci_u32_e64 v21, s3, v22, v21, s3
	v_cndmask_b32_e64 v22, v21, -1, s2
	s_delay_alu instid0(VALU_DEP_4) | instskip(NEXT) | instid1(VALU_DEP_1)
	v_cndmask_b32_e64 v21, v13, -1, s2
	v_cmpx_lt_i64_e32 -1, v[21:22]
	s_cbranch_execz .LBB54_243
; %bb.232:
	v_mov_b32_e32 v24, 1.0
	s_mov_b32 s14, exec_lo
	v_cmpx_lt_i64_e32 0, v[21:22]
	s_cbranch_execz .LBB54_242
; %bb.233:
	v_and_b32_e32 v13, 0xffff0000, v14
                                        ; implicit-def: $vgpr24
	s_mov_b32 s2, exec_lo
	v_cmpx_ne_u64_e32 1, v[21:22]
	s_xor_b32 s16, exec_lo, s2
	s_cbranch_execz .LBB54_239
; %bb.234:
	v_mov_b32_e32 v24, 0x7fc00000
	s_mov_b32 s17, exec_lo
	v_cmpx_gt_u64_e32 0x81, v[21:22]
	s_cbranch_execz .LBB54_238
; %bb.235:
	v_add_f32_e32 v26, v13, v13
	v_lshlrev_b64 v[13:14], 1, v[21:22]
	v_mov_b32_e32 v21, 1.0
	s_mov_b64 s[2:3], 2
	s_mov_b32 s18, 0
	v_mov_b32_e32 v24, v26
	.p2align	6
.LBB54_236:                             ; =>This Inner Loop Header: Depth=1
	s_clz_i32_u32 s19, s3
	s_delay_alu instid0(SALU_CYCLE_1) | instskip(NEXT) | instid1(SALU_CYCLE_1)
	s_min_u32 s19, s19, 32
	s_lshl_b64 s[20:21], s[2:3], s19
	s_sub_i32 s19, 32, s19
	s_min_u32 s20, s20, 1
	s_delay_alu instid0(SALU_CYCLE_1) | instskip(SKIP_3) | instid1(SALU_CYCLE_1)
	s_or_b32 s20, s21, s20
	s_add_u32 s2, s2, 2
	v_cvt_f32_u32_e32 v22, s20
	s_addc_u32 s3, s3, 0
	v_cmp_ge_u64_e32 vcc_lo, s[2:3], v[13:14]
	s_delay_alu instid0(VALU_DEP_2) | instskip(SKIP_1) | instid1(VALU_DEP_1)
	v_ldexp_f32 v22, v22, s19
	s_or_b32 s18, vcc_lo, s18
	v_dual_mul_f32 v22, v21, v22 :: v_dual_mov_b32 v21, v24
	s_delay_alu instid0(VALU_DEP_1)
	v_fma_f32 v24, v26, v24, -v22
	s_and_not1_b32 exec_lo, exec_lo, s18
	s_cbranch_execnz .LBB54_236
; %bb.237:
	s_or_b32 exec_lo, exec_lo, s18
.LBB54_238:
	s_delay_alu instid0(SALU_CYCLE_1)
	s_or_b32 exec_lo, exec_lo, s17
                                        ; implicit-def: $vgpr13
.LBB54_239:
	s_and_not1_saveexec_b32 s2, s16
; %bb.240:
	v_add_f32_e32 v24, v13, v13
; %bb.241:
	s_or_b32 exec_lo, exec_lo, s2
.LBB54_242:
	s_delay_alu instid0(SALU_CYCLE_1)
	s_or_b32 exec_lo, exec_lo, s14
.LBB54_243:
	s_delay_alu instid0(SALU_CYCLE_1) | instskip(SKIP_3) | instid1(VALU_DEP_2)
	s_or_b32 exec_lo, exec_lo, s13
	v_bfe_u32 v13, v17, 16, 1
	v_cmp_u_f32_e32 vcc_lo, v17, v17
	s_mov_b32 s13, exec_lo
	v_add3_u32 v13, v17, v13, 0x7fff
	s_delay_alu instid0(VALU_DEP_1) | instskip(NEXT) | instid1(VALU_DEP_1)
	v_and_b32_e32 v13, 0xffff0000, v13
	v_cndmask_b32_e64 v14, v13, 0x7fc00000, vcc_lo
	v_and_b32_e32 v13, 0x7fffffff, v13
	s_delay_alu instid0(VALU_DEP_2) | instskip(NEXT) | instid1(VALU_DEP_2)
	v_trunc_f32_e32 v14, v14
	v_cmp_nlg_f32_e64 s2, 0x7f800000, v13
	s_delay_alu instid0(VALU_DEP_2) | instskip(NEXT) | instid1(VALU_DEP_2)
	v_mul_f32_e64 v17, 0x2f800000, |v14|
	s_or_b32 s2, vcc_lo, s2
	s_delay_alu instid0(VALU_DEP_1) | instskip(NEXT) | instid1(VALU_DEP_1)
	v_floor_f32_e32 v17, v17
	v_fma_f32 v21, 0xcf800000, v17, |v14|
	v_ashrrev_i32_e32 v14, 31, v14
	v_cvt_u32_f32_e32 v17, v17
	s_delay_alu instid0(VALU_DEP_3) | instskip(NEXT) | instid1(VALU_DEP_2)
	v_cvt_u32_f32_e32 v21, v21
	v_xor_b32_e32 v17, v17, v14
	s_delay_alu instid0(VALU_DEP_2) | instskip(NEXT) | instid1(VALU_DEP_1)
	v_xor_b32_e32 v21, v21, v14
	v_sub_co_u32 v13, s3, v21, v14
	s_delay_alu instid0(VALU_DEP_1) | instskip(SKIP_1) | instid1(VALU_DEP_3)
	v_sub_co_ci_u32_e64 v14, s3, v17, v14, s3
	v_mov_b32_e32 v17, 0
	v_cndmask_b32_e64 v13, v13, -1, s2
	s_delay_alu instid0(VALU_DEP_3) | instskip(NEXT) | instid1(VALU_DEP_1)
	v_cndmask_b32_e64 v14, v14, -1, s2
	v_cmpx_lt_i64_e32 -1, v[13:14]
	s_cbranch_execz .LBB54_255
; %bb.244:
	v_mov_b32_e32 v17, 1.0
	s_mov_b32 s14, exec_lo
	v_cmpx_lt_i64_e32 0, v[13:14]
	s_cbranch_execz .LBB54_254
; %bb.245:
	v_lshlrev_b32_e32 v21, 16, v15
                                        ; implicit-def: $vgpr17
	s_mov_b32 s2, exec_lo
	v_cmpx_ne_u64_e32 1, v[13:14]
	s_xor_b32 s16, exec_lo, s2
	s_cbranch_execz .LBB54_251
; %bb.246:
	v_mov_b32_e32 v17, 0x7fc00000
	s_mov_b32 s17, exec_lo
	v_cmpx_gt_u64_e32 0x81, v[13:14]
	s_cbranch_execz .LBB54_250
; %bb.247:
	v_dual_add_f32 v21, v21, v21 :: v_dual_mov_b32 v22, 1.0
	v_lshlrev_b64 v[13:14], 1, v[13:14]
	s_mov_b64 s[2:3], 2
	s_mov_b32 s18, 0
	s_delay_alu instid0(VALU_DEP_2)
	v_mov_b32_e32 v17, v21
	.p2align	6
.LBB54_248:                             ; =>This Inner Loop Header: Depth=1
	s_clz_i32_u32 s19, s3
	s_delay_alu instid0(SALU_CYCLE_1) | instskip(NEXT) | instid1(SALU_CYCLE_1)
	s_min_u32 s19, s19, 32
	s_lshl_b64 s[20:21], s[2:3], s19
	s_sub_i32 s19, 32, s19
	s_min_u32 s20, s20, 1
	s_delay_alu instid0(SALU_CYCLE_1) | instskip(SKIP_3) | instid1(SALU_CYCLE_1)
	s_or_b32 s20, s21, s20
	s_add_u32 s2, s2, 2
	v_cvt_f32_u32_e32 v26, s20
	s_addc_u32 s3, s3, 0
	v_cmp_ge_u64_e32 vcc_lo, s[2:3], v[13:14]
	s_delay_alu instid0(VALU_DEP_2) | instskip(SKIP_1) | instid1(VALU_DEP_1)
	v_ldexp_f32 v26, v26, s19
	s_or_b32 s18, vcc_lo, s18
	v_mul_f32_e32 v26, v22, v26
	v_mov_b32_e32 v22, v17
	s_delay_alu instid0(VALU_DEP_2)
	v_fma_f32 v17, v21, v17, -v26
	s_and_not1_b32 exec_lo, exec_lo, s18
	s_cbranch_execnz .LBB54_248
; %bb.249:
	s_or_b32 exec_lo, exec_lo, s18
.LBB54_250:
	s_delay_alu instid0(SALU_CYCLE_1)
	s_or_b32 exec_lo, exec_lo, s17
                                        ; implicit-def: $vgpr21
.LBB54_251:
	s_and_not1_saveexec_b32 s2, s16
; %bb.252:
	v_add_f32_e32 v17, v21, v21
; %bb.253:
	s_or_b32 exec_lo, exec_lo, s2
.LBB54_254:
	s_delay_alu instid0(SALU_CYCLE_1)
	s_or_b32 exec_lo, exec_lo, s14
.LBB54_255:
	s_delay_alu instid0(SALU_CYCLE_1) | instskip(SKIP_3) | instid1(VALU_DEP_2)
	s_or_b32 exec_lo, exec_lo, s13
	v_bfe_u32 v13, v18, 16, 1
	v_cmp_u_f32_e32 vcc_lo, v18, v18
	s_mov_b32 s13, exec_lo
	v_add3_u32 v13, v18, v13, 0x7fff
	s_delay_alu instid0(VALU_DEP_1) | instskip(NEXT) | instid1(VALU_DEP_1)
	v_and_b32_e32 v13, 0xffff0000, v13
	v_cndmask_b32_e64 v14, v13, 0x7fc00000, vcc_lo
	v_and_b32_e32 v13, 0x7fffffff, v13
	s_delay_alu instid0(VALU_DEP_2) | instskip(NEXT) | instid1(VALU_DEP_2)
	v_trunc_f32_e32 v14, v14
	v_cmp_nlg_f32_e64 s2, 0x7f800000, v13
	s_delay_alu instid0(VALU_DEP_2) | instskip(NEXT) | instid1(VALU_DEP_2)
	v_mul_f32_e64 v18, 0x2f800000, |v14|
	s_or_b32 s2, vcc_lo, s2
	s_delay_alu instid0(VALU_DEP_1) | instskip(NEXT) | instid1(VALU_DEP_1)
	v_floor_f32_e32 v18, v18
	v_fma_f32 v21, 0xcf800000, v18, |v14|
	v_ashrrev_i32_e32 v14, 31, v14
	v_cvt_u32_f32_e32 v18, v18
	s_delay_alu instid0(VALU_DEP_3) | instskip(NEXT) | instid1(VALU_DEP_2)
	v_cvt_u32_f32_e32 v21, v21
	v_xor_b32_e32 v18, v18, v14
	s_delay_alu instid0(VALU_DEP_2) | instskip(NEXT) | instid1(VALU_DEP_1)
	v_xor_b32_e32 v21, v21, v14
	v_sub_co_u32 v13, s3, v21, v14
	s_delay_alu instid0(VALU_DEP_1) | instskip(SKIP_1) | instid1(VALU_DEP_3)
	v_sub_co_ci_u32_e64 v14, s3, v18, v14, s3
	v_mov_b32_e32 v18, 0
	v_cndmask_b32_e64 v13, v13, -1, s2
	s_delay_alu instid0(VALU_DEP_3) | instskip(NEXT) | instid1(VALU_DEP_1)
	v_cndmask_b32_e64 v14, v14, -1, s2
	v_cmpx_lt_i64_e32 -1, v[13:14]
	s_cbranch_execz .LBB54_267
; %bb.256:
	v_mov_b32_e32 v18, 1.0
	s_mov_b32 s14, exec_lo
	v_cmpx_lt_i64_e32 0, v[13:14]
	s_cbranch_execz .LBB54_266
; %bb.257:
	v_and_b32_e32 v15, 0xffff0000, v15
                                        ; implicit-def: $vgpr18
	s_mov_b32 s2, exec_lo
	v_cmpx_ne_u64_e32 1, v[13:14]
	s_xor_b32 s16, exec_lo, s2
	s_cbranch_execz .LBB54_263
; %bb.258:
	v_mov_b32_e32 v18, 0x7fc00000
	s_mov_b32 s17, exec_lo
	v_cmpx_gt_u64_e32 0x81, v[13:14]
	s_cbranch_execz .LBB54_262
; %bb.259:
	v_add_f32_e32 v15, v15, v15
	v_lshlrev_b64 v[13:14], 1, v[13:14]
	v_mov_b32_e32 v21, 1.0
	s_mov_b64 s[2:3], 2
	s_mov_b32 s18, 0
	v_mov_b32_e32 v18, v15
	.p2align	6
.LBB54_260:                             ; =>This Inner Loop Header: Depth=1
	s_clz_i32_u32 s19, s3
	s_delay_alu instid0(SALU_CYCLE_1) | instskip(NEXT) | instid1(SALU_CYCLE_1)
	s_min_u32 s19, s19, 32
	s_lshl_b64 s[20:21], s[2:3], s19
	s_sub_i32 s19, 32, s19
	s_min_u32 s20, s20, 1
	s_delay_alu instid0(SALU_CYCLE_1) | instskip(SKIP_3) | instid1(SALU_CYCLE_1)
	s_or_b32 s20, s21, s20
	s_add_u32 s2, s2, 2
	v_cvt_f32_u32_e32 v22, s20
	s_addc_u32 s3, s3, 0
	v_cmp_ge_u64_e32 vcc_lo, s[2:3], v[13:14]
	s_delay_alu instid0(VALU_DEP_2) | instskip(SKIP_1) | instid1(VALU_DEP_1)
	v_ldexp_f32 v22, v22, s19
	s_or_b32 s18, vcc_lo, s18
	v_dual_mul_f32 v22, v21, v22 :: v_dual_mov_b32 v21, v18
	s_delay_alu instid0(VALU_DEP_1)
	v_fma_f32 v18, v15, v18, -v22
	s_and_not1_b32 exec_lo, exec_lo, s18
	s_cbranch_execnz .LBB54_260
; %bb.261:
	s_or_b32 exec_lo, exec_lo, s18
.LBB54_262:
	s_delay_alu instid0(SALU_CYCLE_1)
	s_or_b32 exec_lo, exec_lo, s17
                                        ; implicit-def: $vgpr15
.LBB54_263:
	s_and_not1_saveexec_b32 s2, s16
; %bb.264:
	v_add_f32_e32 v18, v15, v15
; %bb.265:
	s_or_b32 exec_lo, exec_lo, s2
.LBB54_266:
	s_delay_alu instid0(SALU_CYCLE_1)
	s_or_b32 exec_lo, exec_lo, s14
.LBB54_267:
	s_delay_alu instid0(SALU_CYCLE_1) | instskip(SKIP_3) | instid1(VALU_DEP_2)
	s_or_b32 exec_lo, exec_lo, s13
	v_bfe_u32 v13, v19, 16, 1
	v_cmp_u_f32_e32 vcc_lo, v19, v19
	s_mov_b32 s13, exec_lo
	v_add3_u32 v13, v19, v13, 0x7fff
	s_delay_alu instid0(VALU_DEP_1) | instskip(NEXT) | instid1(VALU_DEP_1)
	v_and_b32_e32 v13, 0xffff0000, v13
	v_cndmask_b32_e64 v14, v13, 0x7fc00000, vcc_lo
	v_and_b32_e32 v13, 0x7fffffff, v13
	s_delay_alu instid0(VALU_DEP_2) | instskip(NEXT) | instid1(VALU_DEP_2)
	v_trunc_f32_e32 v14, v14
	v_cmp_nlg_f32_e64 s2, 0x7f800000, v13
	s_delay_alu instid0(VALU_DEP_2) | instskip(NEXT) | instid1(VALU_DEP_2)
	v_mul_f32_e64 v15, 0x2f800000, |v14|
	s_or_b32 s2, vcc_lo, s2
	s_delay_alu instid0(VALU_DEP_1) | instskip(NEXT) | instid1(VALU_DEP_1)
	v_floor_f32_e32 v15, v15
	v_fma_f32 v19, 0xcf800000, v15, |v14|
	v_ashrrev_i32_e32 v14, 31, v14
	v_cvt_u32_f32_e32 v15, v15
	s_delay_alu instid0(VALU_DEP_3) | instskip(NEXT) | instid1(VALU_DEP_2)
	v_cvt_u32_f32_e32 v19, v19
	v_xor_b32_e32 v15, v15, v14
	s_delay_alu instid0(VALU_DEP_2) | instskip(NEXT) | instid1(VALU_DEP_1)
	v_xor_b32_e32 v19, v19, v14
	v_sub_co_u32 v13, s3, v19, v14
	s_delay_alu instid0(VALU_DEP_1) | instskip(SKIP_1) | instid1(VALU_DEP_3)
	v_sub_co_ci_u32_e64 v14, s3, v15, v14, s3
	v_mov_b32_e32 v15, 0
	v_cndmask_b32_e64 v13, v13, -1, s2
	s_delay_alu instid0(VALU_DEP_3) | instskip(NEXT) | instid1(VALU_DEP_1)
	v_cndmask_b32_e64 v14, v14, -1, s2
	v_cmpx_lt_i64_e32 -1, v[13:14]
	s_cbranch_execz .LBB54_279
; %bb.268:
	v_mov_b32_e32 v15, 1.0
	s_mov_b32 s14, exec_lo
	v_cmpx_lt_i64_e32 0, v[13:14]
	s_cbranch_execz .LBB54_278
; %bb.269:
	v_lshlrev_b32_e32 v19, 16, v16
                                        ; implicit-def: $vgpr15
	s_mov_b32 s2, exec_lo
	v_cmpx_ne_u64_e32 1, v[13:14]
	s_xor_b32 s16, exec_lo, s2
	s_cbranch_execz .LBB54_275
; %bb.270:
	v_mov_b32_e32 v15, 0x7fc00000
	s_mov_b32 s17, exec_lo
	v_cmpx_gt_u64_e32 0x81, v[13:14]
	s_cbranch_execz .LBB54_274
; %bb.271:
	v_add_f32_e32 v19, v19, v19
	v_lshlrev_b64 v[13:14], 1, v[13:14]
	v_mov_b32_e32 v21, 1.0
	s_mov_b64 s[2:3], 2
	s_mov_b32 s18, 0
	v_mov_b32_e32 v15, v19
	.p2align	6
.LBB54_272:                             ; =>This Inner Loop Header: Depth=1
	s_clz_i32_u32 s19, s3
	s_delay_alu instid0(SALU_CYCLE_1) | instskip(NEXT) | instid1(SALU_CYCLE_1)
	s_min_u32 s19, s19, 32
	s_lshl_b64 s[20:21], s[2:3], s19
	s_sub_i32 s19, 32, s19
	s_min_u32 s20, s20, 1
	s_delay_alu instid0(SALU_CYCLE_1) | instskip(SKIP_3) | instid1(SALU_CYCLE_1)
	s_or_b32 s20, s21, s20
	s_add_u32 s2, s2, 2
	v_cvt_f32_u32_e32 v22, s20
	s_addc_u32 s3, s3, 0
	v_cmp_ge_u64_e32 vcc_lo, s[2:3], v[13:14]
	s_delay_alu instid0(VALU_DEP_2) | instskip(SKIP_1) | instid1(VALU_DEP_1)
	v_ldexp_f32 v22, v22, s19
	s_or_b32 s18, vcc_lo, s18
	v_dual_mul_f32 v22, v21, v22 :: v_dual_mov_b32 v21, v15
	s_delay_alu instid0(VALU_DEP_1)
	v_fma_f32 v15, v19, v15, -v22
	s_and_not1_b32 exec_lo, exec_lo, s18
	s_cbranch_execnz .LBB54_272
; %bb.273:
	s_or_b32 exec_lo, exec_lo, s18
.LBB54_274:
	s_delay_alu instid0(SALU_CYCLE_1)
	s_or_b32 exec_lo, exec_lo, s17
                                        ; implicit-def: $vgpr19
.LBB54_275:
	s_and_not1_saveexec_b32 s2, s16
; %bb.276:
	v_add_f32_e32 v15, v19, v19
; %bb.277:
	s_or_b32 exec_lo, exec_lo, s2
.LBB54_278:
	s_delay_alu instid0(SALU_CYCLE_1)
	s_or_b32 exec_lo, exec_lo, s14
.LBB54_279:
	s_delay_alu instid0(SALU_CYCLE_1) | instskip(SKIP_3) | instid1(VALU_DEP_2)
	s_or_b32 exec_lo, exec_lo, s13
	v_bfe_u32 v13, v20, 16, 1
	v_cmp_u_f32_e32 vcc_lo, v20, v20
	s_mov_b32 s13, exec_lo
	v_add3_u32 v13, v20, v13, 0x7fff
	s_delay_alu instid0(VALU_DEP_1) | instskip(NEXT) | instid1(VALU_DEP_1)
	v_and_b32_e32 v13, 0xffff0000, v13
	v_cndmask_b32_e64 v14, v13, 0x7fc00000, vcc_lo
	v_and_b32_e32 v13, 0x7fffffff, v13
	s_delay_alu instid0(VALU_DEP_2) | instskip(NEXT) | instid1(VALU_DEP_2)
	v_trunc_f32_e32 v14, v14
	v_cmp_nlg_f32_e64 s2, 0x7f800000, v13
	s_delay_alu instid0(VALU_DEP_2) | instskip(NEXT) | instid1(VALU_DEP_2)
	v_mul_f32_e64 v19, 0x2f800000, |v14|
	s_or_b32 s2, vcc_lo, s2
	s_delay_alu instid0(VALU_DEP_1) | instskip(NEXT) | instid1(VALU_DEP_1)
	v_floor_f32_e32 v19, v19
	v_fma_f32 v20, 0xcf800000, v19, |v14|
	v_ashrrev_i32_e32 v14, 31, v14
	v_cvt_u32_f32_e32 v19, v19
	s_delay_alu instid0(VALU_DEP_3) | instskip(NEXT) | instid1(VALU_DEP_2)
	v_cvt_u32_f32_e32 v20, v20
	v_xor_b32_e32 v19, v19, v14
	s_delay_alu instid0(VALU_DEP_2) | instskip(NEXT) | instid1(VALU_DEP_1)
	v_xor_b32_e32 v20, v20, v14
	v_sub_co_u32 v13, s3, v20, v14
	s_delay_alu instid0(VALU_DEP_1) | instskip(SKIP_1) | instid1(VALU_DEP_3)
	v_sub_co_ci_u32_e64 v14, s3, v19, v14, s3
	v_mov_b32_e32 v19, 0
	v_cndmask_b32_e64 v13, v13, -1, s2
	s_delay_alu instid0(VALU_DEP_3) | instskip(NEXT) | instid1(VALU_DEP_1)
	v_cndmask_b32_e64 v14, v14, -1, s2
	v_cmpx_lt_i64_e32 -1, v[13:14]
	s_cbranch_execz .LBB54_291
; %bb.280:
	v_mov_b32_e32 v19, 1.0
	s_mov_b32 s14, exec_lo
	v_cmpx_lt_i64_e32 0, v[13:14]
	s_cbranch_execz .LBB54_290
; %bb.281:
	v_and_b32_e32 v16, 0xffff0000, v16
                                        ; implicit-def: $vgpr19
	s_mov_b32 s2, exec_lo
	v_cmpx_ne_u64_e32 1, v[13:14]
	s_xor_b32 s16, exec_lo, s2
	s_cbranch_execz .LBB54_287
; %bb.282:
	v_mov_b32_e32 v19, 0x7fc00000
	s_mov_b32 s17, exec_lo
	v_cmpx_gt_u64_e32 0x81, v[13:14]
	s_cbranch_execz .LBB54_286
; %bb.283:
	v_add_f32_e32 v16, v16, v16
	v_lshlrev_b64 v[13:14], 1, v[13:14]
	v_mov_b32_e32 v20, 1.0
	s_mov_b64 s[2:3], 2
	s_mov_b32 s18, 0
	v_mov_b32_e32 v19, v16
	.p2align	6
.LBB54_284:                             ; =>This Inner Loop Header: Depth=1
	s_clz_i32_u32 s19, s3
	s_delay_alu instid0(SALU_CYCLE_1) | instskip(NEXT) | instid1(SALU_CYCLE_1)
	s_min_u32 s19, s19, 32
	s_lshl_b64 s[20:21], s[2:3], s19
	s_sub_i32 s19, 32, s19
	s_min_u32 s20, s20, 1
	s_delay_alu instid0(SALU_CYCLE_1) | instskip(SKIP_3) | instid1(SALU_CYCLE_1)
	s_or_b32 s20, s21, s20
	s_add_u32 s2, s2, 2
	v_cvt_f32_u32_e32 v21, s20
	s_addc_u32 s3, s3, 0
	v_cmp_ge_u64_e32 vcc_lo, s[2:3], v[13:14]
	s_delay_alu instid0(VALU_DEP_2) | instskip(SKIP_1) | instid1(VALU_DEP_1)
	v_ldexp_f32 v21, v21, s19
	s_or_b32 s18, vcc_lo, s18
	v_dual_mul_f32 v21, v20, v21 :: v_dual_mov_b32 v20, v19
	s_delay_alu instid0(VALU_DEP_1)
	v_fma_f32 v19, v16, v19, -v21
	s_and_not1_b32 exec_lo, exec_lo, s18
	s_cbranch_execnz .LBB54_284
; %bb.285:
	s_or_b32 exec_lo, exec_lo, s18
.LBB54_286:
	s_delay_alu instid0(SALU_CYCLE_1)
	s_or_b32 exec_lo, exec_lo, s17
                                        ; implicit-def: $vgpr16
.LBB54_287:
	s_and_not1_saveexec_b32 s2, s16
; %bb.288:
	v_add_f32_e32 v19, v16, v16
; %bb.289:
	s_or_b32 exec_lo, exec_lo, s2
.LBB54_290:
	s_delay_alu instid0(SALU_CYCLE_1)
	s_or_b32 exec_lo, exec_lo, s14
.LBB54_291:
	s_delay_alu instid0(SALU_CYCLE_1) | instskip(SKIP_4) | instid1(VALU_DEP_2)
	s_or_b32 exec_lo, exec_lo, s13
	s_waitcnt vmcnt(1)
	v_bfe_u32 v13, v9, 16, 1
	v_cmp_u_f32_e32 vcc_lo, v9, v9
	s_mov_b32 s13, exec_lo
	v_add3_u32 v13, v9, v13, 0x7fff
	s_delay_alu instid0(VALU_DEP_1) | instskip(NEXT) | instid1(VALU_DEP_1)
	v_and_b32_e32 v13, 0xffff0000, v13
	v_cndmask_b32_e64 v9, v13, 0x7fc00000, vcc_lo
	v_and_b32_e32 v13, 0x7fffffff, v13
	s_delay_alu instid0(VALU_DEP_2) | instskip(NEXT) | instid1(VALU_DEP_2)
	v_trunc_f32_e32 v9, v9
	v_cmp_nlg_f32_e64 s2, 0x7f800000, v13
	s_delay_alu instid0(VALU_DEP_2) | instskip(NEXT) | instid1(VALU_DEP_2)
	v_mul_f32_e64 v14, 0x2f800000, |v9|
	s_or_b32 s2, vcc_lo, s2
	s_delay_alu instid0(VALU_DEP_1) | instskip(NEXT) | instid1(VALU_DEP_1)
	v_floor_f32_e32 v14, v14
	v_fma_f32 v16, 0xcf800000, v14, |v9|
	v_ashrrev_i32_e32 v9, 31, v9
	v_cvt_u32_f32_e32 v14, v14
	s_delay_alu instid0(VALU_DEP_3) | instskip(NEXT) | instid1(VALU_DEP_2)
	v_cvt_u32_f32_e32 v16, v16
	v_xor_b32_e32 v14, v14, v9
	s_delay_alu instid0(VALU_DEP_2) | instskip(NEXT) | instid1(VALU_DEP_1)
	v_xor_b32_e32 v16, v16, v9
	v_sub_co_u32 v13, s3, v16, v9
	v_mov_b32_e32 v16, 0
	s_delay_alu instid0(VALU_DEP_4) | instskip(NEXT) | instid1(VALU_DEP_3)
	v_sub_co_ci_u32_e64 v9, s3, v14, v9, s3
	v_cndmask_b32_e64 v13, v13, -1, s2
	s_delay_alu instid0(VALU_DEP_2) | instskip(NEXT) | instid1(VALU_DEP_1)
	v_cndmask_b32_e64 v14, v9, -1, s2
	v_cmpx_lt_i64_e32 -1, v[13:14]
	s_cbranch_execz .LBB54_303
; %bb.292:
	v_mov_b32_e32 v16, 1.0
	s_mov_b32 s14, exec_lo
	v_cmpx_lt_i64_e32 0, v[13:14]
	s_cbranch_execz .LBB54_302
; %bb.293:
	v_lshlrev_b32_e32 v9, 16, v1
                                        ; implicit-def: $vgpr16
	s_mov_b32 s2, exec_lo
	v_cmpx_ne_u64_e32 1, v[13:14]
	s_xor_b32 s16, exec_lo, s2
	s_cbranch_execz .LBB54_299
; %bb.294:
	v_mov_b32_e32 v16, 0x7fc00000
	s_mov_b32 s17, exec_lo
	v_cmpx_gt_u64_e32 0x81, v[13:14]
	s_cbranch_execz .LBB54_298
; %bb.295:
	v_dual_add_f32 v9, v9, v9 :: v_dual_mov_b32 v20, 1.0
	v_lshlrev_b64 v[13:14], 1, v[13:14]
	s_mov_b64 s[2:3], 2
	s_mov_b32 s18, 0
	s_delay_alu instid0(VALU_DEP_2)
	v_mov_b32_e32 v16, v9
	.p2align	6
.LBB54_296:                             ; =>This Inner Loop Header: Depth=1
	s_clz_i32_u32 s19, s3
	s_delay_alu instid0(SALU_CYCLE_1) | instskip(NEXT) | instid1(SALU_CYCLE_1)
	s_min_u32 s19, s19, 32
	s_lshl_b64 s[20:21], s[2:3], s19
	s_sub_i32 s19, 32, s19
	s_min_u32 s20, s20, 1
	s_delay_alu instid0(SALU_CYCLE_1) | instskip(SKIP_3) | instid1(SALU_CYCLE_1)
	s_or_b32 s20, s21, s20
	s_add_u32 s2, s2, 2
	v_cvt_f32_u32_e32 v21, s20
	s_addc_u32 s3, s3, 0
	v_cmp_ge_u64_e32 vcc_lo, s[2:3], v[13:14]
	s_delay_alu instid0(VALU_DEP_2) | instskip(SKIP_1) | instid1(VALU_DEP_1)
	v_ldexp_f32 v21, v21, s19
	s_or_b32 s18, vcc_lo, s18
	v_mul_f32_e32 v21, v20, v21
	v_mov_b32_e32 v20, v16
	s_delay_alu instid0(VALU_DEP_2)
	v_fma_f32 v16, v9, v16, -v21
	s_and_not1_b32 exec_lo, exec_lo, s18
	s_cbranch_execnz .LBB54_296
; %bb.297:
	s_or_b32 exec_lo, exec_lo, s18
.LBB54_298:
	s_delay_alu instid0(SALU_CYCLE_1)
	s_or_b32 exec_lo, exec_lo, s17
                                        ; implicit-def: $vgpr9
.LBB54_299:
	s_and_not1_saveexec_b32 s2, s16
; %bb.300:
	v_add_f32_e32 v16, v9, v9
; %bb.301:
	s_or_b32 exec_lo, exec_lo, s2
.LBB54_302:
	s_delay_alu instid0(SALU_CYCLE_1)
	s_or_b32 exec_lo, exec_lo, s14
.LBB54_303:
	s_delay_alu instid0(SALU_CYCLE_1) | instskip(SKIP_3) | instid1(VALU_DEP_2)
	s_or_b32 exec_lo, exec_lo, s13
	v_bfe_u32 v9, v10, 16, 1
	v_cmp_u_f32_e32 vcc_lo, v10, v10
	s_mov_b32 s13, exec_lo
	v_add3_u32 v9, v10, v9, 0x7fff
	s_delay_alu instid0(VALU_DEP_1) | instskip(NEXT) | instid1(VALU_DEP_1)
	v_and_b32_e32 v9, 0xffff0000, v9
	v_cndmask_b32_e64 v10, v9, 0x7fc00000, vcc_lo
	v_and_b32_e32 v9, 0x7fffffff, v9
	s_delay_alu instid0(VALU_DEP_2) | instskip(NEXT) | instid1(VALU_DEP_2)
	v_trunc_f32_e32 v10, v10
	v_cmp_nlg_f32_e64 s2, 0x7f800000, v9
	s_delay_alu instid0(VALU_DEP_2) | instskip(NEXT) | instid1(VALU_DEP_2)
	v_mul_f32_e64 v13, 0x2f800000, |v10|
	s_or_b32 s2, vcc_lo, s2
	s_delay_alu instid0(VALU_DEP_1) | instskip(NEXT) | instid1(VALU_DEP_1)
	v_floor_f32_e32 v13, v13
	v_fma_f32 v14, 0xcf800000, v13, |v10|
	v_ashrrev_i32_e32 v10, 31, v10
	v_cvt_u32_f32_e32 v13, v13
	s_delay_alu instid0(VALU_DEP_3) | instskip(NEXT) | instid1(VALU_DEP_2)
	v_cvt_u32_f32_e32 v14, v14
	v_xor_b32_e32 v13, v13, v10
	s_delay_alu instid0(VALU_DEP_2) | instskip(NEXT) | instid1(VALU_DEP_1)
	v_xor_b32_e32 v14, v14, v10
	v_sub_co_u32 v9, s3, v14, v10
	s_delay_alu instid0(VALU_DEP_1) | instskip(SKIP_1) | instid1(VALU_DEP_3)
	v_sub_co_ci_u32_e64 v10, s3, v13, v10, s3
	v_mov_b32_e32 v13, 0
	v_cndmask_b32_e64 v9, v9, -1, s2
	s_delay_alu instid0(VALU_DEP_3) | instskip(NEXT) | instid1(VALU_DEP_1)
	v_cndmask_b32_e64 v10, v10, -1, s2
	v_cmpx_lt_i64_e32 -1, v[9:10]
	s_cbranch_execz .LBB54_315
; %bb.304:
	v_mov_b32_e32 v13, 1.0
	s_mov_b32 s14, exec_lo
	v_cmpx_lt_i64_e32 0, v[9:10]
	s_cbranch_execz .LBB54_314
; %bb.305:
	v_and_b32_e32 v1, 0xffff0000, v1
                                        ; implicit-def: $vgpr13
	s_mov_b32 s2, exec_lo
	v_cmpx_ne_u64_e32 1, v[9:10]
	s_xor_b32 s16, exec_lo, s2
	s_cbranch_execz .LBB54_311
; %bb.306:
	v_mov_b32_e32 v13, 0x7fc00000
	s_mov_b32 s17, exec_lo
	v_cmpx_gt_u64_e32 0x81, v[9:10]
	s_cbranch_execz .LBB54_310
; %bb.307:
	v_dual_add_f32 v1, v1, v1 :: v_dual_mov_b32 v14, 1.0
	v_lshlrev_b64 v[9:10], 1, v[9:10]
	s_mov_b64 s[2:3], 2
	s_mov_b32 s18, 0
	s_delay_alu instid0(VALU_DEP_2)
	v_mov_b32_e32 v13, v1
	.p2align	6
.LBB54_308:                             ; =>This Inner Loop Header: Depth=1
	s_clz_i32_u32 s19, s3
	s_delay_alu instid0(SALU_CYCLE_1) | instskip(NEXT) | instid1(SALU_CYCLE_1)
	s_min_u32 s19, s19, 32
	s_lshl_b64 s[20:21], s[2:3], s19
	s_sub_i32 s19, 32, s19
	s_min_u32 s20, s20, 1
	s_delay_alu instid0(SALU_CYCLE_1) | instskip(SKIP_3) | instid1(SALU_CYCLE_1)
	s_or_b32 s20, s21, s20
	s_add_u32 s2, s2, 2
	v_cvt_f32_u32_e32 v20, s20
	s_addc_u32 s3, s3, 0
	v_cmp_ge_u64_e32 vcc_lo, s[2:3], v[9:10]
	s_delay_alu instid0(VALU_DEP_2) | instskip(SKIP_1) | instid1(VALU_DEP_1)
	v_ldexp_f32 v20, v20, s19
	s_or_b32 s18, vcc_lo, s18
	v_mul_f32_e32 v20, v14, v20
	v_mov_b32_e32 v14, v13
	s_delay_alu instid0(VALU_DEP_2)
	v_fma_f32 v13, v1, v13, -v20
	s_and_not1_b32 exec_lo, exec_lo, s18
	s_cbranch_execnz .LBB54_308
; %bb.309:
	s_or_b32 exec_lo, exec_lo, s18
.LBB54_310:
	s_delay_alu instid0(SALU_CYCLE_1)
	s_or_b32 exec_lo, exec_lo, s17
                                        ; implicit-def: $vgpr1
.LBB54_311:
	s_and_not1_saveexec_b32 s2, s16
; %bb.312:
	v_add_f32_e32 v13, v1, v1
; %bb.313:
	s_or_b32 exec_lo, exec_lo, s2
.LBB54_314:
	s_delay_alu instid0(SALU_CYCLE_1)
	s_or_b32 exec_lo, exec_lo, s14
.LBB54_315:
	s_delay_alu instid0(SALU_CYCLE_1) | instskip(SKIP_3) | instid1(VALU_DEP_2)
	s_or_b32 exec_lo, exec_lo, s13
	v_bfe_u32 v1, v11, 16, 1
	v_cmp_u_f32_e32 vcc_lo, v11, v11
	s_mov_b32 s13, exec_lo
	v_add3_u32 v1, v11, v1, 0x7fff
	s_delay_alu instid0(VALU_DEP_1) | instskip(NEXT) | instid1(VALU_DEP_1)
	v_and_b32_e32 v1, 0xffff0000, v1
	v_cndmask_b32_e64 v9, v1, 0x7fc00000, vcc_lo
	v_and_b32_e32 v1, 0x7fffffff, v1
	s_delay_alu instid0(VALU_DEP_2) | instskip(NEXT) | instid1(VALU_DEP_2)
	v_trunc_f32_e32 v9, v9
	v_cmp_nlg_f32_e64 s2, 0x7f800000, v1
	s_delay_alu instid0(VALU_DEP_2) | instskip(NEXT) | instid1(VALU_DEP_2)
	v_mul_f32_e64 v10, 0x2f800000, |v9|
	s_or_b32 s2, vcc_lo, s2
	s_delay_alu instid0(VALU_DEP_1) | instskip(NEXT) | instid1(VALU_DEP_1)
	v_floor_f32_e32 v10, v10
	v_fma_f32 v11, 0xcf800000, v10, |v9|
	v_ashrrev_i32_e32 v9, 31, v9
	v_cvt_u32_f32_e32 v10, v10
	s_delay_alu instid0(VALU_DEP_3) | instskip(NEXT) | instid1(VALU_DEP_2)
	v_cvt_u32_f32_e32 v11, v11
	v_xor_b32_e32 v10, v10, v9
	s_delay_alu instid0(VALU_DEP_2) | instskip(NEXT) | instid1(VALU_DEP_1)
	v_xor_b32_e32 v11, v11, v9
	v_sub_co_u32 v1, s3, v11, v9
	s_delay_alu instid0(VALU_DEP_1) | instskip(SKIP_1) | instid1(VALU_DEP_2)
	v_sub_co_ci_u32_e64 v9, s3, v10, v9, s3
	v_mov_b32_e32 v11, 0
	v_cndmask_b32_e64 v10, v9, -1, s2
	s_delay_alu instid0(VALU_DEP_4) | instskip(NEXT) | instid1(VALU_DEP_1)
	v_cndmask_b32_e64 v9, v1, -1, s2
	v_cmpx_lt_i64_e32 -1, v[9:10]
	s_cbranch_execz .LBB54_327
; %bb.316:
	v_mov_b32_e32 v11, 1.0
	s_mov_b32 s14, exec_lo
	v_cmpx_lt_i64_e32 0, v[9:10]
	s_cbranch_execz .LBB54_326
; %bb.317:
	v_lshlrev_b32_e32 v1, 16, v2
                                        ; implicit-def: $vgpr11
	s_mov_b32 s2, exec_lo
	v_cmpx_ne_u64_e32 1, v[9:10]
	s_xor_b32 s16, exec_lo, s2
	s_cbranch_execz .LBB54_323
; %bb.318:
	v_mov_b32_e32 v11, 0x7fc00000
	s_mov_b32 s17, exec_lo
	v_cmpx_gt_u64_e32 0x81, v[9:10]
	s_cbranch_execz .LBB54_322
; %bb.319:
	v_dual_add_f32 v1, v1, v1 :: v_dual_mov_b32 v14, 1.0
	v_lshlrev_b64 v[9:10], 1, v[9:10]
	s_mov_b64 s[2:3], 2
	s_mov_b32 s18, 0
	s_delay_alu instid0(VALU_DEP_2)
	v_mov_b32_e32 v11, v1
	.p2align	6
.LBB54_320:                             ; =>This Inner Loop Header: Depth=1
	s_clz_i32_u32 s19, s3
	s_delay_alu instid0(SALU_CYCLE_1) | instskip(NEXT) | instid1(SALU_CYCLE_1)
	s_min_u32 s19, s19, 32
	s_lshl_b64 s[20:21], s[2:3], s19
	s_sub_i32 s19, 32, s19
	s_min_u32 s20, s20, 1
	s_delay_alu instid0(SALU_CYCLE_1) | instskip(SKIP_3) | instid1(SALU_CYCLE_1)
	s_or_b32 s20, s21, s20
	s_add_u32 s2, s2, 2
	v_cvt_f32_u32_e32 v20, s20
	s_addc_u32 s3, s3, 0
	v_cmp_ge_u64_e32 vcc_lo, s[2:3], v[9:10]
	s_delay_alu instid0(VALU_DEP_2) | instskip(SKIP_1) | instid1(VALU_DEP_1)
	v_ldexp_f32 v20, v20, s19
	s_or_b32 s18, vcc_lo, s18
	v_mul_f32_e32 v20, v14, v20
	v_mov_b32_e32 v14, v11
	s_delay_alu instid0(VALU_DEP_2)
	v_fma_f32 v11, v1, v11, -v20
	s_and_not1_b32 exec_lo, exec_lo, s18
	s_cbranch_execnz .LBB54_320
; %bb.321:
	s_or_b32 exec_lo, exec_lo, s18
.LBB54_322:
	s_delay_alu instid0(SALU_CYCLE_1)
	s_or_b32 exec_lo, exec_lo, s17
                                        ; implicit-def: $vgpr1
.LBB54_323:
	s_and_not1_saveexec_b32 s2, s16
; %bb.324:
	v_add_f32_e32 v11, v1, v1
; %bb.325:
	s_or_b32 exec_lo, exec_lo, s2
.LBB54_326:
	s_delay_alu instid0(SALU_CYCLE_1)
	s_or_b32 exec_lo, exec_lo, s14
.LBB54_327:
	s_delay_alu instid0(SALU_CYCLE_1) | instskip(SKIP_3) | instid1(VALU_DEP_2)
	s_or_b32 exec_lo, exec_lo, s13
	v_bfe_u32 v1, v12, 16, 1
	v_cmp_u_f32_e32 vcc_lo, v12, v12
	s_mov_b32 s13, exec_lo
	v_add3_u32 v1, v12, v1, 0x7fff
	s_delay_alu instid0(VALU_DEP_1) | instskip(NEXT) | instid1(VALU_DEP_1)
	v_and_b32_e32 v1, 0xffff0000, v1
	v_cndmask_b32_e64 v9, v1, 0x7fc00000, vcc_lo
	v_and_b32_e32 v1, 0x7fffffff, v1
	s_delay_alu instid0(VALU_DEP_2) | instskip(NEXT) | instid1(VALU_DEP_2)
	v_trunc_f32_e32 v9, v9
	v_cmp_nlg_f32_e64 s2, 0x7f800000, v1
	s_delay_alu instid0(VALU_DEP_2) | instskip(NEXT) | instid1(VALU_DEP_2)
	v_mul_f32_e64 v10, 0x2f800000, |v9|
	s_or_b32 s2, vcc_lo, s2
	s_delay_alu instid0(VALU_DEP_1) | instskip(NEXT) | instid1(VALU_DEP_1)
	v_floor_f32_e32 v10, v10
	v_fma_f32 v12, 0xcf800000, v10, |v9|
	v_ashrrev_i32_e32 v9, 31, v9
	v_cvt_u32_f32_e32 v10, v10
	s_delay_alu instid0(VALU_DEP_3) | instskip(NEXT) | instid1(VALU_DEP_2)
	v_cvt_u32_f32_e32 v12, v12
	v_xor_b32_e32 v10, v10, v9
	s_delay_alu instid0(VALU_DEP_2) | instskip(NEXT) | instid1(VALU_DEP_1)
	v_xor_b32_e32 v12, v12, v9
	v_sub_co_u32 v1, s3, v12, v9
	v_mov_b32_e32 v12, 0
	s_delay_alu instid0(VALU_DEP_4) | instskip(NEXT) | instid1(VALU_DEP_1)
	v_sub_co_ci_u32_e64 v9, s3, v10, v9, s3
	v_cndmask_b32_e64 v10, v9, -1, s2
	s_delay_alu instid0(VALU_DEP_4) | instskip(NEXT) | instid1(VALU_DEP_1)
	v_cndmask_b32_e64 v9, v1, -1, s2
	v_cmpx_lt_i64_e32 -1, v[9:10]
	s_cbranch_execz .LBB54_339
; %bb.328:
	v_mov_b32_e32 v12, 1.0
	s_mov_b32 s14, exec_lo
	v_cmpx_lt_i64_e32 0, v[9:10]
	s_cbranch_execz .LBB54_338
; %bb.329:
	v_and_b32_e32 v1, 0xffff0000, v2
                                        ; implicit-def: $vgpr12
	s_mov_b32 s2, exec_lo
	v_cmpx_ne_u64_e32 1, v[9:10]
	s_xor_b32 s16, exec_lo, s2
	s_cbranch_execz .LBB54_335
; %bb.330:
	v_mov_b32_e32 v12, 0x7fc00000
	s_mov_b32 s17, exec_lo
	v_cmpx_gt_u64_e32 0x81, v[9:10]
	s_cbranch_execz .LBB54_334
; %bb.331:
	v_add_f32_e32 v14, v1, v1
	v_lshlrev_b64 v[1:2], 1, v[9:10]
	v_mov_b32_e32 v9, 1.0
	s_mov_b64 s[2:3], 2
	s_mov_b32 s18, 0
	v_mov_b32_e32 v12, v14
	.p2align	6
.LBB54_332:                             ; =>This Inner Loop Header: Depth=1
	s_clz_i32_u32 s19, s3
	s_delay_alu instid0(SALU_CYCLE_1) | instskip(NEXT) | instid1(SALU_CYCLE_1)
	s_min_u32 s19, s19, 32
	s_lshl_b64 s[20:21], s[2:3], s19
	s_sub_i32 s19, 32, s19
	s_min_u32 s20, s20, 1
	s_delay_alu instid0(SALU_CYCLE_1) | instskip(SKIP_3) | instid1(SALU_CYCLE_1)
	s_or_b32 s20, s21, s20
	s_add_u32 s2, s2, 2
	v_cvt_f32_u32_e32 v10, s20
	s_addc_u32 s3, s3, 0
	v_cmp_ge_u64_e32 vcc_lo, s[2:3], v[1:2]
	s_delay_alu instid0(VALU_DEP_2) | instskip(SKIP_1) | instid1(VALU_DEP_1)
	v_ldexp_f32 v10, v10, s19
	s_or_b32 s18, vcc_lo, s18
	v_dual_mul_f32 v10, v9, v10 :: v_dual_mov_b32 v9, v12
	s_delay_alu instid0(VALU_DEP_1)
	v_fma_f32 v12, v14, v12, -v10
	s_and_not1_b32 exec_lo, exec_lo, s18
	s_cbranch_execnz .LBB54_332
; %bb.333:
	s_or_b32 exec_lo, exec_lo, s18
.LBB54_334:
	s_delay_alu instid0(SALU_CYCLE_1)
	s_or_b32 exec_lo, exec_lo, s17
                                        ; implicit-def: $vgpr1
.LBB54_335:
	s_and_not1_saveexec_b32 s2, s16
; %bb.336:
	v_add_f32_e32 v12, v1, v1
; %bb.337:
	s_or_b32 exec_lo, exec_lo, s2
.LBB54_338:
	s_delay_alu instid0(SALU_CYCLE_1)
	s_or_b32 exec_lo, exec_lo, s14
.LBB54_339:
	s_delay_alu instid0(SALU_CYCLE_1) | instskip(SKIP_4) | instid1(VALU_DEP_2)
	s_or_b32 exec_lo, exec_lo, s13
	s_waitcnt vmcnt(0)
	v_bfe_u32 v1, v5, 16, 1
	v_cmp_u_f32_e32 vcc_lo, v5, v5
	s_mov_b32 s13, exec_lo
	v_add3_u32 v1, v5, v1, 0x7fff
	s_delay_alu instid0(VALU_DEP_1) | instskip(NEXT) | instid1(VALU_DEP_1)
	v_and_b32_e32 v1, 0xffff0000, v1
	v_cndmask_b32_e64 v2, v1, 0x7fc00000, vcc_lo
	v_and_b32_e32 v1, 0x7fffffff, v1
	s_delay_alu instid0(VALU_DEP_2) | instskip(NEXT) | instid1(VALU_DEP_2)
	v_trunc_f32_e32 v2, v2
	v_cmp_nlg_f32_e64 s2, 0x7f800000, v1
	s_delay_alu instid0(VALU_DEP_2) | instskip(NEXT) | instid1(VALU_DEP_2)
	v_mul_f32_e64 v5, 0x2f800000, |v2|
	s_or_b32 s2, vcc_lo, s2
	s_delay_alu instid0(VALU_DEP_1) | instskip(NEXT) | instid1(VALU_DEP_1)
	v_floor_f32_e32 v5, v5
	v_fma_f32 v9, 0xcf800000, v5, |v2|
	v_ashrrev_i32_e32 v2, 31, v2
	v_cvt_u32_f32_e32 v5, v5
	s_delay_alu instid0(VALU_DEP_3) | instskip(NEXT) | instid1(VALU_DEP_2)
	v_cvt_u32_f32_e32 v9, v9
	v_xor_b32_e32 v5, v5, v2
	s_delay_alu instid0(VALU_DEP_2) | instskip(NEXT) | instid1(VALU_DEP_1)
	v_xor_b32_e32 v9, v9, v2
	v_sub_co_u32 v1, s3, v9, v2
	s_delay_alu instid0(VALU_DEP_1) | instskip(SKIP_1) | instid1(VALU_DEP_3)
	v_sub_co_ci_u32_e64 v2, s3, v5, v2, s3
	v_mov_b32_e32 v5, 0
	v_cndmask_b32_e64 v1, v1, -1, s2
	s_delay_alu instid0(VALU_DEP_3) | instskip(NEXT) | instid1(VALU_DEP_1)
	v_cndmask_b32_e64 v2, v2, -1, s2
	v_cmpx_lt_i64_e32 -1, v[1:2]
	s_cbranch_execz .LBB54_351
; %bb.340:
	v_mov_b32_e32 v5, 1.0
	s_mov_b32 s14, exec_lo
	v_cmpx_lt_i64_e32 0, v[1:2]
	s_cbranch_execz .LBB54_350
; %bb.341:
	v_lshlrev_b32_e32 v9, 16, v3
                                        ; implicit-def: $vgpr5
	s_mov_b32 s2, exec_lo
	v_cmpx_ne_u64_e32 1, v[1:2]
	s_xor_b32 s16, exec_lo, s2
	s_cbranch_execz .LBB54_347
; %bb.342:
	v_mov_b32_e32 v5, 0x7fc00000
	s_mov_b32 s17, exec_lo
	v_cmpx_gt_u64_e32 0x81, v[1:2]
	s_cbranch_execz .LBB54_346
; %bb.343:
	v_dual_add_f32 v9, v9, v9 :: v_dual_mov_b32 v10, 1.0
	v_lshlrev_b64 v[1:2], 1, v[1:2]
	s_mov_b64 s[2:3], 2
	s_mov_b32 s18, 0
	s_delay_alu instid0(VALU_DEP_2)
	v_mov_b32_e32 v5, v9
	.p2align	6
.LBB54_344:                             ; =>This Inner Loop Header: Depth=1
	s_clz_i32_u32 s19, s3
	s_delay_alu instid0(SALU_CYCLE_1) | instskip(NEXT) | instid1(SALU_CYCLE_1)
	s_min_u32 s19, s19, 32
	s_lshl_b64 s[20:21], s[2:3], s19
	s_sub_i32 s19, 32, s19
	s_min_u32 s20, s20, 1
	s_delay_alu instid0(SALU_CYCLE_1) | instskip(SKIP_3) | instid1(SALU_CYCLE_1)
	s_or_b32 s20, s21, s20
	s_add_u32 s2, s2, 2
	v_cvt_f32_u32_e32 v14, s20
	s_addc_u32 s3, s3, 0
	v_cmp_ge_u64_e32 vcc_lo, s[2:3], v[1:2]
	s_delay_alu instid0(VALU_DEP_2) | instskip(SKIP_1) | instid1(VALU_DEP_1)
	v_ldexp_f32 v14, v14, s19
	s_or_b32 s18, vcc_lo, s18
	v_mul_f32_e32 v14, v10, v14
	v_mov_b32_e32 v10, v5
	s_delay_alu instid0(VALU_DEP_2)
	v_fma_f32 v5, v9, v5, -v14
	s_and_not1_b32 exec_lo, exec_lo, s18
	s_cbranch_execnz .LBB54_344
; %bb.345:
	s_or_b32 exec_lo, exec_lo, s18
.LBB54_346:
	s_delay_alu instid0(SALU_CYCLE_1)
	s_or_b32 exec_lo, exec_lo, s17
                                        ; implicit-def: $vgpr9
.LBB54_347:
	s_and_not1_saveexec_b32 s2, s16
; %bb.348:
	v_add_f32_e32 v5, v9, v9
; %bb.349:
	s_or_b32 exec_lo, exec_lo, s2
.LBB54_350:
	s_delay_alu instid0(SALU_CYCLE_1)
	s_or_b32 exec_lo, exec_lo, s14
.LBB54_351:
	s_delay_alu instid0(SALU_CYCLE_1) | instskip(SKIP_3) | instid1(VALU_DEP_2)
	s_or_b32 exec_lo, exec_lo, s13
	v_bfe_u32 v1, v6, 16, 1
	v_cmp_u_f32_e32 vcc_lo, v6, v6
	s_mov_b32 s13, exec_lo
	v_add3_u32 v1, v6, v1, 0x7fff
	s_delay_alu instid0(VALU_DEP_1) | instskip(NEXT) | instid1(VALU_DEP_1)
	v_and_b32_e32 v1, 0xffff0000, v1
	v_cndmask_b32_e64 v2, v1, 0x7fc00000, vcc_lo
	v_and_b32_e32 v1, 0x7fffffff, v1
	s_delay_alu instid0(VALU_DEP_2) | instskip(NEXT) | instid1(VALU_DEP_2)
	v_trunc_f32_e32 v2, v2
	v_cmp_nlg_f32_e64 s2, 0x7f800000, v1
	s_delay_alu instid0(VALU_DEP_2) | instskip(NEXT) | instid1(VALU_DEP_2)
	v_mul_f32_e64 v6, 0x2f800000, |v2|
	s_or_b32 s2, vcc_lo, s2
	s_delay_alu instid0(VALU_DEP_1) | instskip(NEXT) | instid1(VALU_DEP_1)
	v_floor_f32_e32 v6, v6
	v_fma_f32 v9, 0xcf800000, v6, |v2|
	v_ashrrev_i32_e32 v2, 31, v2
	v_cvt_u32_f32_e32 v6, v6
	s_delay_alu instid0(VALU_DEP_3) | instskip(NEXT) | instid1(VALU_DEP_2)
	v_cvt_u32_f32_e32 v9, v9
	v_xor_b32_e32 v6, v6, v2
	s_delay_alu instid0(VALU_DEP_2) | instskip(NEXT) | instid1(VALU_DEP_1)
	v_xor_b32_e32 v9, v9, v2
	v_sub_co_u32 v1, s3, v9, v2
	s_delay_alu instid0(VALU_DEP_1) | instskip(SKIP_1) | instid1(VALU_DEP_3)
	v_sub_co_ci_u32_e64 v2, s3, v6, v2, s3
	v_mov_b32_e32 v6, 0
	v_cndmask_b32_e64 v1, v1, -1, s2
	s_delay_alu instid0(VALU_DEP_3) | instskip(NEXT) | instid1(VALU_DEP_1)
	v_cndmask_b32_e64 v2, v2, -1, s2
	v_cmpx_lt_i64_e32 -1, v[1:2]
	s_cbranch_execz .LBB54_363
; %bb.352:
	v_mov_b32_e32 v6, 1.0
	s_mov_b32 s14, exec_lo
	v_cmpx_lt_i64_e32 0, v[1:2]
	s_cbranch_execz .LBB54_362
; %bb.353:
	v_and_b32_e32 v3, 0xffff0000, v3
                                        ; implicit-def: $vgpr6
	s_mov_b32 s2, exec_lo
	v_cmpx_ne_u64_e32 1, v[1:2]
	s_xor_b32 s16, exec_lo, s2
	s_cbranch_execz .LBB54_359
; %bb.354:
	v_mov_b32_e32 v6, 0x7fc00000
	s_mov_b32 s17, exec_lo
	v_cmpx_gt_u64_e32 0x81, v[1:2]
	s_cbranch_execz .LBB54_358
; %bb.355:
	v_add_f32_e32 v3, v3, v3
	v_lshlrev_b64 v[1:2], 1, v[1:2]
	v_mov_b32_e32 v9, 1.0
	s_mov_b64 s[2:3], 2
	s_mov_b32 s18, 0
	v_mov_b32_e32 v6, v3
	.p2align	6
.LBB54_356:                             ; =>This Inner Loop Header: Depth=1
	s_clz_i32_u32 s19, s3
	s_delay_alu instid0(SALU_CYCLE_1) | instskip(NEXT) | instid1(SALU_CYCLE_1)
	s_min_u32 s19, s19, 32
	s_lshl_b64 s[20:21], s[2:3], s19
	s_sub_i32 s19, 32, s19
	s_min_u32 s20, s20, 1
	s_delay_alu instid0(SALU_CYCLE_1) | instskip(SKIP_3) | instid1(SALU_CYCLE_1)
	s_or_b32 s20, s21, s20
	s_add_u32 s2, s2, 2
	v_cvt_f32_u32_e32 v10, s20
	s_addc_u32 s3, s3, 0
	v_cmp_ge_u64_e32 vcc_lo, s[2:3], v[1:2]
	s_delay_alu instid0(VALU_DEP_2) | instskip(SKIP_1) | instid1(VALU_DEP_1)
	v_ldexp_f32 v10, v10, s19
	s_or_b32 s18, vcc_lo, s18
	v_dual_mul_f32 v10, v9, v10 :: v_dual_mov_b32 v9, v6
	s_delay_alu instid0(VALU_DEP_1)
	v_fma_f32 v6, v3, v6, -v10
	s_and_not1_b32 exec_lo, exec_lo, s18
	s_cbranch_execnz .LBB54_356
; %bb.357:
	s_or_b32 exec_lo, exec_lo, s18
.LBB54_358:
	s_delay_alu instid0(SALU_CYCLE_1)
	s_or_b32 exec_lo, exec_lo, s17
                                        ; implicit-def: $vgpr3
.LBB54_359:
	s_and_not1_saveexec_b32 s2, s16
; %bb.360:
	v_add_f32_e32 v6, v3, v3
; %bb.361:
	s_or_b32 exec_lo, exec_lo, s2
.LBB54_362:
	s_delay_alu instid0(SALU_CYCLE_1)
	s_or_b32 exec_lo, exec_lo, s14
.LBB54_363:
	s_delay_alu instid0(SALU_CYCLE_1) | instskip(SKIP_3) | instid1(VALU_DEP_2)
	s_or_b32 exec_lo, exec_lo, s13
	v_bfe_u32 v1, v7, 16, 1
	v_cmp_u_f32_e32 vcc_lo, v7, v7
	s_mov_b32 s13, exec_lo
	v_add3_u32 v1, v7, v1, 0x7fff
	s_delay_alu instid0(VALU_DEP_1) | instskip(NEXT) | instid1(VALU_DEP_1)
	v_and_b32_e32 v1, 0xffff0000, v1
	v_cndmask_b32_e64 v2, v1, 0x7fc00000, vcc_lo
	v_and_b32_e32 v1, 0x7fffffff, v1
	s_delay_alu instid0(VALU_DEP_2) | instskip(NEXT) | instid1(VALU_DEP_2)
	v_trunc_f32_e32 v2, v2
	v_cmp_nlg_f32_e64 s2, 0x7f800000, v1
	s_delay_alu instid0(VALU_DEP_2) | instskip(NEXT) | instid1(VALU_DEP_2)
	v_mul_f32_e64 v3, 0x2f800000, |v2|
	s_or_b32 s2, vcc_lo, s2
	s_delay_alu instid0(VALU_DEP_1) | instskip(NEXT) | instid1(VALU_DEP_1)
	v_floor_f32_e32 v3, v3
	v_fma_f32 v7, 0xcf800000, v3, |v2|
	v_ashrrev_i32_e32 v2, 31, v2
	v_cvt_u32_f32_e32 v3, v3
	s_delay_alu instid0(VALU_DEP_3) | instskip(NEXT) | instid1(VALU_DEP_2)
	v_cvt_u32_f32_e32 v7, v7
	v_xor_b32_e32 v3, v3, v2
	s_delay_alu instid0(VALU_DEP_2) | instskip(NEXT) | instid1(VALU_DEP_1)
	v_xor_b32_e32 v7, v7, v2
	v_sub_co_u32 v1, s3, v7, v2
	s_delay_alu instid0(VALU_DEP_1) | instskip(SKIP_1) | instid1(VALU_DEP_3)
	v_sub_co_ci_u32_e64 v2, s3, v3, v2, s3
	v_mov_b32_e32 v3, 0
	v_cndmask_b32_e64 v1, v1, -1, s2
	s_delay_alu instid0(VALU_DEP_3) | instskip(NEXT) | instid1(VALU_DEP_1)
	v_cndmask_b32_e64 v2, v2, -1, s2
	v_cmpx_lt_i64_e32 -1, v[1:2]
	s_cbranch_execz .LBB54_375
; %bb.364:
	v_mov_b32_e32 v3, 1.0
	s_mov_b32 s14, exec_lo
	v_cmpx_lt_i64_e32 0, v[1:2]
	s_cbranch_execz .LBB54_374
; %bb.365:
	v_lshlrev_b32_e32 v7, 16, v4
                                        ; implicit-def: $vgpr3
	s_mov_b32 s2, exec_lo
	v_cmpx_ne_u64_e32 1, v[1:2]
	s_xor_b32 s16, exec_lo, s2
	s_cbranch_execz .LBB54_371
; %bb.366:
	v_mov_b32_e32 v3, 0x7fc00000
	s_mov_b32 s17, exec_lo
	v_cmpx_gt_u64_e32 0x81, v[1:2]
	s_cbranch_execz .LBB54_370
; %bb.367:
	v_add_f32_e32 v7, v7, v7
	v_lshlrev_b64 v[1:2], 1, v[1:2]
	v_mov_b32_e32 v9, 1.0
	s_mov_b64 s[2:3], 2
	s_mov_b32 s18, 0
	v_mov_b32_e32 v3, v7
	.p2align	6
.LBB54_368:                             ; =>This Inner Loop Header: Depth=1
	s_clz_i32_u32 s19, s3
	s_delay_alu instid0(SALU_CYCLE_1) | instskip(NEXT) | instid1(SALU_CYCLE_1)
	s_min_u32 s19, s19, 32
	s_lshl_b64 s[20:21], s[2:3], s19
	s_sub_i32 s19, 32, s19
	s_min_u32 s20, s20, 1
	s_delay_alu instid0(SALU_CYCLE_1) | instskip(SKIP_3) | instid1(SALU_CYCLE_1)
	s_or_b32 s20, s21, s20
	s_add_u32 s2, s2, 2
	v_cvt_f32_u32_e32 v10, s20
	s_addc_u32 s3, s3, 0
	v_cmp_ge_u64_e32 vcc_lo, s[2:3], v[1:2]
	s_delay_alu instid0(VALU_DEP_2) | instskip(SKIP_1) | instid1(VALU_DEP_1)
	v_ldexp_f32 v10, v10, s19
	s_or_b32 s18, vcc_lo, s18
	v_dual_mul_f32 v10, v9, v10 :: v_dual_mov_b32 v9, v3
	s_delay_alu instid0(VALU_DEP_1)
	v_fma_f32 v3, v7, v3, -v10
	s_and_not1_b32 exec_lo, exec_lo, s18
	s_cbranch_execnz .LBB54_368
; %bb.369:
	s_or_b32 exec_lo, exec_lo, s18
.LBB54_370:
	s_delay_alu instid0(SALU_CYCLE_1)
	s_or_b32 exec_lo, exec_lo, s17
                                        ; implicit-def: $vgpr7
.LBB54_371:
	s_and_not1_saveexec_b32 s2, s16
; %bb.372:
	v_add_f32_e32 v3, v7, v7
; %bb.373:
	s_or_b32 exec_lo, exec_lo, s2
.LBB54_374:
	s_delay_alu instid0(SALU_CYCLE_1)
	s_or_b32 exec_lo, exec_lo, s14
.LBB54_375:
	s_delay_alu instid0(SALU_CYCLE_1) | instskip(SKIP_3) | instid1(VALU_DEP_2)
	s_or_b32 exec_lo, exec_lo, s13
	v_bfe_u32 v1, v8, 16, 1
	v_cmp_u_f32_e32 vcc_lo, v8, v8
	s_mov_b32 s13, exec_lo
	v_add3_u32 v1, v8, v1, 0x7fff
	s_delay_alu instid0(VALU_DEP_1) | instskip(NEXT) | instid1(VALU_DEP_1)
	v_and_b32_e32 v1, 0xffff0000, v1
	v_cndmask_b32_e64 v2, v1, 0x7fc00000, vcc_lo
	v_and_b32_e32 v1, 0x7fffffff, v1
	s_delay_alu instid0(VALU_DEP_2) | instskip(NEXT) | instid1(VALU_DEP_2)
	v_trunc_f32_e32 v2, v2
	v_cmp_nlg_f32_e64 s2, 0x7f800000, v1
	s_delay_alu instid0(VALU_DEP_2) | instskip(NEXT) | instid1(VALU_DEP_2)
	v_mul_f32_e64 v7, 0x2f800000, |v2|
	s_or_b32 s2, vcc_lo, s2
	s_delay_alu instid0(VALU_DEP_1) | instskip(NEXT) | instid1(VALU_DEP_1)
	v_floor_f32_e32 v7, v7
	v_fma_f32 v8, 0xcf800000, v7, |v2|
	v_ashrrev_i32_e32 v2, 31, v2
	v_cvt_u32_f32_e32 v7, v7
	s_delay_alu instid0(VALU_DEP_3) | instskip(NEXT) | instid1(VALU_DEP_2)
	v_cvt_u32_f32_e32 v8, v8
	v_xor_b32_e32 v7, v7, v2
	s_delay_alu instid0(VALU_DEP_2) | instskip(NEXT) | instid1(VALU_DEP_1)
	v_xor_b32_e32 v8, v8, v2
	v_sub_co_u32 v1, s3, v8, v2
	s_delay_alu instid0(VALU_DEP_1) | instskip(SKIP_1) | instid1(VALU_DEP_3)
	v_sub_co_ci_u32_e64 v2, s3, v7, v2, s3
	v_mov_b32_e32 v7, 0
	v_cndmask_b32_e64 v1, v1, -1, s2
	s_delay_alu instid0(VALU_DEP_3) | instskip(NEXT) | instid1(VALU_DEP_1)
	v_cndmask_b32_e64 v2, v2, -1, s2
	v_cmpx_lt_i64_e32 -1, v[1:2]
	s_cbranch_execz .LBB54_387
; %bb.376:
	v_mov_b32_e32 v7, 1.0
	s_mov_b32 s14, exec_lo
	v_cmpx_lt_i64_e32 0, v[1:2]
	s_cbranch_execz .LBB54_386
; %bb.377:
	v_and_b32_e32 v4, 0xffff0000, v4
                                        ; implicit-def: $vgpr7
	s_mov_b32 s2, exec_lo
	v_cmpx_ne_u64_e32 1, v[1:2]
	s_xor_b32 s16, exec_lo, s2
	s_cbranch_execz .LBB54_383
; %bb.378:
	v_mov_b32_e32 v7, 0x7fc00000
	s_mov_b32 s17, exec_lo
	v_cmpx_gt_u64_e32 0x81, v[1:2]
	s_cbranch_execz .LBB54_382
; %bb.379:
	v_add_f32_e32 v4, v4, v4
	v_lshlrev_b64 v[1:2], 1, v[1:2]
	v_mov_b32_e32 v8, 1.0
	s_mov_b64 s[2:3], 2
	s_mov_b32 s18, 0
	v_mov_b32_e32 v7, v4
	.p2align	6
.LBB54_380:                             ; =>This Inner Loop Header: Depth=1
	s_clz_i32_u32 s19, s3
	s_delay_alu instid0(SALU_CYCLE_1) | instskip(NEXT) | instid1(SALU_CYCLE_1)
	s_min_u32 s19, s19, 32
	s_lshl_b64 s[20:21], s[2:3], s19
	s_sub_i32 s19, 32, s19
	s_min_u32 s20, s20, 1
	s_delay_alu instid0(SALU_CYCLE_1) | instskip(SKIP_3) | instid1(SALU_CYCLE_1)
	s_or_b32 s20, s21, s20
	s_add_u32 s2, s2, 2
	v_cvt_f32_u32_e32 v9, s20
	s_addc_u32 s3, s3, 0
	v_cmp_ge_u64_e32 vcc_lo, s[2:3], v[1:2]
	s_delay_alu instid0(VALU_DEP_2) | instskip(SKIP_1) | instid1(VALU_DEP_1)
	v_ldexp_f32 v9, v9, s19
	s_or_b32 s18, vcc_lo, s18
	v_dual_mul_f32 v9, v8, v9 :: v_dual_mov_b32 v8, v7
	s_delay_alu instid0(VALU_DEP_1)
	v_fma_f32 v7, v4, v7, -v9
	s_and_not1_b32 exec_lo, exec_lo, s18
	s_cbranch_execnz .LBB54_380
; %bb.381:
	s_or_b32 exec_lo, exec_lo, s18
.LBB54_382:
	s_delay_alu instid0(SALU_CYCLE_1)
	s_or_b32 exec_lo, exec_lo, s17
                                        ; implicit-def: $vgpr4
.LBB54_383:
	s_and_not1_saveexec_b32 s2, s16
; %bb.384:
	v_add_f32_e32 v7, v4, v4
; %bb.385:
	s_or_b32 exec_lo, exec_lo, s2
.LBB54_386:
	s_delay_alu instid0(SALU_CYCLE_1)
	s_or_b32 exec_lo, exec_lo, s14
.LBB54_387:
	s_delay_alu instid0(SALU_CYCLE_1)
	s_or_b32 exec_lo, exec_lo, s13
	v_bfe_u32 v1, v53, 16, 1
	v_bfe_u32 v2, v49, 16, 1
	;; [unrolled: 1-line block ×3, first 2 shown]
	v_cmp_o_f32_e32 vcc_lo, v53, v53
	v_bfe_u32 v9, v41, 16, 1
	v_add3_u32 v1, v53, v1, 0x7fff
	v_add3_u32 v2, v49, v2, 0x7fff
	v_add3_u32 v4, v47, v4, 0x7fff
	v_bfe_u32 v10, v42, 16, 1
	v_add3_u32 v9, v41, v9, 0x7fff
	v_lshrrev_b32_e32 v1, 16, v1
	v_lshrrev_b32_e32 v2, 16, v2
	;; [unrolled: 1-line block ×3, first 2 shown]
	v_add3_u32 v10, v42, v10, 0x7fff
	v_bfe_u32 v20, v39, 16, 1
	v_cndmask_b32_e32 v1, 0x7fc0, v1, vcc_lo
	v_cmp_o_f32_e32 vcc_lo, v49, v49
	v_lshrrev_b32_e32 v9, 16, v9
	v_bfe_u32 v21, v43, 16, 1
	v_add3_u32 v20, v39, v20, 0x7fff
	v_lshrrev_b32_e32 v10, 16, v10
	v_cndmask_b32_e32 v2, 0x7fc0, v2, vcc_lo
	v_cmp_o_f32_e32 vcc_lo, v47, v47
	v_bfe_u32 v8, v48, 16, 1
	v_add3_u32 v21, v43, v21, 0x7fff
	v_lshrrev_b32_e32 v20, 16, v20
	v_bfe_u32 v26, v40, 16, 1
	v_cndmask_b32_e32 v4, 0x7fc0, v4, vcc_lo
	v_cmp_o_f32_e32 vcc_lo, v41, v41
	v_add3_u32 v8, v48, v8, 0x7fff
	v_lshrrev_b32_e32 v21, 16, v21
	v_bfe_u32 v32, v37, 16, 1
	v_perm_b32 v41, v2, v1, 0x5040100
	v_cndmask_b32_e32 v9, 0x7fc0, v9, vcc_lo
	v_cmp_o_f32_e32 vcc_lo, v42, v42
	v_lshrrev_b32_e32 v8, 16, v8
	s_add_u32 s2, s4, s8
	s_addc_u32 s3, s5, s9
	v_add_co_u32 v14, s8, s2, v51
	v_cndmask_b32_e32 v10, 0x7fc0, v10, vcc_lo
	v_cmp_o_f32_e32 vcc_lo, v39, v39
	v_add_co_ci_u32_e64 v22, null, s3, 0, s8
	v_cndmask_b32_e32 v20, 0x7fc0, v20, vcc_lo
	v_cmp_o_f32_e32 vcc_lo, v43, v43
	v_perm_b32 v43, v10, v9, 0x5040100
	v_add3_u32 v9, v40, v26, 0x7fff
	v_add3_u32 v10, v37, v32, 0x7fff
	v_bfe_u32 v26, v15, 16, 1
	v_cndmask_b32_e32 v21, 0x7fc0, v21, vcc_lo
	v_cmp_o_f32_e32 vcc_lo, v48, v48
	v_lshrrev_b32_e32 v1, 16, v9
	v_lshrrev_b32_e32 v2, 16, v10
	v_bfe_u32 v10, v29, 16, 1
	v_perm_b32 v44, v21, v20, 0x5040100
	v_cndmask_b32_e32 v8, 0x7fc0, v8, vcc_lo
	v_cmp_o_f32_e32 vcc_lo, v40, v40
	v_bfe_u32 v21, v27, 16, 1
	v_add3_u32 v10, v29, v10, 0x7fff
	v_bfe_u32 v20, v31, 16, 1
	v_perm_b32 v42, v8, v4, 0x5040100
	v_bfe_u32 v4, v35, 16, 1
	v_cndmask_b32_e32 v1, 0x7fc0, v1, vcc_lo
	v_cmp_o_f32_e32 vcc_lo, v37, v37
	v_add3_u32 v21, v27, v21, 0x7fff
	v_lshrrev_b32_e32 v10, 16, v10
	v_add3_u32 v4, v35, v4, 0x7fff
	v_bfe_u32 v9, v30, 16, 1
	v_cndmask_b32_e32 v2, 0x7fc0, v2, vcc_lo
	v_cmp_o_f32_e32 vcc_lo, v35, v35
	v_add3_u32 v20, v31, v20, 0x7fff
	v_lshrrev_b32_e32 v4, 16, v4
	v_lshrrev_b32_e32 v21, 16, v21
	v_bfe_u32 v8, v36, 16, 1
	v_add3_u32 v9, v30, v9, 0x7fff
	v_lshrrev_b32_e32 v20, 16, v20
	v_cndmask_b32_e32 v4, 0x7fc0, v4, vcc_lo
	v_cmp_o_f32_e32 vcc_lo, v29, v29
	v_add3_u32 v8, v36, v8, 0x7fff
	v_lshrrev_b32_e32 v9, 16, v9
	v_perm_b32 v29, v2, v1, 0x5040100
	v_add3_u32 v26, v15, v26, 0x7fff
	v_cndmask_b32_e32 v10, 0x7fc0, v10, vcc_lo
	v_cmp_o_f32_e32 vcc_lo, v27, v27
	v_lshrrev_b32_e32 v8, 16, v8
	v_cndmask_b32_e32 v21, 0x7fc0, v21, vcc_lo
	v_cmp_o_f32_e32 vcc_lo, v31, v31
	v_cndmask_b32_e32 v20, 0x7fc0, v20, vcc_lo
	v_cmp_o_f32_e32 vcc_lo, v30, v30
	s_delay_alu instid0(VALU_DEP_2) | instskip(SKIP_4) | instid1(VALU_DEP_4)
	v_perm_b32 v32, v20, v21, 0x5040100
	v_cndmask_b32_e32 v9, 0x7fc0, v9, vcc_lo
	v_cmp_o_f32_e32 vcc_lo, v36, v36
	v_bfe_u32 v21, v28, 16, 1
	v_bfe_u32 v20, v25, 16, 1
	v_perm_b32 v31, v9, v10, 0x5040100
	v_cndmask_b32_e32 v8, 0x7fc0, v8, vcc_lo
	s_delay_alu instid0(VALU_DEP_4) | instskip(NEXT) | instid1(VALU_DEP_4)
	v_add3_u32 v2, v28, v21, 0x7fff
	v_add3_u32 v1, v25, v20, 0x7fff
	v_add_co_u32 v20, vcc_lo, 0x2000, v14
	v_add_co_ci_u32_e32 v21, vcc_lo, 0, v22, vcc_lo
	v_perm_b32 v30, v8, v4, 0x5040100
	v_bfe_u32 v4, v23, 16, 1
	v_lshrrev_b32_e32 v2, 16, v2
	v_cmp_o_f32_e32 vcc_lo, v28, v28
	v_lshrrev_b32_e32 v1, 16, v1
	v_bfe_u32 v10, v17, 16, 1
	v_add3_u32 v4, v23, v4, 0x7fff
	v_bfe_u32 v9, v18, 16, 1
	v_cndmask_b32_e32 v2, 0x7fc0, v2, vcc_lo
	v_cmp_o_f32_e32 vcc_lo, v25, v25
	v_add3_u32 v10, v17, v10, 0x7fff
	v_lshrrev_b32_e32 v4, 16, v4
	v_bfe_u32 v25, v19, 16, 1
	v_bfe_u32 v8, v24, 16, 1
	v_cndmask_b32_e32 v1, 0x7fc0, v1, vcc_lo
	v_cmp_o_f32_e32 vcc_lo, v23, v23
	v_lshrrev_b32_e32 v10, 16, v10
	v_add3_u32 v25, v19, v25, 0x7fff
	v_lshrrev_b32_e32 v23, 16, v26
	v_add3_u32 v9, v18, v9, 0x7fff
	v_cndmask_b32_e32 v4, 0x7fc0, v4, vcc_lo
	v_cmp_o_f32_e32 vcc_lo, v17, v17
	v_lshrrev_b32_e32 v25, 16, v25
	v_add3_u32 v8, v24, v8, 0x7fff
	v_lshrrev_b32_e32 v9, 16, v9
	v_cndmask_b32_e32 v17, 0x7fc0, v10, vcc_lo
	v_cmp_o_f32_e32 vcc_lo, v15, v15
	s_delay_alu instid0(VALU_DEP_4)
	v_lshrrev_b32_e32 v8, 16, v8
	v_cndmask_b32_e32 v10, 0x7fc0, v23, vcc_lo
	v_cmp_o_f32_e32 vcc_lo, v19, v19
	v_bfe_u32 v19, v12, 16, 1
	v_bfe_u32 v23, v3, 16, 1
	v_cndmask_b32_e32 v15, 0x7fc0, v25, vcc_lo
	v_cmp_o_f32_e32 vcc_lo, v18, v18
	v_bfe_u32 v18, v16, 16, 1
	s_delay_alu instid0(VALU_DEP_4) | instskip(NEXT) | instid1(VALU_DEP_4)
	v_add3_u32 v23, v3, v23, 0x7fff
	v_perm_b32 v10, v15, v10, 0x5040100
	v_cndmask_b32_e32 v9, 0x7fc0, v9, vcc_lo
	v_cmp_o_f32_e32 vcc_lo, v24, v24
	v_bfe_u32 v24, v7, 16, 1
	v_bfe_u32 v15, v13, 16, 1
	s_delay_alu instid0(VALU_DEP_4)
	v_perm_b32 v9, v9, v17, 0x5040100
	v_cndmask_b32_e32 v8, 0x7fc0, v8, vcc_lo
	v_add3_u32 v17, v16, v18, 0x7fff
	v_bfe_u32 v18, v11, 16, 1
	v_cmp_o_f32_e32 vcc_lo, v16, v16
	v_add3_u32 v15, v13, v15, 0x7fff
	v_perm_b32 v8, v8, v4, 0x5040100
	v_lshrrev_b32_e32 v4, 16, v17
	v_add3_u32 v17, v11, v18, 0x7fff
	v_add3_u32 v18, v12, v19, 0x7fff
	v_bfe_u32 v19, v6, 16, 1
	v_lshrrev_b32_e32 v15, 16, v15
	v_cndmask_b32_e32 v16, 0x7fc0, v4, vcc_lo
	v_lshrrev_b32_e32 v4, 16, v17
	v_lshrrev_b32_e32 v17, 16, v18
	v_bfe_u32 v18, v5, 16, 1
	v_cmp_o_f32_e32 vcc_lo, v11, v11
	s_delay_alu instid0(VALU_DEP_2)
	v_add3_u32 v18, v5, v18, 0x7fff
	v_cndmask_b32_e32 v11, 0x7fc0, v4, vcc_lo
	v_cmp_o_f32_e32 vcc_lo, v12, v12
	v_add3_u32 v4, v6, v19, 0x7fff
	v_add3_u32 v19, v7, v24, 0x7fff
	v_cndmask_b32_e32 v12, 0x7fc0, v17, vcc_lo
	v_lshrrev_b32_e32 v17, 16, v18
	v_cmp_o_f32_e32 vcc_lo, v5, v5
	v_lshrrev_b32_e32 v18, 16, v23
	v_lshrrev_b32_e32 v19, 16, v19
	;; [unrolled: 1-line block ×3, first 2 shown]
	v_cndmask_b32_e32 v5, 0x7fc0, v17, vcc_lo
	v_cmp_o_f32_e32 vcc_lo, v3, v3
	v_cndmask_b32_e32 v3, 0x7fc0, v18, vcc_lo
	v_cmp_o_f32_e32 vcc_lo, v7, v7
	v_perm_b32 v7, v1, v2, 0x5040100
	v_perm_b32 v2, v12, v11, 0x5040100
	v_cndmask_b32_e32 v17, 0x7fc0, v19, vcc_lo
	v_cmp_o_f32_e32 vcc_lo, v6, v6
	v_cndmask_b32_e32 v6, 0x7fc0, v4, vcc_lo
	v_cmp_o_f32_e32 vcc_lo, v13, v13
	s_delay_alu instid0(VALU_DEP_4) | instskip(NEXT) | instid1(VALU_DEP_3)
	v_perm_b32 v4, v17, v3, 0x5040100
	v_perm_b32 v3, v6, v5, 0x5040100
	v_cndmask_b32_e32 v13, 0x7fc0, v15, vcc_lo
	v_add_co_u32 v5, vcc_lo, 0x6000, v14
	v_add_co_ci_u32_e32 v6, vcc_lo, 0, v22, vcc_lo
	s_delay_alu instid0(VALU_DEP_3)
	v_perm_b32 v1, v13, v16, 0x5040100
	s_clause 0x3
	global_store_b128 v51, v[41:44], s[2:3]
	global_store_b128 v52, v[7:10], s[2:3]
	global_store_b128 v[20:21], v[29:32], off
	global_store_b128 v[5:6], v[1:4], off
	s_branch .LBB54_2
.LBB54_388:
	s_clause 0x1
	s_load_b32 s2, s[0:1], 0x24
	s_load_b128 s[16:19], s[0:1], 0x28
	v_dual_mov_b32 v31, v0 :: v_dual_mov_b32 v0, s4
	v_dual_mov_b32 v1, s5 :: v_dual_mov_b32 v2, s6
	;; [unrolled: 1-line block ×4, first 2 shown]
	s_add_u32 s8, s0, 56
	s_addc_u32 s9, s1, 0
	s_mov_b32 s12, s15
	s_getpc_b64 s[0:1]
	s_add_u32 s0, s0, _ZN2at6native25elementwise_kernel_helperILb1ENS0_13BinaryFunctorIfffZZZNS0_12_GLOBAL__N_132hermite_polynomial_h_kernel_cudaERNS_18TensorIteratorBaseEENKUlvE_clEvENKUlvE0_clEvEUlffE_EENS0_6memory8policies11unroll_baseILi512ESt5arrayIPcLm3EE23TrivialOffsetCalculatorILi2EjESG_ILi1EjENSA_12LoadWithCastILi2EEENSA_13StoreWithCastILi1EEELi32ELi1EEEEEvT0_T1_@rel32@lo+4
	s_addc_u32 s1, s1, _ZN2at6native25elementwise_kernel_helperILb1ENS0_13BinaryFunctorIfffZZZNS0_12_GLOBAL__N_132hermite_polynomial_h_kernel_cudaERNS_18TensorIteratorBaseEENKUlvE_clEvENKUlvE0_clEvEUlffE_EENS0_6memory8policies11unroll_baseILi512ESt5arrayIPcLm3EE23TrivialOffsetCalculatorILi2EjESG_ILi1EjENSA_12LoadWithCastILi2EEENSA_13StoreWithCastILi1EEELi32ELi1EEEEEvT0_T1_@rel32@hi+12
	s_waitcnt lgkmcnt(0)
	v_lshrrev_b16 v8, 8, s2
	v_dual_mov_b32 v7, s2 :: v_dual_mov_b32 v10, s17
	v_dual_mov_b32 v9, s16 :: v_dual_mov_b32 v12, s19
	v_mov_b32_e32 v11, s18
	s_swappc_b64 s[30:31], s[0:1]
	s_endpgm
	.section	.rodata,"a",@progbits
	.p2align	6, 0x0
	.amdhsa_kernel _ZN2at6native39vectorized_templated_elementwise_kernelILi8ENS0_13BinaryFunctorIfffZZZNS0_12_GLOBAL__N_132hermite_polynomial_h_kernel_cudaERNS_18TensorIteratorBaseEENKUlvE_clEvENKUlvE0_clEvEUlffE_EESt5arrayIPcLm3EE23TrivialOffsetCalculatorILi2EjESD_ILi1EjENS0_6memory12LoadWithCastILi2EEENSG_13StoreWithCastILi1EEEN3c108BFloat16EJSM_fEEEviT0_T1_T2_T3_T4_T5_
		.amdhsa_group_segment_fixed_size 0
		.amdhsa_private_segment_fixed_size 272
		.amdhsa_kernarg_size 312
		.amdhsa_user_sgpr_count 15
		.amdhsa_user_sgpr_dispatch_ptr 0
		.amdhsa_user_sgpr_queue_ptr 0
		.amdhsa_user_sgpr_kernarg_segment_ptr 1
		.amdhsa_user_sgpr_dispatch_id 0
		.amdhsa_user_sgpr_private_segment_size 0
		.amdhsa_wavefront_size32 1
		.amdhsa_uses_dynamic_stack 0
		.amdhsa_enable_private_segment 1
		.amdhsa_system_sgpr_workgroup_id_x 1
		.amdhsa_system_sgpr_workgroup_id_y 0
		.amdhsa_system_sgpr_workgroup_id_z 0
		.amdhsa_system_sgpr_workgroup_info 0
		.amdhsa_system_vgpr_workitem_id 0
		.amdhsa_next_free_vgpr 68
		.amdhsa_next_free_sgpr 77
		.amdhsa_reserve_vcc 1
		.amdhsa_float_round_mode_32 0
		.amdhsa_float_round_mode_16_64 0
		.amdhsa_float_denorm_mode_32 3
		.amdhsa_float_denorm_mode_16_64 3
		.amdhsa_dx10_clamp 1
		.amdhsa_ieee_mode 1
		.amdhsa_fp16_overflow 0
		.amdhsa_workgroup_processor_mode 1
		.amdhsa_memory_ordered 1
		.amdhsa_forward_progress 0
		.amdhsa_shared_vgpr_count 0
		.amdhsa_exception_fp_ieee_invalid_op 0
		.amdhsa_exception_fp_denorm_src 0
		.amdhsa_exception_fp_ieee_div_zero 0
		.amdhsa_exception_fp_ieee_overflow 0
		.amdhsa_exception_fp_ieee_underflow 0
		.amdhsa_exception_fp_ieee_inexact 0
		.amdhsa_exception_int_div_zero 0
	.end_amdhsa_kernel
	.section	.text._ZN2at6native39vectorized_templated_elementwise_kernelILi8ENS0_13BinaryFunctorIfffZZZNS0_12_GLOBAL__N_132hermite_polynomial_h_kernel_cudaERNS_18TensorIteratorBaseEENKUlvE_clEvENKUlvE0_clEvEUlffE_EESt5arrayIPcLm3EE23TrivialOffsetCalculatorILi2EjESD_ILi1EjENS0_6memory12LoadWithCastILi2EEENSG_13StoreWithCastILi1EEEN3c108BFloat16EJSM_fEEEviT0_T1_T2_T3_T4_T5_,"axG",@progbits,_ZN2at6native39vectorized_templated_elementwise_kernelILi8ENS0_13BinaryFunctorIfffZZZNS0_12_GLOBAL__N_132hermite_polynomial_h_kernel_cudaERNS_18TensorIteratorBaseEENKUlvE_clEvENKUlvE0_clEvEUlffE_EESt5arrayIPcLm3EE23TrivialOffsetCalculatorILi2EjESD_ILi1EjENS0_6memory12LoadWithCastILi2EEENSG_13StoreWithCastILi1EEEN3c108BFloat16EJSM_fEEEviT0_T1_T2_T3_T4_T5_,comdat
.Lfunc_end54:
	.size	_ZN2at6native39vectorized_templated_elementwise_kernelILi8ENS0_13BinaryFunctorIfffZZZNS0_12_GLOBAL__N_132hermite_polynomial_h_kernel_cudaERNS_18TensorIteratorBaseEENKUlvE_clEvENKUlvE0_clEvEUlffE_EESt5arrayIPcLm3EE23TrivialOffsetCalculatorILi2EjESD_ILi1EjENS0_6memory12LoadWithCastILi2EEENSG_13StoreWithCastILi1EEEN3c108BFloat16EJSM_fEEEviT0_T1_T2_T3_T4_T5_, .Lfunc_end54-_ZN2at6native39vectorized_templated_elementwise_kernelILi8ENS0_13BinaryFunctorIfffZZZNS0_12_GLOBAL__N_132hermite_polynomial_h_kernel_cudaERNS_18TensorIteratorBaseEENKUlvE_clEvENKUlvE0_clEvEUlffE_EESt5arrayIPcLm3EE23TrivialOffsetCalculatorILi2EjESD_ILi1EjENS0_6memory12LoadWithCastILi2EEENSG_13StoreWithCastILi1EEEN3c108BFloat16EJSM_fEEEviT0_T1_T2_T3_T4_T5_
                                        ; -- End function
	.section	.AMDGPU.csdata,"",@progbits
; Kernel info:
; codeLenInByte = 15556
; NumSgprs: 79
; NumVgprs: 68
; ScratchSize: 272
; MemoryBound: 0
; FloatMode: 240
; IeeeMode: 1
; LDSByteSize: 0 bytes/workgroup (compile time only)
; SGPRBlocks: 9
; VGPRBlocks: 8
; NumSGPRsForWavesPerEU: 79
; NumVGPRsForWavesPerEU: 68
; Occupancy: 16
; WaveLimiterHint : 0
; COMPUTE_PGM_RSRC2:SCRATCH_EN: 1
; COMPUTE_PGM_RSRC2:USER_SGPR: 15
; COMPUTE_PGM_RSRC2:TRAP_HANDLER: 0
; COMPUTE_PGM_RSRC2:TGID_X_EN: 1
; COMPUTE_PGM_RSRC2:TGID_Y_EN: 0
; COMPUTE_PGM_RSRC2:TGID_Z_EN: 0
; COMPUTE_PGM_RSRC2:TIDIG_COMP_CNT: 0
	.section	.text._ZN2at6native39vectorized_templated_elementwise_kernelILi4ENS0_13BinaryFunctorIfffZZZNS0_12_GLOBAL__N_132hermite_polynomial_h_kernel_cudaERNS_18TensorIteratorBaseEENKUlvE_clEvENKUlvE0_clEvEUlffE_EESt5arrayIPcLm3EE23TrivialOffsetCalculatorILi2EjESD_ILi1EjENS0_6memory12LoadWithCastILi2EEENSG_13StoreWithCastILi1EEEN3c108BFloat16EJSM_fEEEviT0_T1_T2_T3_T4_T5_,"axG",@progbits,_ZN2at6native39vectorized_templated_elementwise_kernelILi4ENS0_13BinaryFunctorIfffZZZNS0_12_GLOBAL__N_132hermite_polynomial_h_kernel_cudaERNS_18TensorIteratorBaseEENKUlvE_clEvENKUlvE0_clEvEUlffE_EESt5arrayIPcLm3EE23TrivialOffsetCalculatorILi2EjESD_ILi1EjENS0_6memory12LoadWithCastILi2EEENSG_13StoreWithCastILi1EEEN3c108BFloat16EJSM_fEEEviT0_T1_T2_T3_T4_T5_,comdat
	.globl	_ZN2at6native39vectorized_templated_elementwise_kernelILi4ENS0_13BinaryFunctorIfffZZZNS0_12_GLOBAL__N_132hermite_polynomial_h_kernel_cudaERNS_18TensorIteratorBaseEENKUlvE_clEvENKUlvE0_clEvEUlffE_EESt5arrayIPcLm3EE23TrivialOffsetCalculatorILi2EjESD_ILi1EjENS0_6memory12LoadWithCastILi2EEENSG_13StoreWithCastILi1EEEN3c108BFloat16EJSM_fEEEviT0_T1_T2_T3_T4_T5_ ; -- Begin function _ZN2at6native39vectorized_templated_elementwise_kernelILi4ENS0_13BinaryFunctorIfffZZZNS0_12_GLOBAL__N_132hermite_polynomial_h_kernel_cudaERNS_18TensorIteratorBaseEENKUlvE_clEvENKUlvE0_clEvEUlffE_EESt5arrayIPcLm3EE23TrivialOffsetCalculatorILi2EjESD_ILi1EjENS0_6memory12LoadWithCastILi2EEENSG_13StoreWithCastILi1EEEN3c108BFloat16EJSM_fEEEviT0_T1_T2_T3_T4_T5_
	.p2align	8
	.type	_ZN2at6native39vectorized_templated_elementwise_kernelILi4ENS0_13BinaryFunctorIfffZZZNS0_12_GLOBAL__N_132hermite_polynomial_h_kernel_cudaERNS_18TensorIteratorBaseEENKUlvE_clEvENKUlvE0_clEvEUlffE_EESt5arrayIPcLm3EE23TrivialOffsetCalculatorILi2EjESD_ILi1EjENS0_6memory12LoadWithCastILi2EEENSG_13StoreWithCastILi1EEEN3c108BFloat16EJSM_fEEEviT0_T1_T2_T3_T4_T5_,@function
_ZN2at6native39vectorized_templated_elementwise_kernelILi4ENS0_13BinaryFunctorIfffZZZNS0_12_GLOBAL__N_132hermite_polynomial_h_kernel_cudaERNS_18TensorIteratorBaseEENKUlvE_clEvENKUlvE0_clEvEUlffE_EESt5arrayIPcLm3EE23TrivialOffsetCalculatorILi2EjESD_ILi1EjENS0_6memory12LoadWithCastILi2EEENSG_13StoreWithCastILi1EEEN3c108BFloat16EJSM_fEEEviT0_T1_T2_T3_T4_T5_: ; @_ZN2at6native39vectorized_templated_elementwise_kernelILi4ENS0_13BinaryFunctorIfffZZZNS0_12_GLOBAL__N_132hermite_polynomial_h_kernel_cudaERNS_18TensorIteratorBaseEENKUlvE_clEvENKUlvE0_clEvEUlffE_EESt5arrayIPcLm3EE23TrivialOffsetCalculatorILi2EjESD_ILi1EjENS0_6memory12LoadWithCastILi2EEENSG_13StoreWithCastILi1EEEN3c108BFloat16EJSM_fEEEviT0_T1_T2_T3_T4_T5_
; %bb.0:
	s_clause 0x3
	s_load_b32 s2, s[0:1], 0x38
	s_load_b32 s3, s[0:1], 0x0
	s_load_b64 s[10:11], s[0:1], 0x18
	s_load_b128 s[4:7], s[0:1], 0x8
	s_not_b32 s8, s15
	s_mov_b32 s32, 0
	s_waitcnt lgkmcnt(0)
	s_add_i32 s2, s2, s8
	s_mov_b32 s8, -1
	s_lshl_b32 s2, s2, 14
	s_delay_alu instid0(SALU_CYCLE_1) | instskip(NEXT) | instid1(SALU_CYCLE_1)
	s_sub_i32 s12, s3, s2
	s_cmpk_gt_i32 s12, 0x3fff
	s_cbranch_scc1 .LBB55_3
; %bb.1:
	s_and_b32 vcc_lo, exec_lo, s8
	s_cbranch_vccnz .LBB55_388
.LBB55_2:
	s_nop 0
	s_sendmsg sendmsg(MSG_DEALLOC_VGPRS)
	s_endpgm
.LBB55_3:
	s_ashr_i32 s3, s2, 31
	v_lshlrev_b32_e32 v1, 4, v0
	s_lshl_b64 s[8:9], s[2:3], 1
	v_lshlrev_b32_e32 v51, 3, v0
	s_add_u32 s16, s6, s8
	s_addc_u32 s17, s7, s9
	s_lshl_b64 s[2:3], s[2:3], 2
	v_or_b32_e32 v2, 0x400, v0
	s_add_u32 s2, s10, s2
	s_addc_u32 s3, s11, s3
	v_add_co_u32 v7, s13, s16, v51
	global_load_b128 v[29:32], v1, s[2:3]
	v_add_co_ci_u32_e64 v8, null, s17, 0, s13
	v_or_b32_e32 v3, 0x800, v0
	v_or_b32_e32 v4, 0xc00, v0
	v_add_co_u32 v15, s13, s2, v1
	v_add_co_u32 v1, vcc_lo, 0x1000, v7
	v_lshlrev_b32_e32 v52, 3, v2
	v_lshlrev_b32_e32 v13, 4, v2
	v_add_co_ci_u32_e32 v2, vcc_lo, 0, v8, vcc_lo
	v_lshlrev_b32_e32 v53, 3, v3
	v_lshlrev_b32_e32 v14, 4, v3
	v_add_co_u32 v3, vcc_lo, 0x3000, v7
	v_lshlrev_b32_e32 v54, 3, v4
	v_lshlrev_b32_e32 v57, 4, v4
	v_add_co_ci_u32_e32 v4, vcc_lo, 0, v8, vcc_lo
	v_add_co_u32 v5, vcc_lo, 0x5000, v7
	v_add_co_ci_u32_e32 v6, vcc_lo, 0, v8, vcc_lo
	v_add_co_ci_u32_e64 v16, null, s3, 0, s13
	v_add_co_u32 v7, vcc_lo, 0x7000, v7
	v_add_co_ci_u32_e32 v8, vcc_lo, 0, v8, vcc_lo
	v_add_co_u32 v9, vcc_lo, 0x2000, v15
	s_delay_alu instid0(VALU_DEP_4)
	v_add_co_ci_u32_e32 v10, vcc_lo, 0, v16, vcc_lo
	v_add_co_u32 v11, vcc_lo, 0x6000, v15
	v_add_co_ci_u32_e32 v12, vcc_lo, 0, v16, vcc_lo
	v_add_co_u32 v49, vcc_lo, 0xa000, v15
	;; [unrolled: 2-line block ×3, first 2 shown]
	v_add_co_ci_u32_e32 v56, vcc_lo, 0, v16, vcc_lo
	s_clause 0x7
	global_load_b64 v[47:48], v51, s[16:17]
	global_load_b64 v[45:46], v[1:2], off
	global_load_b64 v[43:44], v52, s[16:17]
	global_load_b64 v[41:42], v[3:4], off
	global_load_b64 v[39:40], v53, s[16:17]
	global_load_b64 v[37:38], v[5:6], off
	global_load_b64 v[35:36], v54, s[16:17]
	global_load_b64 v[33:34], v[7:8], off
	s_clause 0x6
	global_load_b128 v[25:28], v[9:10], off
	global_load_b128 v[21:24], v13, s[2:3]
	global_load_b128 v[17:20], v[11:12], off
	global_load_b128 v[13:16], v14, s[2:3]
	;; [unrolled: 2-line block ×3, first 2 shown]
	global_load_b128 v[1:4], v[55:56], off
	s_mov_b32 s13, exec_lo
	s_waitcnt vmcnt(15)
	v_bfe_u32 v49, v29, 16, 1
	v_cmp_u_f32_e32 vcc_lo, v29, v29
	s_delay_alu instid0(VALU_DEP_2) | instskip(NEXT) | instid1(VALU_DEP_1)
	v_add3_u32 v49, v29, v49, 0x7fff
	v_and_b32_e32 v49, 0xffff0000, v49
	s_delay_alu instid0(VALU_DEP_1) | instskip(SKIP_1) | instid1(VALU_DEP_2)
	v_cndmask_b32_e64 v29, v49, 0x7fc00000, vcc_lo
	v_and_b32_e32 v49, 0x7fffffff, v49
	v_trunc_f32_e32 v29, v29
	s_delay_alu instid0(VALU_DEP_2) | instskip(NEXT) | instid1(VALU_DEP_2)
	v_cmp_nlg_f32_e64 s2, 0x7f800000, v49
	v_mul_f32_e64 v50, 0x2f800000, |v29|
	s_delay_alu instid0(VALU_DEP_2) | instskip(NEXT) | instid1(VALU_DEP_1)
	s_or_b32 s2, vcc_lo, s2
	v_floor_f32_e32 v50, v50
	s_delay_alu instid0(VALU_DEP_1) | instskip(SKIP_2) | instid1(VALU_DEP_3)
	v_fma_f32 v55, 0xcf800000, v50, |v29|
	v_ashrrev_i32_e32 v29, 31, v29
	v_cvt_u32_f32_e32 v50, v50
	v_cvt_u32_f32_e32 v55, v55
	s_delay_alu instid0(VALU_DEP_2) | instskip(NEXT) | instid1(VALU_DEP_2)
	v_xor_b32_e32 v50, v50, v29
	v_xor_b32_e32 v55, v55, v29
	s_delay_alu instid0(VALU_DEP_1) | instskip(SKIP_1) | instid1(VALU_DEP_4)
	v_sub_co_u32 v49, s3, v55, v29
	v_mov_b32_e32 v55, 0
	v_sub_co_ci_u32_e64 v29, s3, v50, v29, s3
	s_delay_alu instid0(VALU_DEP_3) | instskip(NEXT) | instid1(VALU_DEP_2)
	v_cndmask_b32_e64 v49, v49, -1, s2
	v_cndmask_b32_e64 v50, v29, -1, s2
	s_delay_alu instid0(VALU_DEP_1)
	v_cmpx_lt_i64_e32 -1, v[49:50]
	s_cbranch_execz .LBB55_15
; %bb.4:
	v_mov_b32_e32 v55, 1.0
	s_mov_b32 s14, exec_lo
	v_cmpx_lt_i64_e32 0, v[49:50]
	s_cbranch_execz .LBB55_14
; %bb.5:
	s_waitcnt vmcnt(14)
	v_lshlrev_b32_e32 v29, 16, v47
                                        ; implicit-def: $vgpr55
	s_mov_b32 s2, exec_lo
	v_cmpx_ne_u64_e32 1, v[49:50]
	s_xor_b32 s16, exec_lo, s2
	s_cbranch_execz .LBB55_11
; %bb.6:
	v_mov_b32_e32 v55, 0x7fc00000
	s_mov_b32 s17, exec_lo
	v_cmpx_gt_u64_e32 0x81, v[49:50]
	s_cbranch_execz .LBB55_10
; %bb.7:
	v_dual_add_f32 v29, v29, v29 :: v_dual_mov_b32 v56, 1.0
	v_lshlrev_b64 v[49:50], 1, v[49:50]
	s_mov_b64 s[2:3], 2
	s_mov_b32 s18, 0
	s_delay_alu instid0(VALU_DEP_2)
	v_mov_b32_e32 v55, v29
	.p2align	6
.LBB55_8:                               ; =>This Inner Loop Header: Depth=1
	s_clz_i32_u32 s19, s3
	s_delay_alu instid0(SALU_CYCLE_1) | instskip(NEXT) | instid1(SALU_CYCLE_1)
	s_min_u32 s19, s19, 32
	s_lshl_b64 s[20:21], s[2:3], s19
	s_sub_i32 s19, 32, s19
	s_min_u32 s20, s20, 1
	s_delay_alu instid0(SALU_CYCLE_1) | instskip(SKIP_3) | instid1(SALU_CYCLE_1)
	s_or_b32 s20, s21, s20
	s_add_u32 s2, s2, 2
	v_cvt_f32_u32_e32 v57, s20
	s_addc_u32 s3, s3, 0
	v_cmp_ge_u64_e32 vcc_lo, s[2:3], v[49:50]
	s_delay_alu instid0(VALU_DEP_2) | instskip(SKIP_1) | instid1(VALU_DEP_1)
	v_ldexp_f32 v57, v57, s19
	s_or_b32 s18, vcc_lo, s18
	v_dual_mul_f32 v57, v56, v57 :: v_dual_mov_b32 v56, v55
	s_delay_alu instid0(VALU_DEP_1)
	v_fma_f32 v55, v29, v55, -v57
	s_and_not1_b32 exec_lo, exec_lo, s18
	s_cbranch_execnz .LBB55_8
; %bb.9:
	s_or_b32 exec_lo, exec_lo, s18
.LBB55_10:
	s_delay_alu instid0(SALU_CYCLE_1)
	s_or_b32 exec_lo, exec_lo, s17
                                        ; implicit-def: $vgpr29
.LBB55_11:
	s_and_not1_saveexec_b32 s2, s16
; %bb.12:
	v_add_f32_e32 v55, v29, v29
; %bb.13:
	s_or_b32 exec_lo, exec_lo, s2
.LBB55_14:
	s_delay_alu instid0(SALU_CYCLE_1)
	s_or_b32 exec_lo, exec_lo, s14
.LBB55_15:
	s_delay_alu instid0(SALU_CYCLE_1) | instskip(SKIP_3) | instid1(VALU_DEP_2)
	s_or_b32 exec_lo, exec_lo, s13
	v_bfe_u32 v29, v30, 16, 1
	v_cmp_u_f32_e32 vcc_lo, v30, v30
	s_mov_b32 s13, exec_lo
	v_add3_u32 v29, v30, v29, 0x7fff
	s_delay_alu instid0(VALU_DEP_1) | instskip(NEXT) | instid1(VALU_DEP_1)
	v_and_b32_e32 v29, 0xffff0000, v29
	v_cndmask_b32_e64 v30, v29, 0x7fc00000, vcc_lo
	v_and_b32_e32 v29, 0x7fffffff, v29
	s_delay_alu instid0(VALU_DEP_2) | instskip(NEXT) | instid1(VALU_DEP_2)
	v_trunc_f32_e32 v30, v30
	v_cmp_nlg_f32_e64 s2, 0x7f800000, v29
	s_delay_alu instid0(VALU_DEP_2) | instskip(NEXT) | instid1(VALU_DEP_2)
	v_mul_f32_e64 v49, 0x2f800000, |v30|
	s_or_b32 s2, vcc_lo, s2
	s_delay_alu instid0(VALU_DEP_1) | instskip(NEXT) | instid1(VALU_DEP_1)
	v_floor_f32_e32 v49, v49
	v_fma_f32 v50, 0xcf800000, v49, |v30|
	v_ashrrev_i32_e32 v30, 31, v30
	v_cvt_u32_f32_e32 v49, v49
	s_delay_alu instid0(VALU_DEP_3) | instskip(NEXT) | instid1(VALU_DEP_2)
	v_cvt_u32_f32_e32 v50, v50
	v_xor_b32_e32 v49, v49, v30
	s_delay_alu instid0(VALU_DEP_2) | instskip(NEXT) | instid1(VALU_DEP_1)
	v_xor_b32_e32 v50, v50, v30
	v_sub_co_u32 v29, s3, v50, v30
	s_delay_alu instid0(VALU_DEP_1) | instskip(SKIP_1) | instid1(VALU_DEP_3)
	v_sub_co_ci_u32_e64 v30, s3, v49, v30, s3
	v_mov_b32_e32 v49, 0
	v_cndmask_b32_e64 v29, v29, -1, s2
	s_delay_alu instid0(VALU_DEP_3) | instskip(NEXT) | instid1(VALU_DEP_1)
	v_cndmask_b32_e64 v30, v30, -1, s2
	v_cmpx_lt_i64_e32 -1, v[29:30]
	s_cbranch_execz .LBB55_27
; %bb.16:
	v_mov_b32_e32 v49, 1.0
	s_mov_b32 s14, exec_lo
	v_cmpx_lt_i64_e32 0, v[29:30]
	s_cbranch_execz .LBB55_26
; %bb.17:
	s_waitcnt vmcnt(14)
	v_and_b32_e32 v47, 0xffff0000, v47
                                        ; implicit-def: $vgpr49
	s_mov_b32 s2, exec_lo
	v_cmpx_ne_u64_e32 1, v[29:30]
	s_xor_b32 s16, exec_lo, s2
	s_cbranch_execz .LBB55_23
; %bb.18:
	v_mov_b32_e32 v49, 0x7fc00000
	s_mov_b32 s17, exec_lo
	v_cmpx_gt_u64_e32 0x81, v[29:30]
	s_cbranch_execz .LBB55_22
; %bb.19:
	v_dual_add_f32 v47, v47, v47 :: v_dual_mov_b32 v50, 1.0
	v_lshlrev_b64 v[29:30], 1, v[29:30]
	s_mov_b64 s[2:3], 2
	s_mov_b32 s18, 0
	s_delay_alu instid0(VALU_DEP_2)
	v_mov_b32_e32 v49, v47
	.p2align	6
.LBB55_20:                              ; =>This Inner Loop Header: Depth=1
	s_clz_i32_u32 s19, s3
	s_delay_alu instid0(SALU_CYCLE_1) | instskip(NEXT) | instid1(SALU_CYCLE_1)
	s_min_u32 s19, s19, 32
	s_lshl_b64 s[20:21], s[2:3], s19
	s_sub_i32 s19, 32, s19
	s_min_u32 s20, s20, 1
	s_delay_alu instid0(SALU_CYCLE_1) | instskip(SKIP_3) | instid1(SALU_CYCLE_1)
	s_or_b32 s20, s21, s20
	s_add_u32 s2, s2, 2
	v_cvt_f32_u32_e32 v56, s20
	s_addc_u32 s3, s3, 0
	v_cmp_ge_u64_e32 vcc_lo, s[2:3], v[29:30]
	s_delay_alu instid0(VALU_DEP_2) | instskip(SKIP_1) | instid1(VALU_DEP_1)
	v_ldexp_f32 v56, v56, s19
	s_or_b32 s18, vcc_lo, s18
	v_mul_f32_e32 v56, v50, v56
	v_mov_b32_e32 v50, v49
	s_delay_alu instid0(VALU_DEP_2)
	v_fma_f32 v49, v47, v49, -v56
	s_and_not1_b32 exec_lo, exec_lo, s18
	s_cbranch_execnz .LBB55_20
; %bb.21:
	s_or_b32 exec_lo, exec_lo, s18
.LBB55_22:
	s_delay_alu instid0(SALU_CYCLE_1)
	s_or_b32 exec_lo, exec_lo, s17
                                        ; implicit-def: $vgpr47
.LBB55_23:
	s_and_not1_saveexec_b32 s2, s16
; %bb.24:
	v_add_f32_e32 v49, v47, v47
; %bb.25:
	s_or_b32 exec_lo, exec_lo, s2
.LBB55_26:
	s_delay_alu instid0(SALU_CYCLE_1)
	s_or_b32 exec_lo, exec_lo, s14
.LBB55_27:
	s_delay_alu instid0(SALU_CYCLE_1) | instskip(SKIP_3) | instid1(VALU_DEP_2)
	s_or_b32 exec_lo, exec_lo, s13
	v_bfe_u32 v29, v31, 16, 1
	v_cmp_u_f32_e32 vcc_lo, v31, v31
	s_mov_b32 s13, exec_lo
	v_add3_u32 v29, v31, v29, 0x7fff
	s_delay_alu instid0(VALU_DEP_1) | instskip(NEXT) | instid1(VALU_DEP_1)
	v_and_b32_e32 v29, 0xffff0000, v29
	v_cndmask_b32_e64 v30, v29, 0x7fc00000, vcc_lo
	v_and_b32_e32 v29, 0x7fffffff, v29
	s_delay_alu instid0(VALU_DEP_2) | instskip(NEXT) | instid1(VALU_DEP_2)
	v_trunc_f32_e32 v30, v30
	v_cmp_nlg_f32_e64 s2, 0x7f800000, v29
	s_delay_alu instid0(VALU_DEP_2) | instskip(NEXT) | instid1(VALU_DEP_2)
	v_mul_f32_e64 v31, 0x2f800000, |v30|
	s_or_b32 s2, vcc_lo, s2
	s_delay_alu instid0(VALU_DEP_1) | instskip(SKIP_1) | instid1(VALU_DEP_1)
	v_floor_f32_e32 v31, v31
	s_waitcnt vmcnt(14)
	v_fma_f32 v47, 0xcf800000, v31, |v30|
	v_ashrrev_i32_e32 v30, 31, v30
	v_cvt_u32_f32_e32 v31, v31
	s_delay_alu instid0(VALU_DEP_3) | instskip(NEXT) | instid1(VALU_DEP_2)
	v_cvt_u32_f32_e32 v47, v47
	v_xor_b32_e32 v31, v31, v30
	s_delay_alu instid0(VALU_DEP_2) | instskip(NEXT) | instid1(VALU_DEP_1)
	v_xor_b32_e32 v47, v47, v30
	v_sub_co_u32 v29, s3, v47, v30
	s_delay_alu instid0(VALU_DEP_1) | instskip(SKIP_1) | instid1(VALU_DEP_3)
	v_sub_co_ci_u32_e64 v30, s3, v31, v30, s3
	v_mov_b32_e32 v31, 0
	v_cndmask_b32_e64 v29, v29, -1, s2
	s_delay_alu instid0(VALU_DEP_3) | instskip(NEXT) | instid1(VALU_DEP_1)
	v_cndmask_b32_e64 v30, v30, -1, s2
	v_cmpx_lt_i64_e32 -1, v[29:30]
	s_cbranch_execz .LBB55_39
; %bb.28:
	v_mov_b32_e32 v31, 1.0
	s_mov_b32 s14, exec_lo
	v_cmpx_lt_i64_e32 0, v[29:30]
	s_cbranch_execz .LBB55_38
; %bb.29:
	v_lshlrev_b32_e32 v47, 16, v48
                                        ; implicit-def: $vgpr31
	s_mov_b32 s2, exec_lo
	v_cmpx_ne_u64_e32 1, v[29:30]
	s_xor_b32 s16, exec_lo, s2
	s_cbranch_execz .LBB55_35
; %bb.30:
	v_mov_b32_e32 v31, 0x7fc00000
	s_mov_b32 s17, exec_lo
	v_cmpx_gt_u64_e32 0x81, v[29:30]
	s_cbranch_execz .LBB55_34
; %bb.31:
	v_dual_add_f32 v47, v47, v47 :: v_dual_mov_b32 v50, 1.0
	v_lshlrev_b64 v[29:30], 1, v[29:30]
	s_mov_b64 s[2:3], 2
	s_mov_b32 s18, 0
	s_delay_alu instid0(VALU_DEP_2)
	v_mov_b32_e32 v31, v47
	.p2align	6
.LBB55_32:                              ; =>This Inner Loop Header: Depth=1
	s_clz_i32_u32 s19, s3
	s_delay_alu instid0(SALU_CYCLE_1) | instskip(NEXT) | instid1(SALU_CYCLE_1)
	s_min_u32 s19, s19, 32
	s_lshl_b64 s[20:21], s[2:3], s19
	s_sub_i32 s19, 32, s19
	s_min_u32 s20, s20, 1
	s_delay_alu instid0(SALU_CYCLE_1) | instskip(SKIP_3) | instid1(SALU_CYCLE_1)
	s_or_b32 s20, s21, s20
	s_add_u32 s2, s2, 2
	v_cvt_f32_u32_e32 v56, s20
	s_addc_u32 s3, s3, 0
	v_cmp_ge_u64_e32 vcc_lo, s[2:3], v[29:30]
	s_delay_alu instid0(VALU_DEP_2) | instskip(SKIP_1) | instid1(VALU_DEP_1)
	v_ldexp_f32 v56, v56, s19
	s_or_b32 s18, vcc_lo, s18
	v_mul_f32_e32 v56, v50, v56
	v_mov_b32_e32 v50, v31
	s_delay_alu instid0(VALU_DEP_2)
	v_fma_f32 v31, v47, v31, -v56
	s_and_not1_b32 exec_lo, exec_lo, s18
	s_cbranch_execnz .LBB55_32
; %bb.33:
	s_or_b32 exec_lo, exec_lo, s18
.LBB55_34:
	s_delay_alu instid0(SALU_CYCLE_1)
	s_or_b32 exec_lo, exec_lo, s17
                                        ; implicit-def: $vgpr47
.LBB55_35:
	s_and_not1_saveexec_b32 s2, s16
; %bb.36:
	v_add_f32_e32 v31, v47, v47
; %bb.37:
	s_or_b32 exec_lo, exec_lo, s2
.LBB55_38:
	s_delay_alu instid0(SALU_CYCLE_1)
	s_or_b32 exec_lo, exec_lo, s14
.LBB55_39:
	s_delay_alu instid0(SALU_CYCLE_1) | instskip(SKIP_3) | instid1(VALU_DEP_2)
	s_or_b32 exec_lo, exec_lo, s13
	v_bfe_u32 v29, v32, 16, 1
	v_cmp_u_f32_e32 vcc_lo, v32, v32
	s_mov_b32 s13, exec_lo
	v_add3_u32 v29, v32, v29, 0x7fff
	s_delay_alu instid0(VALU_DEP_1) | instskip(NEXT) | instid1(VALU_DEP_1)
	v_and_b32_e32 v29, 0xffff0000, v29
	v_cndmask_b32_e64 v30, v29, 0x7fc00000, vcc_lo
	v_and_b32_e32 v29, 0x7fffffff, v29
	s_delay_alu instid0(VALU_DEP_2) | instskip(NEXT) | instid1(VALU_DEP_2)
	v_trunc_f32_e32 v30, v30
	v_cmp_nlg_f32_e64 s2, 0x7f800000, v29
	s_delay_alu instid0(VALU_DEP_2) | instskip(NEXT) | instid1(VALU_DEP_2)
	v_mul_f32_e64 v32, 0x2f800000, |v30|
	s_or_b32 s2, vcc_lo, s2
	s_delay_alu instid0(VALU_DEP_1) | instskip(NEXT) | instid1(VALU_DEP_1)
	v_floor_f32_e32 v32, v32
	v_fma_f32 v47, 0xcf800000, v32, |v30|
	v_ashrrev_i32_e32 v30, 31, v30
	v_cvt_u32_f32_e32 v32, v32
	s_delay_alu instid0(VALU_DEP_3) | instskip(NEXT) | instid1(VALU_DEP_2)
	v_cvt_u32_f32_e32 v47, v47
	v_xor_b32_e32 v32, v32, v30
	s_delay_alu instid0(VALU_DEP_2) | instskip(NEXT) | instid1(VALU_DEP_1)
	v_xor_b32_e32 v47, v47, v30
	v_sub_co_u32 v29, s3, v47, v30
	s_delay_alu instid0(VALU_DEP_1) | instskip(SKIP_1) | instid1(VALU_DEP_3)
	v_sub_co_ci_u32_e64 v30, s3, v32, v30, s3
	v_mov_b32_e32 v32, 0
	v_cndmask_b32_e64 v29, v29, -1, s2
	s_delay_alu instid0(VALU_DEP_3) | instskip(NEXT) | instid1(VALU_DEP_1)
	v_cndmask_b32_e64 v30, v30, -1, s2
	v_cmpx_lt_i64_e32 -1, v[29:30]
	s_cbranch_execz .LBB55_51
; %bb.40:
	v_mov_b32_e32 v32, 1.0
	s_mov_b32 s14, exec_lo
	v_cmpx_lt_i64_e32 0, v[29:30]
	s_cbranch_execz .LBB55_50
; %bb.41:
	v_and_b32_e32 v47, 0xffff0000, v48
                                        ; implicit-def: $vgpr32
	s_mov_b32 s2, exec_lo
	v_cmpx_ne_u64_e32 1, v[29:30]
	s_xor_b32 s16, exec_lo, s2
	s_cbranch_execz .LBB55_47
; %bb.42:
	v_mov_b32_e32 v32, 0x7fc00000
	s_mov_b32 s17, exec_lo
	v_cmpx_gt_u64_e32 0x81, v[29:30]
	s_cbranch_execz .LBB55_46
; %bb.43:
	v_dual_add_f32 v47, v47, v47 :: v_dual_mov_b32 v48, 1.0
	v_lshlrev_b64 v[29:30], 1, v[29:30]
	s_mov_b64 s[2:3], 2
	s_mov_b32 s18, 0
	s_delay_alu instid0(VALU_DEP_2)
	v_mov_b32_e32 v32, v47
	.p2align	6
.LBB55_44:                              ; =>This Inner Loop Header: Depth=1
	s_clz_i32_u32 s19, s3
	s_delay_alu instid0(SALU_CYCLE_1) | instskip(NEXT) | instid1(SALU_CYCLE_1)
	s_min_u32 s19, s19, 32
	s_lshl_b64 s[20:21], s[2:3], s19
	s_sub_i32 s19, 32, s19
	s_min_u32 s20, s20, 1
	s_delay_alu instid0(SALU_CYCLE_1) | instskip(SKIP_3) | instid1(SALU_CYCLE_1)
	s_or_b32 s20, s21, s20
	s_add_u32 s2, s2, 2
	v_cvt_f32_u32_e32 v50, s20
	s_addc_u32 s3, s3, 0
	v_cmp_ge_u64_e32 vcc_lo, s[2:3], v[29:30]
	s_delay_alu instid0(VALU_DEP_2) | instskip(SKIP_1) | instid1(VALU_DEP_1)
	v_ldexp_f32 v50, v50, s19
	s_or_b32 s18, vcc_lo, s18
	v_mul_f32_e32 v50, v48, v50
	v_mov_b32_e32 v48, v32
	s_delay_alu instid0(VALU_DEP_2)
	v_fma_f32 v32, v47, v32, -v50
	s_and_not1_b32 exec_lo, exec_lo, s18
	s_cbranch_execnz .LBB55_44
; %bb.45:
	s_or_b32 exec_lo, exec_lo, s18
.LBB55_46:
	s_delay_alu instid0(SALU_CYCLE_1)
	s_or_b32 exec_lo, exec_lo, s17
                                        ; implicit-def: $vgpr47
.LBB55_47:
	s_and_not1_saveexec_b32 s2, s16
; %bb.48:
	v_add_f32_e32 v32, v47, v47
; %bb.49:
	s_or_b32 exec_lo, exec_lo, s2
.LBB55_50:
	s_delay_alu instid0(SALU_CYCLE_1)
	s_or_b32 exec_lo, exec_lo, s14
.LBB55_51:
	s_delay_alu instid0(SALU_CYCLE_1) | instskip(SKIP_4) | instid1(VALU_DEP_2)
	s_or_b32 exec_lo, exec_lo, s13
	s_waitcnt vmcnt(6)
	v_bfe_u32 v29, v25, 16, 1
	v_cmp_u_f32_e32 vcc_lo, v25, v25
	s_mov_b32 s13, exec_lo
	v_add3_u32 v29, v25, v29, 0x7fff
	s_delay_alu instid0(VALU_DEP_1) | instskip(NEXT) | instid1(VALU_DEP_1)
	v_and_b32_e32 v29, 0xffff0000, v29
	v_cndmask_b32_e64 v25, v29, 0x7fc00000, vcc_lo
	v_and_b32_e32 v29, 0x7fffffff, v29
	s_delay_alu instid0(VALU_DEP_2) | instskip(NEXT) | instid1(VALU_DEP_2)
	v_trunc_f32_e32 v25, v25
	v_cmp_nlg_f32_e64 s2, 0x7f800000, v29
	s_delay_alu instid0(VALU_DEP_2) | instskip(NEXT) | instid1(VALU_DEP_2)
	v_mul_f32_e64 v30, 0x2f800000, |v25|
	s_or_b32 s2, vcc_lo, s2
	s_delay_alu instid0(VALU_DEP_1) | instskip(NEXT) | instid1(VALU_DEP_1)
	v_floor_f32_e32 v30, v30
	v_fma_f32 v47, 0xcf800000, v30, |v25|
	v_ashrrev_i32_e32 v25, 31, v25
	v_cvt_u32_f32_e32 v30, v30
	s_delay_alu instid0(VALU_DEP_3) | instskip(NEXT) | instid1(VALU_DEP_2)
	v_cvt_u32_f32_e32 v47, v47
	v_xor_b32_e32 v30, v30, v25
	s_delay_alu instid0(VALU_DEP_2) | instskip(NEXT) | instid1(VALU_DEP_1)
	v_xor_b32_e32 v47, v47, v25
	v_sub_co_u32 v29, s3, v47, v25
	s_delay_alu instid0(VALU_DEP_1) | instskip(SKIP_1) | instid1(VALU_DEP_3)
	v_sub_co_ci_u32_e64 v25, s3, v30, v25, s3
	v_mov_b32_e32 v47, 0
	v_cndmask_b32_e64 v29, v29, -1, s2
	s_delay_alu instid0(VALU_DEP_3) | instskip(NEXT) | instid1(VALU_DEP_1)
	v_cndmask_b32_e64 v30, v25, -1, s2
	v_cmpx_lt_i64_e32 -1, v[29:30]
	s_cbranch_execz .LBB55_63
; %bb.52:
	v_mov_b32_e32 v47, 1.0
	s_mov_b32 s14, exec_lo
	v_cmpx_lt_i64_e32 0, v[29:30]
	s_cbranch_execz .LBB55_62
; %bb.53:
	v_lshlrev_b32_e32 v25, 16, v45
                                        ; implicit-def: $vgpr47
	s_mov_b32 s2, exec_lo
	v_cmpx_ne_u64_e32 1, v[29:30]
	s_xor_b32 s16, exec_lo, s2
	s_cbranch_execz .LBB55_59
; %bb.54:
	v_mov_b32_e32 v47, 0x7fc00000
	s_mov_b32 s17, exec_lo
	v_cmpx_gt_u64_e32 0x81, v[29:30]
	s_cbranch_execz .LBB55_58
; %bb.55:
	v_dual_add_f32 v25, v25, v25 :: v_dual_mov_b32 v48, 1.0
	v_lshlrev_b64 v[29:30], 1, v[29:30]
	s_mov_b64 s[2:3], 2
	s_mov_b32 s18, 0
	s_delay_alu instid0(VALU_DEP_2)
	v_mov_b32_e32 v47, v25
	.p2align	6
.LBB55_56:                              ; =>This Inner Loop Header: Depth=1
	s_clz_i32_u32 s19, s3
	s_delay_alu instid0(SALU_CYCLE_1) | instskip(NEXT) | instid1(SALU_CYCLE_1)
	s_min_u32 s19, s19, 32
	s_lshl_b64 s[20:21], s[2:3], s19
	s_sub_i32 s19, 32, s19
	s_min_u32 s20, s20, 1
	s_delay_alu instid0(SALU_CYCLE_1) | instskip(SKIP_3) | instid1(SALU_CYCLE_1)
	s_or_b32 s20, s21, s20
	s_add_u32 s2, s2, 2
	v_cvt_f32_u32_e32 v50, s20
	s_addc_u32 s3, s3, 0
	v_cmp_ge_u64_e32 vcc_lo, s[2:3], v[29:30]
	s_delay_alu instid0(VALU_DEP_2) | instskip(SKIP_1) | instid1(VALU_DEP_1)
	v_ldexp_f32 v50, v50, s19
	s_or_b32 s18, vcc_lo, s18
	v_mul_f32_e32 v50, v48, v50
	v_mov_b32_e32 v48, v47
	s_delay_alu instid0(VALU_DEP_2)
	v_fma_f32 v47, v25, v47, -v50
	s_and_not1_b32 exec_lo, exec_lo, s18
	s_cbranch_execnz .LBB55_56
; %bb.57:
	s_or_b32 exec_lo, exec_lo, s18
.LBB55_58:
	s_delay_alu instid0(SALU_CYCLE_1)
	s_or_b32 exec_lo, exec_lo, s17
                                        ; implicit-def: $vgpr25
.LBB55_59:
	s_and_not1_saveexec_b32 s2, s16
; %bb.60:
	v_add_f32_e32 v47, v25, v25
; %bb.61:
	s_or_b32 exec_lo, exec_lo, s2
.LBB55_62:
	s_delay_alu instid0(SALU_CYCLE_1)
	s_or_b32 exec_lo, exec_lo, s14
.LBB55_63:
	s_delay_alu instid0(SALU_CYCLE_1) | instskip(SKIP_3) | instid1(VALU_DEP_2)
	s_or_b32 exec_lo, exec_lo, s13
	v_bfe_u32 v25, v26, 16, 1
	v_cmp_u_f32_e32 vcc_lo, v26, v26
	s_mov_b32 s13, exec_lo
	v_add3_u32 v25, v26, v25, 0x7fff
	s_delay_alu instid0(VALU_DEP_1) | instskip(NEXT) | instid1(VALU_DEP_1)
	v_and_b32_e32 v25, 0xffff0000, v25
	v_cndmask_b32_e64 v26, v25, 0x7fc00000, vcc_lo
	v_and_b32_e32 v25, 0x7fffffff, v25
	s_delay_alu instid0(VALU_DEP_2) | instskip(NEXT) | instid1(VALU_DEP_2)
	v_trunc_f32_e32 v26, v26
	v_cmp_nlg_f32_e64 s2, 0x7f800000, v25
	s_delay_alu instid0(VALU_DEP_2) | instskip(NEXT) | instid1(VALU_DEP_2)
	v_mul_f32_e64 v29, 0x2f800000, |v26|
	s_or_b32 s2, vcc_lo, s2
	s_delay_alu instid0(VALU_DEP_1) | instskip(NEXT) | instid1(VALU_DEP_1)
	v_floor_f32_e32 v29, v29
	v_fma_f32 v30, 0xcf800000, v29, |v26|
	v_ashrrev_i32_e32 v26, 31, v26
	v_cvt_u32_f32_e32 v29, v29
	s_delay_alu instid0(VALU_DEP_3) | instskip(NEXT) | instid1(VALU_DEP_2)
	v_cvt_u32_f32_e32 v30, v30
	v_xor_b32_e32 v29, v29, v26
	s_delay_alu instid0(VALU_DEP_2) | instskip(NEXT) | instid1(VALU_DEP_1)
	v_xor_b32_e32 v30, v30, v26
	v_sub_co_u32 v25, s3, v30, v26
	s_delay_alu instid0(VALU_DEP_1) | instskip(SKIP_1) | instid1(VALU_DEP_3)
	v_sub_co_ci_u32_e64 v26, s3, v29, v26, s3
	v_mov_b32_e32 v29, 0
	v_cndmask_b32_e64 v25, v25, -1, s2
	s_delay_alu instid0(VALU_DEP_3) | instskip(NEXT) | instid1(VALU_DEP_1)
	v_cndmask_b32_e64 v26, v26, -1, s2
	v_cmpx_lt_i64_e32 -1, v[25:26]
	s_cbranch_execz .LBB55_75
; %bb.64:
	v_mov_b32_e32 v29, 1.0
	s_mov_b32 s14, exec_lo
	v_cmpx_lt_i64_e32 0, v[25:26]
	s_cbranch_execz .LBB55_74
; %bb.65:
	v_and_b32_e32 v30, 0xffff0000, v45
                                        ; implicit-def: $vgpr29
	s_mov_b32 s2, exec_lo
	v_cmpx_ne_u64_e32 1, v[25:26]
	s_xor_b32 s16, exec_lo, s2
	s_cbranch_execz .LBB55_71
; %bb.66:
	v_mov_b32_e32 v29, 0x7fc00000
	s_mov_b32 s17, exec_lo
	v_cmpx_gt_u64_e32 0x81, v[25:26]
	s_cbranch_execz .LBB55_70
; %bb.67:
	v_dual_add_f32 v30, v30, v30 :: v_dual_mov_b32 v45, 1.0
	v_lshlrev_b64 v[25:26], 1, v[25:26]
	s_mov_b64 s[2:3], 2
	s_mov_b32 s18, 0
	s_delay_alu instid0(VALU_DEP_2)
	v_mov_b32_e32 v29, v30
	.p2align	6
.LBB55_68:                              ; =>This Inner Loop Header: Depth=1
	s_clz_i32_u32 s19, s3
	s_delay_alu instid0(SALU_CYCLE_1) | instskip(NEXT) | instid1(SALU_CYCLE_1)
	s_min_u32 s19, s19, 32
	s_lshl_b64 s[20:21], s[2:3], s19
	s_sub_i32 s19, 32, s19
	s_min_u32 s20, s20, 1
	s_delay_alu instid0(SALU_CYCLE_1) | instskip(SKIP_3) | instid1(SALU_CYCLE_1)
	s_or_b32 s20, s21, s20
	s_add_u32 s2, s2, 2
	v_cvt_f32_u32_e32 v48, s20
	s_addc_u32 s3, s3, 0
	v_cmp_ge_u64_e32 vcc_lo, s[2:3], v[25:26]
	s_delay_alu instid0(VALU_DEP_2) | instskip(SKIP_1) | instid1(VALU_DEP_1)
	v_ldexp_f32 v48, v48, s19
	s_or_b32 s18, vcc_lo, s18
	v_mul_f32_e32 v48, v45, v48
	v_mov_b32_e32 v45, v29
	s_delay_alu instid0(VALU_DEP_2)
	v_fma_f32 v29, v30, v29, -v48
	s_and_not1_b32 exec_lo, exec_lo, s18
	s_cbranch_execnz .LBB55_68
; %bb.69:
	s_or_b32 exec_lo, exec_lo, s18
.LBB55_70:
	s_delay_alu instid0(SALU_CYCLE_1)
	s_or_b32 exec_lo, exec_lo, s17
                                        ; implicit-def: $vgpr30
.LBB55_71:
	s_and_not1_saveexec_b32 s2, s16
; %bb.72:
	v_add_f32_e32 v29, v30, v30
; %bb.73:
	s_or_b32 exec_lo, exec_lo, s2
.LBB55_74:
	s_delay_alu instid0(SALU_CYCLE_1)
	s_or_b32 exec_lo, exec_lo, s14
.LBB55_75:
	s_delay_alu instid0(SALU_CYCLE_1) | instskip(SKIP_3) | instid1(VALU_DEP_2)
	s_or_b32 exec_lo, exec_lo, s13
	v_bfe_u32 v25, v27, 16, 1
	v_cmp_u_f32_e32 vcc_lo, v27, v27
	s_mov_b32 s13, exec_lo
	v_add3_u32 v25, v27, v25, 0x7fff
	s_delay_alu instid0(VALU_DEP_1) | instskip(NEXT) | instid1(VALU_DEP_1)
	v_and_b32_e32 v25, 0xffff0000, v25
	v_cndmask_b32_e64 v26, v25, 0x7fc00000, vcc_lo
	v_and_b32_e32 v25, 0x7fffffff, v25
	s_delay_alu instid0(VALU_DEP_2) | instskip(NEXT) | instid1(VALU_DEP_2)
	v_trunc_f32_e32 v26, v26
	v_cmp_nlg_f32_e64 s2, 0x7f800000, v25
	s_delay_alu instid0(VALU_DEP_2) | instskip(NEXT) | instid1(VALU_DEP_2)
	v_mul_f32_e64 v27, 0x2f800000, |v26|
	s_or_b32 s2, vcc_lo, s2
	s_delay_alu instid0(VALU_DEP_1) | instskip(NEXT) | instid1(VALU_DEP_1)
	v_floor_f32_e32 v27, v27
	v_fma_f32 v30, 0xcf800000, v27, |v26|
	v_ashrrev_i32_e32 v26, 31, v26
	v_cvt_u32_f32_e32 v27, v27
	s_delay_alu instid0(VALU_DEP_3) | instskip(NEXT) | instid1(VALU_DEP_2)
	v_cvt_u32_f32_e32 v30, v30
	v_xor_b32_e32 v27, v27, v26
	s_delay_alu instid0(VALU_DEP_2) | instskip(NEXT) | instid1(VALU_DEP_1)
	v_xor_b32_e32 v30, v30, v26
	v_sub_co_u32 v25, s3, v30, v26
	s_delay_alu instid0(VALU_DEP_1) | instskip(SKIP_1) | instid1(VALU_DEP_3)
	v_sub_co_ci_u32_e64 v26, s3, v27, v26, s3
	v_mov_b32_e32 v27, 0
	v_cndmask_b32_e64 v25, v25, -1, s2
	s_delay_alu instid0(VALU_DEP_3) | instskip(NEXT) | instid1(VALU_DEP_1)
	v_cndmask_b32_e64 v26, v26, -1, s2
	v_cmpx_lt_i64_e32 -1, v[25:26]
	s_cbranch_execz .LBB55_87
; %bb.76:
	v_mov_b32_e32 v27, 1.0
	s_mov_b32 s14, exec_lo
	v_cmpx_lt_i64_e32 0, v[25:26]
	s_cbranch_execz .LBB55_86
; %bb.77:
	v_lshlrev_b32_e32 v30, 16, v46
                                        ; implicit-def: $vgpr27
	s_mov_b32 s2, exec_lo
	v_cmpx_ne_u64_e32 1, v[25:26]
	s_xor_b32 s16, exec_lo, s2
	s_cbranch_execz .LBB55_83
; %bb.78:
	v_mov_b32_e32 v27, 0x7fc00000
	s_mov_b32 s17, exec_lo
	v_cmpx_gt_u64_e32 0x81, v[25:26]
	s_cbranch_execz .LBB55_82
; %bb.79:
	v_dual_add_f32 v30, v30, v30 :: v_dual_mov_b32 v45, 1.0
	v_lshlrev_b64 v[25:26], 1, v[25:26]
	s_mov_b64 s[2:3], 2
	s_mov_b32 s18, 0
	s_delay_alu instid0(VALU_DEP_2)
	v_mov_b32_e32 v27, v30
	.p2align	6
.LBB55_80:                              ; =>This Inner Loop Header: Depth=1
	s_clz_i32_u32 s19, s3
	s_delay_alu instid0(SALU_CYCLE_1) | instskip(NEXT) | instid1(SALU_CYCLE_1)
	s_min_u32 s19, s19, 32
	s_lshl_b64 s[20:21], s[2:3], s19
	s_sub_i32 s19, 32, s19
	s_min_u32 s20, s20, 1
	s_delay_alu instid0(SALU_CYCLE_1) | instskip(SKIP_3) | instid1(SALU_CYCLE_1)
	s_or_b32 s20, s21, s20
	s_add_u32 s2, s2, 2
	v_cvt_f32_u32_e32 v48, s20
	s_addc_u32 s3, s3, 0
	v_cmp_ge_u64_e32 vcc_lo, s[2:3], v[25:26]
	s_delay_alu instid0(VALU_DEP_2) | instskip(SKIP_1) | instid1(VALU_DEP_1)
	v_ldexp_f32 v48, v48, s19
	s_or_b32 s18, vcc_lo, s18
	v_dual_mul_f32 v48, v45, v48 :: v_dual_mov_b32 v45, v27
	s_delay_alu instid0(VALU_DEP_1)
	v_fma_f32 v27, v30, v27, -v48
	s_and_not1_b32 exec_lo, exec_lo, s18
	s_cbranch_execnz .LBB55_80
; %bb.81:
	s_or_b32 exec_lo, exec_lo, s18
.LBB55_82:
	s_delay_alu instid0(SALU_CYCLE_1)
	s_or_b32 exec_lo, exec_lo, s17
                                        ; implicit-def: $vgpr30
.LBB55_83:
	s_and_not1_saveexec_b32 s2, s16
; %bb.84:
	v_add_f32_e32 v27, v30, v30
; %bb.85:
	s_or_b32 exec_lo, exec_lo, s2
.LBB55_86:
	s_delay_alu instid0(SALU_CYCLE_1)
	s_or_b32 exec_lo, exec_lo, s14
.LBB55_87:
	s_delay_alu instid0(SALU_CYCLE_1) | instskip(SKIP_3) | instid1(VALU_DEP_2)
	s_or_b32 exec_lo, exec_lo, s13
	v_bfe_u32 v25, v28, 16, 1
	v_cmp_u_f32_e32 vcc_lo, v28, v28
	s_mov_b32 s13, exec_lo
	v_add3_u32 v25, v28, v25, 0x7fff
	s_delay_alu instid0(VALU_DEP_1) | instskip(NEXT) | instid1(VALU_DEP_1)
	v_and_b32_e32 v25, 0xffff0000, v25
	v_cndmask_b32_e64 v26, v25, 0x7fc00000, vcc_lo
	v_and_b32_e32 v25, 0x7fffffff, v25
	s_delay_alu instid0(VALU_DEP_2) | instskip(NEXT) | instid1(VALU_DEP_2)
	v_trunc_f32_e32 v26, v26
	v_cmp_nlg_f32_e64 s2, 0x7f800000, v25
	s_delay_alu instid0(VALU_DEP_2) | instskip(NEXT) | instid1(VALU_DEP_2)
	v_mul_f32_e64 v28, 0x2f800000, |v26|
	s_or_b32 s2, vcc_lo, s2
	s_delay_alu instid0(VALU_DEP_1) | instskip(NEXT) | instid1(VALU_DEP_1)
	v_floor_f32_e32 v28, v28
	v_fma_f32 v30, 0xcf800000, v28, |v26|
	v_ashrrev_i32_e32 v26, 31, v26
	v_cvt_u32_f32_e32 v28, v28
	s_delay_alu instid0(VALU_DEP_3) | instskip(NEXT) | instid1(VALU_DEP_2)
	v_cvt_u32_f32_e32 v30, v30
	v_xor_b32_e32 v28, v28, v26
	s_delay_alu instid0(VALU_DEP_2) | instskip(NEXT) | instid1(VALU_DEP_1)
	v_xor_b32_e32 v30, v30, v26
	v_sub_co_u32 v25, s3, v30, v26
	s_delay_alu instid0(VALU_DEP_1) | instskip(SKIP_1) | instid1(VALU_DEP_3)
	v_sub_co_ci_u32_e64 v26, s3, v28, v26, s3
	v_mov_b32_e32 v28, 0
	v_cndmask_b32_e64 v25, v25, -1, s2
	s_delay_alu instid0(VALU_DEP_3) | instskip(NEXT) | instid1(VALU_DEP_1)
	v_cndmask_b32_e64 v26, v26, -1, s2
	v_cmpx_lt_i64_e32 -1, v[25:26]
	s_cbranch_execz .LBB55_99
; %bb.88:
	v_mov_b32_e32 v28, 1.0
	s_mov_b32 s14, exec_lo
	v_cmpx_lt_i64_e32 0, v[25:26]
	s_cbranch_execz .LBB55_98
; %bb.89:
	v_and_b32_e32 v30, 0xffff0000, v46
                                        ; implicit-def: $vgpr28
	s_mov_b32 s2, exec_lo
	v_cmpx_ne_u64_e32 1, v[25:26]
	s_xor_b32 s16, exec_lo, s2
	s_cbranch_execz .LBB55_95
; %bb.90:
	v_mov_b32_e32 v28, 0x7fc00000
	s_mov_b32 s17, exec_lo
	v_cmpx_gt_u64_e32 0x81, v[25:26]
	s_cbranch_execz .LBB55_94
; %bb.91:
	v_dual_add_f32 v30, v30, v30 :: v_dual_mov_b32 v45, 1.0
	v_lshlrev_b64 v[25:26], 1, v[25:26]
	s_mov_b64 s[2:3], 2
	s_mov_b32 s18, 0
	s_delay_alu instid0(VALU_DEP_2)
	v_mov_b32_e32 v28, v30
	.p2align	6
.LBB55_92:                              ; =>This Inner Loop Header: Depth=1
	s_clz_i32_u32 s19, s3
	s_delay_alu instid0(SALU_CYCLE_1) | instskip(NEXT) | instid1(SALU_CYCLE_1)
	s_min_u32 s19, s19, 32
	s_lshl_b64 s[20:21], s[2:3], s19
	s_sub_i32 s19, 32, s19
	s_min_u32 s20, s20, 1
	s_delay_alu instid0(SALU_CYCLE_1) | instskip(SKIP_3) | instid1(SALU_CYCLE_1)
	s_or_b32 s20, s21, s20
	s_add_u32 s2, s2, 2
	v_cvt_f32_u32_e32 v46, s20
	s_addc_u32 s3, s3, 0
	v_cmp_ge_u64_e32 vcc_lo, s[2:3], v[25:26]
	s_delay_alu instid0(VALU_DEP_2) | instskip(SKIP_1) | instid1(VALU_DEP_1)
	v_ldexp_f32 v46, v46, s19
	s_or_b32 s18, vcc_lo, s18
	v_dual_mul_f32 v46, v45, v46 :: v_dual_mov_b32 v45, v28
	s_delay_alu instid0(VALU_DEP_1)
	v_fma_f32 v28, v30, v28, -v46
	s_and_not1_b32 exec_lo, exec_lo, s18
	s_cbranch_execnz .LBB55_92
; %bb.93:
	s_or_b32 exec_lo, exec_lo, s18
.LBB55_94:
	s_delay_alu instid0(SALU_CYCLE_1)
	s_or_b32 exec_lo, exec_lo, s17
                                        ; implicit-def: $vgpr30
.LBB55_95:
	s_and_not1_saveexec_b32 s2, s16
; %bb.96:
	v_add_f32_e32 v28, v30, v30
; %bb.97:
	s_or_b32 exec_lo, exec_lo, s2
.LBB55_98:
	s_delay_alu instid0(SALU_CYCLE_1)
	s_or_b32 exec_lo, exec_lo, s14
.LBB55_99:
	s_delay_alu instid0(SALU_CYCLE_1) | instskip(SKIP_4) | instid1(VALU_DEP_2)
	s_or_b32 exec_lo, exec_lo, s13
	s_waitcnt vmcnt(5)
	v_bfe_u32 v25, v21, 16, 1
	v_cmp_u_f32_e32 vcc_lo, v21, v21
	s_mov_b32 s13, exec_lo
	v_add3_u32 v25, v21, v25, 0x7fff
	s_delay_alu instid0(VALU_DEP_1) | instskip(NEXT) | instid1(VALU_DEP_1)
	v_and_b32_e32 v25, 0xffff0000, v25
	v_cndmask_b32_e64 v21, v25, 0x7fc00000, vcc_lo
	v_and_b32_e32 v25, 0x7fffffff, v25
	s_delay_alu instid0(VALU_DEP_2) | instskip(NEXT) | instid1(VALU_DEP_2)
	v_trunc_f32_e32 v21, v21
	v_cmp_nlg_f32_e64 s2, 0x7f800000, v25
	s_delay_alu instid0(VALU_DEP_2) | instskip(NEXT) | instid1(VALU_DEP_2)
	v_mul_f32_e64 v26, 0x2f800000, |v21|
	s_or_b32 s2, vcc_lo, s2
	s_delay_alu instid0(VALU_DEP_1) | instskip(NEXT) | instid1(VALU_DEP_1)
	v_floor_f32_e32 v26, v26
	v_fma_f32 v30, 0xcf800000, v26, |v21|
	v_ashrrev_i32_e32 v21, 31, v21
	v_cvt_u32_f32_e32 v26, v26
	s_delay_alu instid0(VALU_DEP_3) | instskip(NEXT) | instid1(VALU_DEP_2)
	v_cvt_u32_f32_e32 v30, v30
	v_xor_b32_e32 v26, v26, v21
	s_delay_alu instid0(VALU_DEP_2) | instskip(NEXT) | instid1(VALU_DEP_1)
	v_xor_b32_e32 v30, v30, v21
	v_sub_co_u32 v25, s3, v30, v21
	v_mov_b32_e32 v30, 0
	s_delay_alu instid0(VALU_DEP_4) | instskip(NEXT) | instid1(VALU_DEP_3)
	v_sub_co_ci_u32_e64 v21, s3, v26, v21, s3
	v_cndmask_b32_e64 v25, v25, -1, s2
	s_delay_alu instid0(VALU_DEP_2) | instskip(NEXT) | instid1(VALU_DEP_1)
	v_cndmask_b32_e64 v26, v21, -1, s2
	v_cmpx_lt_i64_e32 -1, v[25:26]
	s_cbranch_execz .LBB55_111
; %bb.100:
	v_mov_b32_e32 v30, 1.0
	s_mov_b32 s14, exec_lo
	v_cmpx_lt_i64_e32 0, v[25:26]
	s_cbranch_execz .LBB55_110
; %bb.101:
	v_lshlrev_b32_e32 v21, 16, v43
                                        ; implicit-def: $vgpr30
	s_mov_b32 s2, exec_lo
	v_cmpx_ne_u64_e32 1, v[25:26]
	s_xor_b32 s16, exec_lo, s2
	s_cbranch_execz .LBB55_107
; %bb.102:
	v_mov_b32_e32 v30, 0x7fc00000
	s_mov_b32 s17, exec_lo
	v_cmpx_gt_u64_e32 0x81, v[25:26]
	s_cbranch_execz .LBB55_106
; %bb.103:
	v_add_f32_e32 v21, v21, v21
	v_lshlrev_b64 v[25:26], 1, v[25:26]
	v_mov_b32_e32 v45, 1.0
	s_mov_b64 s[2:3], 2
	s_mov_b32 s18, 0
	v_mov_b32_e32 v30, v21
	.p2align	6
.LBB55_104:                             ; =>This Inner Loop Header: Depth=1
	s_clz_i32_u32 s19, s3
	s_delay_alu instid0(SALU_CYCLE_1) | instskip(NEXT) | instid1(SALU_CYCLE_1)
	s_min_u32 s19, s19, 32
	s_lshl_b64 s[20:21], s[2:3], s19
	s_sub_i32 s19, 32, s19
	s_min_u32 s20, s20, 1
	s_delay_alu instid0(SALU_CYCLE_1) | instskip(SKIP_3) | instid1(SALU_CYCLE_1)
	s_or_b32 s20, s21, s20
	s_add_u32 s2, s2, 2
	v_cvt_f32_u32_e32 v46, s20
	s_addc_u32 s3, s3, 0
	v_cmp_ge_u64_e32 vcc_lo, s[2:3], v[25:26]
	s_delay_alu instid0(VALU_DEP_2) | instskip(SKIP_1) | instid1(VALU_DEP_1)
	v_ldexp_f32 v46, v46, s19
	s_or_b32 s18, vcc_lo, s18
	v_dual_mul_f32 v46, v45, v46 :: v_dual_mov_b32 v45, v30
	s_delay_alu instid0(VALU_DEP_1)
	v_fma_f32 v30, v21, v30, -v46
	s_and_not1_b32 exec_lo, exec_lo, s18
	s_cbranch_execnz .LBB55_104
; %bb.105:
	s_or_b32 exec_lo, exec_lo, s18
.LBB55_106:
	s_delay_alu instid0(SALU_CYCLE_1)
	s_or_b32 exec_lo, exec_lo, s17
                                        ; implicit-def: $vgpr21
.LBB55_107:
	s_and_not1_saveexec_b32 s2, s16
; %bb.108:
	v_add_f32_e32 v30, v21, v21
; %bb.109:
	s_or_b32 exec_lo, exec_lo, s2
.LBB55_110:
	s_delay_alu instid0(SALU_CYCLE_1)
	s_or_b32 exec_lo, exec_lo, s14
.LBB55_111:
	s_delay_alu instid0(SALU_CYCLE_1) | instskip(SKIP_3) | instid1(VALU_DEP_2)
	s_or_b32 exec_lo, exec_lo, s13
	v_bfe_u32 v21, v22, 16, 1
	v_cmp_u_f32_e32 vcc_lo, v22, v22
	s_mov_b32 s13, exec_lo
	v_add3_u32 v21, v22, v21, 0x7fff
	s_delay_alu instid0(VALU_DEP_1) | instskip(NEXT) | instid1(VALU_DEP_1)
	v_and_b32_e32 v21, 0xffff0000, v21
	v_cndmask_b32_e64 v22, v21, 0x7fc00000, vcc_lo
	v_and_b32_e32 v21, 0x7fffffff, v21
	s_delay_alu instid0(VALU_DEP_2) | instskip(NEXT) | instid1(VALU_DEP_2)
	v_trunc_f32_e32 v22, v22
	v_cmp_nlg_f32_e64 s2, 0x7f800000, v21
	s_delay_alu instid0(VALU_DEP_2) | instskip(NEXT) | instid1(VALU_DEP_2)
	v_mul_f32_e64 v25, 0x2f800000, |v22|
	s_or_b32 s2, vcc_lo, s2
	s_delay_alu instid0(VALU_DEP_1) | instskip(NEXT) | instid1(VALU_DEP_1)
	v_floor_f32_e32 v25, v25
	v_fma_f32 v26, 0xcf800000, v25, |v22|
	v_ashrrev_i32_e32 v22, 31, v22
	v_cvt_u32_f32_e32 v25, v25
	s_delay_alu instid0(VALU_DEP_3) | instskip(NEXT) | instid1(VALU_DEP_2)
	v_cvt_u32_f32_e32 v26, v26
	v_xor_b32_e32 v25, v25, v22
	s_delay_alu instid0(VALU_DEP_2) | instskip(NEXT) | instid1(VALU_DEP_1)
	v_xor_b32_e32 v26, v26, v22
	v_sub_co_u32 v21, s3, v26, v22
	s_delay_alu instid0(VALU_DEP_1) | instskip(SKIP_1) | instid1(VALU_DEP_3)
	v_sub_co_ci_u32_e64 v22, s3, v25, v22, s3
	v_mov_b32_e32 v25, 0
	v_cndmask_b32_e64 v21, v21, -1, s2
	s_delay_alu instid0(VALU_DEP_3) | instskip(NEXT) | instid1(VALU_DEP_1)
	v_cndmask_b32_e64 v22, v22, -1, s2
	v_cmpx_lt_i64_e32 -1, v[21:22]
	s_cbranch_execz .LBB55_123
; %bb.112:
	v_mov_b32_e32 v25, 1.0
	s_mov_b32 s14, exec_lo
	v_cmpx_lt_i64_e32 0, v[21:22]
	s_cbranch_execz .LBB55_122
; %bb.113:
	v_and_b32_e32 v26, 0xffff0000, v43
                                        ; implicit-def: $vgpr25
	s_mov_b32 s2, exec_lo
	v_cmpx_ne_u64_e32 1, v[21:22]
	s_xor_b32 s16, exec_lo, s2
	s_cbranch_execz .LBB55_119
; %bb.114:
	v_mov_b32_e32 v25, 0x7fc00000
	s_mov_b32 s17, exec_lo
	v_cmpx_gt_u64_e32 0x81, v[21:22]
	s_cbranch_execz .LBB55_118
; %bb.115:
	v_dual_add_f32 v26, v26, v26 :: v_dual_mov_b32 v43, 1.0
	v_lshlrev_b64 v[21:22], 1, v[21:22]
	s_mov_b64 s[2:3], 2
	s_mov_b32 s18, 0
	s_delay_alu instid0(VALU_DEP_2)
	v_mov_b32_e32 v25, v26
	.p2align	6
.LBB55_116:                             ; =>This Inner Loop Header: Depth=1
	s_clz_i32_u32 s19, s3
	s_delay_alu instid0(SALU_CYCLE_1) | instskip(NEXT) | instid1(SALU_CYCLE_1)
	s_min_u32 s19, s19, 32
	s_lshl_b64 s[20:21], s[2:3], s19
	s_sub_i32 s19, 32, s19
	s_min_u32 s20, s20, 1
	s_delay_alu instid0(SALU_CYCLE_1) | instskip(SKIP_3) | instid1(SALU_CYCLE_1)
	s_or_b32 s20, s21, s20
	s_add_u32 s2, s2, 2
	v_cvt_f32_u32_e32 v45, s20
	s_addc_u32 s3, s3, 0
	v_cmp_ge_u64_e32 vcc_lo, s[2:3], v[21:22]
	s_delay_alu instid0(VALU_DEP_2) | instskip(SKIP_1) | instid1(VALU_DEP_1)
	v_ldexp_f32 v45, v45, s19
	s_or_b32 s18, vcc_lo, s18
	v_mul_f32_e32 v45, v43, v45
	v_mov_b32_e32 v43, v25
	s_delay_alu instid0(VALU_DEP_2)
	v_fma_f32 v25, v26, v25, -v45
	s_and_not1_b32 exec_lo, exec_lo, s18
	s_cbranch_execnz .LBB55_116
; %bb.117:
	s_or_b32 exec_lo, exec_lo, s18
.LBB55_118:
	s_delay_alu instid0(SALU_CYCLE_1)
	s_or_b32 exec_lo, exec_lo, s17
                                        ; implicit-def: $vgpr26
.LBB55_119:
	s_and_not1_saveexec_b32 s2, s16
; %bb.120:
	v_add_f32_e32 v25, v26, v26
; %bb.121:
	s_or_b32 exec_lo, exec_lo, s2
.LBB55_122:
	s_delay_alu instid0(SALU_CYCLE_1)
	s_or_b32 exec_lo, exec_lo, s14
.LBB55_123:
	s_delay_alu instid0(SALU_CYCLE_1) | instskip(SKIP_3) | instid1(VALU_DEP_2)
	s_or_b32 exec_lo, exec_lo, s13
	v_bfe_u32 v21, v23, 16, 1
	v_cmp_u_f32_e32 vcc_lo, v23, v23
	s_mov_b32 s13, exec_lo
	v_add3_u32 v21, v23, v21, 0x7fff
	s_delay_alu instid0(VALU_DEP_1) | instskip(NEXT) | instid1(VALU_DEP_1)
	v_and_b32_e32 v21, 0xffff0000, v21
	v_cndmask_b32_e64 v22, v21, 0x7fc00000, vcc_lo
	v_and_b32_e32 v21, 0x7fffffff, v21
	s_delay_alu instid0(VALU_DEP_2) | instskip(NEXT) | instid1(VALU_DEP_2)
	v_trunc_f32_e32 v22, v22
	v_cmp_nlg_f32_e64 s2, 0x7f800000, v21
	s_delay_alu instid0(VALU_DEP_2) | instskip(NEXT) | instid1(VALU_DEP_2)
	v_mul_f32_e64 v23, 0x2f800000, |v22|
	s_or_b32 s2, vcc_lo, s2
	s_delay_alu instid0(VALU_DEP_1) | instskip(NEXT) | instid1(VALU_DEP_1)
	v_floor_f32_e32 v23, v23
	v_fma_f32 v26, 0xcf800000, v23, |v22|
	v_ashrrev_i32_e32 v22, 31, v22
	v_cvt_u32_f32_e32 v23, v23
	s_delay_alu instid0(VALU_DEP_3) | instskip(NEXT) | instid1(VALU_DEP_2)
	v_cvt_u32_f32_e32 v26, v26
	v_xor_b32_e32 v23, v23, v22
	s_delay_alu instid0(VALU_DEP_2) | instskip(NEXT) | instid1(VALU_DEP_1)
	v_xor_b32_e32 v26, v26, v22
	v_sub_co_u32 v21, s3, v26, v22
	s_delay_alu instid0(VALU_DEP_1) | instskip(SKIP_1) | instid1(VALU_DEP_3)
	v_sub_co_ci_u32_e64 v22, s3, v23, v22, s3
	v_mov_b32_e32 v23, 0
	v_cndmask_b32_e64 v21, v21, -1, s2
	s_delay_alu instid0(VALU_DEP_3) | instskip(NEXT) | instid1(VALU_DEP_1)
	v_cndmask_b32_e64 v22, v22, -1, s2
	v_cmpx_lt_i64_e32 -1, v[21:22]
	s_cbranch_execz .LBB55_135
; %bb.124:
	v_mov_b32_e32 v23, 1.0
	s_mov_b32 s14, exec_lo
	v_cmpx_lt_i64_e32 0, v[21:22]
	s_cbranch_execz .LBB55_134
; %bb.125:
	v_lshlrev_b32_e32 v26, 16, v44
                                        ; implicit-def: $vgpr23
	s_mov_b32 s2, exec_lo
	v_cmpx_ne_u64_e32 1, v[21:22]
	s_xor_b32 s16, exec_lo, s2
	s_cbranch_execz .LBB55_131
; %bb.126:
	v_mov_b32_e32 v23, 0x7fc00000
	s_mov_b32 s17, exec_lo
	v_cmpx_gt_u64_e32 0x81, v[21:22]
	s_cbranch_execz .LBB55_130
; %bb.127:
	v_dual_add_f32 v26, v26, v26 :: v_dual_mov_b32 v43, 1.0
	v_lshlrev_b64 v[21:22], 1, v[21:22]
	s_mov_b64 s[2:3], 2
	s_mov_b32 s18, 0
	s_delay_alu instid0(VALU_DEP_2)
	v_mov_b32_e32 v23, v26
	.p2align	6
.LBB55_128:                             ; =>This Inner Loop Header: Depth=1
	s_clz_i32_u32 s19, s3
	s_delay_alu instid0(SALU_CYCLE_1) | instskip(NEXT) | instid1(SALU_CYCLE_1)
	s_min_u32 s19, s19, 32
	s_lshl_b64 s[20:21], s[2:3], s19
	s_sub_i32 s19, 32, s19
	s_min_u32 s20, s20, 1
	s_delay_alu instid0(SALU_CYCLE_1) | instskip(SKIP_3) | instid1(SALU_CYCLE_1)
	s_or_b32 s20, s21, s20
	s_add_u32 s2, s2, 2
	v_cvt_f32_u32_e32 v45, s20
	s_addc_u32 s3, s3, 0
	v_cmp_ge_u64_e32 vcc_lo, s[2:3], v[21:22]
	s_delay_alu instid0(VALU_DEP_2) | instskip(SKIP_1) | instid1(VALU_DEP_1)
	v_ldexp_f32 v45, v45, s19
	s_or_b32 s18, vcc_lo, s18
	v_mul_f32_e32 v45, v43, v45
	v_mov_b32_e32 v43, v23
	s_delay_alu instid0(VALU_DEP_2)
	v_fma_f32 v23, v26, v23, -v45
	s_and_not1_b32 exec_lo, exec_lo, s18
	s_cbranch_execnz .LBB55_128
; %bb.129:
	s_or_b32 exec_lo, exec_lo, s18
.LBB55_130:
	s_delay_alu instid0(SALU_CYCLE_1)
	s_or_b32 exec_lo, exec_lo, s17
                                        ; implicit-def: $vgpr26
.LBB55_131:
	s_and_not1_saveexec_b32 s2, s16
; %bb.132:
	v_add_f32_e32 v23, v26, v26
; %bb.133:
	s_or_b32 exec_lo, exec_lo, s2
.LBB55_134:
	s_delay_alu instid0(SALU_CYCLE_1)
	s_or_b32 exec_lo, exec_lo, s14
.LBB55_135:
	s_delay_alu instid0(SALU_CYCLE_1) | instskip(SKIP_3) | instid1(VALU_DEP_2)
	s_or_b32 exec_lo, exec_lo, s13
	v_bfe_u32 v21, v24, 16, 1
	v_cmp_u_f32_e32 vcc_lo, v24, v24
	s_mov_b32 s13, exec_lo
	v_add3_u32 v21, v24, v21, 0x7fff
	s_delay_alu instid0(VALU_DEP_1) | instskip(NEXT) | instid1(VALU_DEP_1)
	v_and_b32_e32 v21, 0xffff0000, v21
	v_cndmask_b32_e64 v22, v21, 0x7fc00000, vcc_lo
	v_and_b32_e32 v21, 0x7fffffff, v21
	s_delay_alu instid0(VALU_DEP_2) | instskip(NEXT) | instid1(VALU_DEP_2)
	v_trunc_f32_e32 v22, v22
	v_cmp_nlg_f32_e64 s2, 0x7f800000, v21
	s_delay_alu instid0(VALU_DEP_2) | instskip(NEXT) | instid1(VALU_DEP_2)
	v_mul_f32_e64 v24, 0x2f800000, |v22|
	s_or_b32 s2, vcc_lo, s2
	s_delay_alu instid0(VALU_DEP_1) | instskip(NEXT) | instid1(VALU_DEP_1)
	v_floor_f32_e32 v24, v24
	v_fma_f32 v26, 0xcf800000, v24, |v22|
	v_ashrrev_i32_e32 v22, 31, v22
	v_cvt_u32_f32_e32 v24, v24
	s_delay_alu instid0(VALU_DEP_3) | instskip(NEXT) | instid1(VALU_DEP_2)
	v_cvt_u32_f32_e32 v26, v26
	v_xor_b32_e32 v24, v24, v22
	s_delay_alu instid0(VALU_DEP_2) | instskip(NEXT) | instid1(VALU_DEP_1)
	v_xor_b32_e32 v26, v26, v22
	v_sub_co_u32 v21, s3, v26, v22
	s_delay_alu instid0(VALU_DEP_1) | instskip(SKIP_1) | instid1(VALU_DEP_3)
	v_sub_co_ci_u32_e64 v22, s3, v24, v22, s3
	v_mov_b32_e32 v24, 0
	v_cndmask_b32_e64 v21, v21, -1, s2
	s_delay_alu instid0(VALU_DEP_3) | instskip(NEXT) | instid1(VALU_DEP_1)
	v_cndmask_b32_e64 v22, v22, -1, s2
	v_cmpx_lt_i64_e32 -1, v[21:22]
	s_cbranch_execz .LBB55_147
; %bb.136:
	v_mov_b32_e32 v24, 1.0
	s_mov_b32 s14, exec_lo
	v_cmpx_lt_i64_e32 0, v[21:22]
	s_cbranch_execz .LBB55_146
; %bb.137:
	v_and_b32_e32 v26, 0xffff0000, v44
                                        ; implicit-def: $vgpr24
	s_mov_b32 s2, exec_lo
	v_cmpx_ne_u64_e32 1, v[21:22]
	s_xor_b32 s16, exec_lo, s2
	s_cbranch_execz .LBB55_143
; %bb.138:
	v_mov_b32_e32 v24, 0x7fc00000
	s_mov_b32 s17, exec_lo
	v_cmpx_gt_u64_e32 0x81, v[21:22]
	s_cbranch_execz .LBB55_142
; %bb.139:
	v_dual_add_f32 v26, v26, v26 :: v_dual_mov_b32 v43, 1.0
	v_lshlrev_b64 v[21:22], 1, v[21:22]
	s_mov_b64 s[2:3], 2
	s_mov_b32 s18, 0
	s_delay_alu instid0(VALU_DEP_2)
	v_mov_b32_e32 v24, v26
	.p2align	6
.LBB55_140:                             ; =>This Inner Loop Header: Depth=1
	s_clz_i32_u32 s19, s3
	s_delay_alu instid0(SALU_CYCLE_1) | instskip(NEXT) | instid1(SALU_CYCLE_1)
	s_min_u32 s19, s19, 32
	s_lshl_b64 s[20:21], s[2:3], s19
	s_sub_i32 s19, 32, s19
	s_min_u32 s20, s20, 1
	s_delay_alu instid0(SALU_CYCLE_1) | instskip(SKIP_3) | instid1(SALU_CYCLE_1)
	s_or_b32 s20, s21, s20
	s_add_u32 s2, s2, 2
	v_cvt_f32_u32_e32 v44, s20
	s_addc_u32 s3, s3, 0
	v_cmp_ge_u64_e32 vcc_lo, s[2:3], v[21:22]
	s_delay_alu instid0(VALU_DEP_2) | instskip(SKIP_1) | instid1(VALU_DEP_1)
	v_ldexp_f32 v44, v44, s19
	s_or_b32 s18, vcc_lo, s18
	v_dual_mul_f32 v44, v43, v44 :: v_dual_mov_b32 v43, v24
	s_delay_alu instid0(VALU_DEP_1)
	v_fma_f32 v24, v26, v24, -v44
	s_and_not1_b32 exec_lo, exec_lo, s18
	s_cbranch_execnz .LBB55_140
; %bb.141:
	s_or_b32 exec_lo, exec_lo, s18
.LBB55_142:
	s_delay_alu instid0(SALU_CYCLE_1)
	s_or_b32 exec_lo, exec_lo, s17
                                        ; implicit-def: $vgpr26
.LBB55_143:
	s_and_not1_saveexec_b32 s2, s16
; %bb.144:
	v_add_f32_e32 v24, v26, v26
; %bb.145:
	s_or_b32 exec_lo, exec_lo, s2
.LBB55_146:
	s_delay_alu instid0(SALU_CYCLE_1)
	s_or_b32 exec_lo, exec_lo, s14
.LBB55_147:
	s_delay_alu instid0(SALU_CYCLE_1) | instskip(SKIP_4) | instid1(VALU_DEP_2)
	s_or_b32 exec_lo, exec_lo, s13
	s_waitcnt vmcnt(4)
	v_bfe_u32 v21, v17, 16, 1
	v_cmp_u_f32_e32 vcc_lo, v17, v17
	s_mov_b32 s13, exec_lo
	v_add3_u32 v21, v17, v21, 0x7fff
	s_delay_alu instid0(VALU_DEP_1) | instskip(NEXT) | instid1(VALU_DEP_1)
	v_and_b32_e32 v21, 0xffff0000, v21
	v_cndmask_b32_e64 v17, v21, 0x7fc00000, vcc_lo
	v_and_b32_e32 v21, 0x7fffffff, v21
	s_delay_alu instid0(VALU_DEP_2) | instskip(NEXT) | instid1(VALU_DEP_2)
	v_trunc_f32_e32 v17, v17
	v_cmp_nlg_f32_e64 s2, 0x7f800000, v21
	s_delay_alu instid0(VALU_DEP_2) | instskip(NEXT) | instid1(VALU_DEP_2)
	v_mul_f32_e64 v22, 0x2f800000, |v17|
	s_or_b32 s2, vcc_lo, s2
	s_delay_alu instid0(VALU_DEP_1) | instskip(NEXT) | instid1(VALU_DEP_1)
	v_floor_f32_e32 v22, v22
	v_fma_f32 v26, 0xcf800000, v22, |v17|
	v_ashrrev_i32_e32 v17, 31, v17
	v_cvt_u32_f32_e32 v22, v22
	s_delay_alu instid0(VALU_DEP_3) | instskip(NEXT) | instid1(VALU_DEP_2)
	v_cvt_u32_f32_e32 v26, v26
	v_xor_b32_e32 v22, v22, v17
	s_delay_alu instid0(VALU_DEP_2) | instskip(NEXT) | instid1(VALU_DEP_1)
	v_xor_b32_e32 v26, v26, v17
	v_sub_co_u32 v21, s3, v26, v17
	v_mov_b32_e32 v26, 0
	s_delay_alu instid0(VALU_DEP_4) | instskip(NEXT) | instid1(VALU_DEP_3)
	v_sub_co_ci_u32_e64 v17, s3, v22, v17, s3
	v_cndmask_b32_e64 v21, v21, -1, s2
	s_delay_alu instid0(VALU_DEP_2) | instskip(NEXT) | instid1(VALU_DEP_1)
	v_cndmask_b32_e64 v22, v17, -1, s2
	v_cmpx_lt_i64_e32 -1, v[21:22]
	s_cbranch_execz .LBB55_159
; %bb.148:
	v_mov_b32_e32 v26, 1.0
	s_mov_b32 s14, exec_lo
	v_cmpx_lt_i64_e32 0, v[21:22]
	s_cbranch_execz .LBB55_158
; %bb.149:
	v_lshlrev_b32_e32 v17, 16, v41
                                        ; implicit-def: $vgpr26
	s_mov_b32 s2, exec_lo
	v_cmpx_ne_u64_e32 1, v[21:22]
	s_xor_b32 s16, exec_lo, s2
	s_cbranch_execz .LBB55_155
; %bb.150:
	v_mov_b32_e32 v26, 0x7fc00000
	s_mov_b32 s17, exec_lo
	v_cmpx_gt_u64_e32 0x81, v[21:22]
	s_cbranch_execz .LBB55_154
; %bb.151:
	v_add_f32_e32 v17, v17, v17
	v_lshlrev_b64 v[21:22], 1, v[21:22]
	v_mov_b32_e32 v43, 1.0
	s_mov_b64 s[2:3], 2
	s_mov_b32 s18, 0
	v_mov_b32_e32 v26, v17
	.p2align	6
.LBB55_152:                             ; =>This Inner Loop Header: Depth=1
	s_clz_i32_u32 s19, s3
	s_delay_alu instid0(SALU_CYCLE_1) | instskip(NEXT) | instid1(SALU_CYCLE_1)
	s_min_u32 s19, s19, 32
	s_lshl_b64 s[20:21], s[2:3], s19
	s_sub_i32 s19, 32, s19
	s_min_u32 s20, s20, 1
	s_delay_alu instid0(SALU_CYCLE_1) | instskip(SKIP_3) | instid1(SALU_CYCLE_1)
	s_or_b32 s20, s21, s20
	s_add_u32 s2, s2, 2
	v_cvt_f32_u32_e32 v44, s20
	s_addc_u32 s3, s3, 0
	v_cmp_ge_u64_e32 vcc_lo, s[2:3], v[21:22]
	s_delay_alu instid0(VALU_DEP_2) | instskip(SKIP_1) | instid1(VALU_DEP_1)
	v_ldexp_f32 v44, v44, s19
	s_or_b32 s18, vcc_lo, s18
	v_dual_mul_f32 v44, v43, v44 :: v_dual_mov_b32 v43, v26
	s_delay_alu instid0(VALU_DEP_1)
	v_fma_f32 v26, v17, v26, -v44
	s_and_not1_b32 exec_lo, exec_lo, s18
	s_cbranch_execnz .LBB55_152
; %bb.153:
	s_or_b32 exec_lo, exec_lo, s18
.LBB55_154:
	s_delay_alu instid0(SALU_CYCLE_1)
	s_or_b32 exec_lo, exec_lo, s17
                                        ; implicit-def: $vgpr17
.LBB55_155:
	s_and_not1_saveexec_b32 s2, s16
; %bb.156:
	v_add_f32_e32 v26, v17, v17
; %bb.157:
	s_or_b32 exec_lo, exec_lo, s2
.LBB55_158:
	s_delay_alu instid0(SALU_CYCLE_1)
	s_or_b32 exec_lo, exec_lo, s14
.LBB55_159:
	s_delay_alu instid0(SALU_CYCLE_1) | instskip(SKIP_3) | instid1(VALU_DEP_2)
	s_or_b32 exec_lo, exec_lo, s13
	v_bfe_u32 v17, v18, 16, 1
	v_cmp_u_f32_e32 vcc_lo, v18, v18
	s_mov_b32 s13, exec_lo
	v_add3_u32 v17, v18, v17, 0x7fff
	s_delay_alu instid0(VALU_DEP_1) | instskip(NEXT) | instid1(VALU_DEP_1)
	v_and_b32_e32 v17, 0xffff0000, v17
	v_cndmask_b32_e64 v18, v17, 0x7fc00000, vcc_lo
	v_and_b32_e32 v17, 0x7fffffff, v17
	s_delay_alu instid0(VALU_DEP_2) | instskip(NEXT) | instid1(VALU_DEP_2)
	v_trunc_f32_e32 v18, v18
	v_cmp_nlg_f32_e64 s2, 0x7f800000, v17
	s_delay_alu instid0(VALU_DEP_2) | instskip(NEXT) | instid1(VALU_DEP_2)
	v_mul_f32_e64 v21, 0x2f800000, |v18|
	s_or_b32 s2, vcc_lo, s2
	s_delay_alu instid0(VALU_DEP_1) | instskip(NEXT) | instid1(VALU_DEP_1)
	v_floor_f32_e32 v21, v21
	v_fma_f32 v22, 0xcf800000, v21, |v18|
	v_ashrrev_i32_e32 v18, 31, v18
	v_cvt_u32_f32_e32 v21, v21
	s_delay_alu instid0(VALU_DEP_3) | instskip(NEXT) | instid1(VALU_DEP_2)
	v_cvt_u32_f32_e32 v22, v22
	v_xor_b32_e32 v21, v21, v18
	s_delay_alu instid0(VALU_DEP_2) | instskip(NEXT) | instid1(VALU_DEP_1)
	v_xor_b32_e32 v22, v22, v18
	v_sub_co_u32 v17, s3, v22, v18
	s_delay_alu instid0(VALU_DEP_1) | instskip(SKIP_1) | instid1(VALU_DEP_3)
	v_sub_co_ci_u32_e64 v18, s3, v21, v18, s3
	v_mov_b32_e32 v21, 0
	v_cndmask_b32_e64 v17, v17, -1, s2
	s_delay_alu instid0(VALU_DEP_3) | instskip(NEXT) | instid1(VALU_DEP_1)
	v_cndmask_b32_e64 v18, v18, -1, s2
	v_cmpx_lt_i64_e32 -1, v[17:18]
	s_cbranch_execz .LBB55_171
; %bb.160:
	v_mov_b32_e32 v21, 1.0
	s_mov_b32 s14, exec_lo
	v_cmpx_lt_i64_e32 0, v[17:18]
	s_cbranch_execz .LBB55_170
; %bb.161:
	v_and_b32_e32 v22, 0xffff0000, v41
                                        ; implicit-def: $vgpr21
	s_mov_b32 s2, exec_lo
	v_cmpx_ne_u64_e32 1, v[17:18]
	s_xor_b32 s16, exec_lo, s2
	s_cbranch_execz .LBB55_167
; %bb.162:
	v_mov_b32_e32 v21, 0x7fc00000
	s_mov_b32 s17, exec_lo
	v_cmpx_gt_u64_e32 0x81, v[17:18]
	s_cbranch_execz .LBB55_166
; %bb.163:
	v_dual_add_f32 v22, v22, v22 :: v_dual_mov_b32 v41, 1.0
	v_lshlrev_b64 v[17:18], 1, v[17:18]
	s_mov_b64 s[2:3], 2
	s_mov_b32 s18, 0
	s_delay_alu instid0(VALU_DEP_2)
	v_mov_b32_e32 v21, v22
	.p2align	6
.LBB55_164:                             ; =>This Inner Loop Header: Depth=1
	s_clz_i32_u32 s19, s3
	s_delay_alu instid0(SALU_CYCLE_1) | instskip(NEXT) | instid1(SALU_CYCLE_1)
	s_min_u32 s19, s19, 32
	s_lshl_b64 s[20:21], s[2:3], s19
	s_sub_i32 s19, 32, s19
	s_min_u32 s20, s20, 1
	s_delay_alu instid0(SALU_CYCLE_1) | instskip(SKIP_3) | instid1(SALU_CYCLE_1)
	s_or_b32 s20, s21, s20
	s_add_u32 s2, s2, 2
	v_cvt_f32_u32_e32 v43, s20
	s_addc_u32 s3, s3, 0
	v_cmp_ge_u64_e32 vcc_lo, s[2:3], v[17:18]
	s_delay_alu instid0(VALU_DEP_2) | instskip(SKIP_1) | instid1(VALU_DEP_1)
	v_ldexp_f32 v43, v43, s19
	s_or_b32 s18, vcc_lo, s18
	v_mul_f32_e32 v43, v41, v43
	v_mov_b32_e32 v41, v21
	s_delay_alu instid0(VALU_DEP_2)
	v_fma_f32 v21, v22, v21, -v43
	s_and_not1_b32 exec_lo, exec_lo, s18
	s_cbranch_execnz .LBB55_164
; %bb.165:
	s_or_b32 exec_lo, exec_lo, s18
.LBB55_166:
	s_delay_alu instid0(SALU_CYCLE_1)
	s_or_b32 exec_lo, exec_lo, s17
                                        ; implicit-def: $vgpr22
.LBB55_167:
	s_and_not1_saveexec_b32 s2, s16
; %bb.168:
	v_add_f32_e32 v21, v22, v22
; %bb.169:
	s_or_b32 exec_lo, exec_lo, s2
.LBB55_170:
	s_delay_alu instid0(SALU_CYCLE_1)
	s_or_b32 exec_lo, exec_lo, s14
.LBB55_171:
	s_delay_alu instid0(SALU_CYCLE_1) | instskip(SKIP_3) | instid1(VALU_DEP_2)
	s_or_b32 exec_lo, exec_lo, s13
	v_bfe_u32 v17, v19, 16, 1
	v_cmp_u_f32_e32 vcc_lo, v19, v19
	s_mov_b32 s13, exec_lo
	v_add3_u32 v17, v19, v17, 0x7fff
	s_delay_alu instid0(VALU_DEP_1) | instskip(NEXT) | instid1(VALU_DEP_1)
	v_and_b32_e32 v17, 0xffff0000, v17
	v_cndmask_b32_e64 v18, v17, 0x7fc00000, vcc_lo
	v_and_b32_e32 v17, 0x7fffffff, v17
	s_delay_alu instid0(VALU_DEP_2) | instskip(NEXT) | instid1(VALU_DEP_2)
	v_trunc_f32_e32 v18, v18
	v_cmp_nlg_f32_e64 s2, 0x7f800000, v17
	s_delay_alu instid0(VALU_DEP_2) | instskip(NEXT) | instid1(VALU_DEP_2)
	v_mul_f32_e64 v19, 0x2f800000, |v18|
	s_or_b32 s2, vcc_lo, s2
	s_delay_alu instid0(VALU_DEP_1) | instskip(NEXT) | instid1(VALU_DEP_1)
	v_floor_f32_e32 v19, v19
	v_fma_f32 v22, 0xcf800000, v19, |v18|
	v_ashrrev_i32_e32 v18, 31, v18
	v_cvt_u32_f32_e32 v19, v19
	s_delay_alu instid0(VALU_DEP_3) | instskip(NEXT) | instid1(VALU_DEP_2)
	v_cvt_u32_f32_e32 v22, v22
	v_xor_b32_e32 v19, v19, v18
	s_delay_alu instid0(VALU_DEP_2) | instskip(NEXT) | instid1(VALU_DEP_1)
	v_xor_b32_e32 v22, v22, v18
	v_sub_co_u32 v17, s3, v22, v18
	s_delay_alu instid0(VALU_DEP_1) | instskip(SKIP_1) | instid1(VALU_DEP_3)
	v_sub_co_ci_u32_e64 v18, s3, v19, v18, s3
	v_mov_b32_e32 v19, 0
	v_cndmask_b32_e64 v17, v17, -1, s2
	s_delay_alu instid0(VALU_DEP_3) | instskip(NEXT) | instid1(VALU_DEP_1)
	v_cndmask_b32_e64 v18, v18, -1, s2
	v_cmpx_lt_i64_e32 -1, v[17:18]
	s_cbranch_execz .LBB55_183
; %bb.172:
	v_mov_b32_e32 v19, 1.0
	s_mov_b32 s14, exec_lo
	v_cmpx_lt_i64_e32 0, v[17:18]
	s_cbranch_execz .LBB55_182
; %bb.173:
	v_lshlrev_b32_e32 v22, 16, v42
                                        ; implicit-def: $vgpr19
	s_mov_b32 s2, exec_lo
	v_cmpx_ne_u64_e32 1, v[17:18]
	s_xor_b32 s16, exec_lo, s2
	s_cbranch_execz .LBB55_179
; %bb.174:
	v_mov_b32_e32 v19, 0x7fc00000
	s_mov_b32 s17, exec_lo
	v_cmpx_gt_u64_e32 0x81, v[17:18]
	s_cbranch_execz .LBB55_178
; %bb.175:
	v_dual_add_f32 v22, v22, v22 :: v_dual_mov_b32 v41, 1.0
	v_lshlrev_b64 v[17:18], 1, v[17:18]
	s_mov_b64 s[2:3], 2
	s_mov_b32 s18, 0
	s_delay_alu instid0(VALU_DEP_2)
	v_mov_b32_e32 v19, v22
	.p2align	6
.LBB55_176:                             ; =>This Inner Loop Header: Depth=1
	s_clz_i32_u32 s19, s3
	s_delay_alu instid0(SALU_CYCLE_1) | instskip(NEXT) | instid1(SALU_CYCLE_1)
	s_min_u32 s19, s19, 32
	s_lshl_b64 s[20:21], s[2:3], s19
	s_sub_i32 s19, 32, s19
	s_min_u32 s20, s20, 1
	s_delay_alu instid0(SALU_CYCLE_1) | instskip(SKIP_3) | instid1(SALU_CYCLE_1)
	s_or_b32 s20, s21, s20
	s_add_u32 s2, s2, 2
	v_cvt_f32_u32_e32 v43, s20
	s_addc_u32 s3, s3, 0
	v_cmp_ge_u64_e32 vcc_lo, s[2:3], v[17:18]
	s_delay_alu instid0(VALU_DEP_2) | instskip(SKIP_1) | instid1(VALU_DEP_1)
	v_ldexp_f32 v43, v43, s19
	s_or_b32 s18, vcc_lo, s18
	v_mul_f32_e32 v43, v41, v43
	v_mov_b32_e32 v41, v19
	s_delay_alu instid0(VALU_DEP_2)
	v_fma_f32 v19, v22, v19, -v43
	s_and_not1_b32 exec_lo, exec_lo, s18
	s_cbranch_execnz .LBB55_176
; %bb.177:
	s_or_b32 exec_lo, exec_lo, s18
.LBB55_178:
	s_delay_alu instid0(SALU_CYCLE_1)
	s_or_b32 exec_lo, exec_lo, s17
                                        ; implicit-def: $vgpr22
.LBB55_179:
	s_and_not1_saveexec_b32 s2, s16
; %bb.180:
	v_add_f32_e32 v19, v22, v22
; %bb.181:
	s_or_b32 exec_lo, exec_lo, s2
.LBB55_182:
	s_delay_alu instid0(SALU_CYCLE_1)
	s_or_b32 exec_lo, exec_lo, s14
.LBB55_183:
	s_delay_alu instid0(SALU_CYCLE_1) | instskip(SKIP_3) | instid1(VALU_DEP_2)
	s_or_b32 exec_lo, exec_lo, s13
	v_bfe_u32 v17, v20, 16, 1
	v_cmp_u_f32_e32 vcc_lo, v20, v20
	s_mov_b32 s13, exec_lo
	v_add3_u32 v17, v20, v17, 0x7fff
	s_delay_alu instid0(VALU_DEP_1) | instskip(NEXT) | instid1(VALU_DEP_1)
	v_and_b32_e32 v17, 0xffff0000, v17
	v_cndmask_b32_e64 v18, v17, 0x7fc00000, vcc_lo
	v_and_b32_e32 v17, 0x7fffffff, v17
	s_delay_alu instid0(VALU_DEP_2) | instskip(NEXT) | instid1(VALU_DEP_2)
	v_trunc_f32_e32 v18, v18
	v_cmp_nlg_f32_e64 s2, 0x7f800000, v17
	s_delay_alu instid0(VALU_DEP_2) | instskip(NEXT) | instid1(VALU_DEP_2)
	v_mul_f32_e64 v20, 0x2f800000, |v18|
	s_or_b32 s2, vcc_lo, s2
	s_delay_alu instid0(VALU_DEP_1) | instskip(NEXT) | instid1(VALU_DEP_1)
	v_floor_f32_e32 v20, v20
	v_fma_f32 v22, 0xcf800000, v20, |v18|
	v_ashrrev_i32_e32 v18, 31, v18
	v_cvt_u32_f32_e32 v20, v20
	s_delay_alu instid0(VALU_DEP_3) | instskip(NEXT) | instid1(VALU_DEP_2)
	v_cvt_u32_f32_e32 v22, v22
	v_xor_b32_e32 v20, v20, v18
	s_delay_alu instid0(VALU_DEP_2) | instskip(NEXT) | instid1(VALU_DEP_1)
	v_xor_b32_e32 v22, v22, v18
	v_sub_co_u32 v17, s3, v22, v18
	s_delay_alu instid0(VALU_DEP_1) | instskip(SKIP_1) | instid1(VALU_DEP_3)
	v_sub_co_ci_u32_e64 v18, s3, v20, v18, s3
	v_mov_b32_e32 v20, 0
	v_cndmask_b32_e64 v17, v17, -1, s2
	s_delay_alu instid0(VALU_DEP_3) | instskip(NEXT) | instid1(VALU_DEP_1)
	v_cndmask_b32_e64 v18, v18, -1, s2
	v_cmpx_lt_i64_e32 -1, v[17:18]
	s_cbranch_execz .LBB55_195
; %bb.184:
	v_mov_b32_e32 v20, 1.0
	s_mov_b32 s14, exec_lo
	v_cmpx_lt_i64_e32 0, v[17:18]
	s_cbranch_execz .LBB55_194
; %bb.185:
	v_and_b32_e32 v22, 0xffff0000, v42
                                        ; implicit-def: $vgpr20
	s_mov_b32 s2, exec_lo
	v_cmpx_ne_u64_e32 1, v[17:18]
	s_xor_b32 s16, exec_lo, s2
	s_cbranch_execz .LBB55_191
; %bb.186:
	v_mov_b32_e32 v20, 0x7fc00000
	s_mov_b32 s17, exec_lo
	v_cmpx_gt_u64_e32 0x81, v[17:18]
	s_cbranch_execz .LBB55_190
; %bb.187:
	v_dual_add_f32 v22, v22, v22 :: v_dual_mov_b32 v41, 1.0
	v_lshlrev_b64 v[17:18], 1, v[17:18]
	s_mov_b64 s[2:3], 2
	s_mov_b32 s18, 0
	s_delay_alu instid0(VALU_DEP_2)
	v_mov_b32_e32 v20, v22
	.p2align	6
.LBB55_188:                             ; =>This Inner Loop Header: Depth=1
	s_clz_i32_u32 s19, s3
	s_delay_alu instid0(SALU_CYCLE_1) | instskip(NEXT) | instid1(SALU_CYCLE_1)
	s_min_u32 s19, s19, 32
	s_lshl_b64 s[20:21], s[2:3], s19
	s_sub_i32 s19, 32, s19
	s_min_u32 s20, s20, 1
	s_delay_alu instid0(SALU_CYCLE_1) | instskip(SKIP_3) | instid1(SALU_CYCLE_1)
	s_or_b32 s20, s21, s20
	s_add_u32 s2, s2, 2
	v_cvt_f32_u32_e32 v42, s20
	s_addc_u32 s3, s3, 0
	v_cmp_ge_u64_e32 vcc_lo, s[2:3], v[17:18]
	s_delay_alu instid0(VALU_DEP_2) | instskip(SKIP_1) | instid1(VALU_DEP_1)
	v_ldexp_f32 v42, v42, s19
	s_or_b32 s18, vcc_lo, s18
	v_dual_mul_f32 v42, v41, v42 :: v_dual_mov_b32 v41, v20
	s_delay_alu instid0(VALU_DEP_1)
	v_fma_f32 v20, v22, v20, -v42
	s_and_not1_b32 exec_lo, exec_lo, s18
	s_cbranch_execnz .LBB55_188
; %bb.189:
	s_or_b32 exec_lo, exec_lo, s18
.LBB55_190:
	s_delay_alu instid0(SALU_CYCLE_1)
	s_or_b32 exec_lo, exec_lo, s17
                                        ; implicit-def: $vgpr22
.LBB55_191:
	s_and_not1_saveexec_b32 s2, s16
; %bb.192:
	v_add_f32_e32 v20, v22, v22
; %bb.193:
	s_or_b32 exec_lo, exec_lo, s2
.LBB55_194:
	s_delay_alu instid0(SALU_CYCLE_1)
	s_or_b32 exec_lo, exec_lo, s14
.LBB55_195:
	s_delay_alu instid0(SALU_CYCLE_1) | instskip(SKIP_4) | instid1(VALU_DEP_2)
	s_or_b32 exec_lo, exec_lo, s13
	s_waitcnt vmcnt(3)
	v_bfe_u32 v17, v13, 16, 1
	v_cmp_u_f32_e32 vcc_lo, v13, v13
	s_mov_b32 s13, exec_lo
	v_add3_u32 v17, v13, v17, 0x7fff
	s_delay_alu instid0(VALU_DEP_1) | instskip(NEXT) | instid1(VALU_DEP_1)
	v_and_b32_e32 v17, 0xffff0000, v17
	v_cndmask_b32_e64 v13, v17, 0x7fc00000, vcc_lo
	v_and_b32_e32 v17, 0x7fffffff, v17
	s_delay_alu instid0(VALU_DEP_2) | instskip(NEXT) | instid1(VALU_DEP_2)
	v_trunc_f32_e32 v13, v13
	v_cmp_nlg_f32_e64 s2, 0x7f800000, v17
	s_delay_alu instid0(VALU_DEP_2) | instskip(NEXT) | instid1(VALU_DEP_2)
	v_mul_f32_e64 v18, 0x2f800000, |v13|
	s_or_b32 s2, vcc_lo, s2
	s_delay_alu instid0(VALU_DEP_1) | instskip(NEXT) | instid1(VALU_DEP_1)
	v_floor_f32_e32 v18, v18
	v_fma_f32 v22, 0xcf800000, v18, |v13|
	v_ashrrev_i32_e32 v13, 31, v13
	v_cvt_u32_f32_e32 v18, v18
	s_delay_alu instid0(VALU_DEP_3) | instskip(NEXT) | instid1(VALU_DEP_2)
	v_cvt_u32_f32_e32 v22, v22
	v_xor_b32_e32 v18, v18, v13
	s_delay_alu instid0(VALU_DEP_2) | instskip(NEXT) | instid1(VALU_DEP_1)
	v_xor_b32_e32 v22, v22, v13
	v_sub_co_u32 v17, s3, v22, v13
	v_mov_b32_e32 v22, 0
	s_delay_alu instid0(VALU_DEP_4) | instskip(NEXT) | instid1(VALU_DEP_3)
	v_sub_co_ci_u32_e64 v13, s3, v18, v13, s3
	v_cndmask_b32_e64 v17, v17, -1, s2
	s_delay_alu instid0(VALU_DEP_2) | instskip(NEXT) | instid1(VALU_DEP_1)
	v_cndmask_b32_e64 v18, v13, -1, s2
	v_cmpx_lt_i64_e32 -1, v[17:18]
	s_cbranch_execz .LBB55_207
; %bb.196:
	v_mov_b32_e32 v22, 1.0
	s_mov_b32 s14, exec_lo
	v_cmpx_lt_i64_e32 0, v[17:18]
	s_cbranch_execz .LBB55_206
; %bb.197:
	v_lshlrev_b32_e32 v13, 16, v39
                                        ; implicit-def: $vgpr22
	s_mov_b32 s2, exec_lo
	v_cmpx_ne_u64_e32 1, v[17:18]
	s_xor_b32 s16, exec_lo, s2
	s_cbranch_execz .LBB55_203
; %bb.198:
	v_mov_b32_e32 v22, 0x7fc00000
	s_mov_b32 s17, exec_lo
	v_cmpx_gt_u64_e32 0x81, v[17:18]
	s_cbranch_execz .LBB55_202
; %bb.199:
	v_add_f32_e32 v13, v13, v13
	v_lshlrev_b64 v[17:18], 1, v[17:18]
	v_mov_b32_e32 v41, 1.0
	s_mov_b64 s[2:3], 2
	s_mov_b32 s18, 0
	v_mov_b32_e32 v22, v13
	.p2align	6
.LBB55_200:                             ; =>This Inner Loop Header: Depth=1
	s_clz_i32_u32 s19, s3
	s_delay_alu instid0(SALU_CYCLE_1) | instskip(NEXT) | instid1(SALU_CYCLE_1)
	s_min_u32 s19, s19, 32
	s_lshl_b64 s[20:21], s[2:3], s19
	s_sub_i32 s19, 32, s19
	s_min_u32 s20, s20, 1
	s_delay_alu instid0(SALU_CYCLE_1) | instskip(SKIP_3) | instid1(SALU_CYCLE_1)
	s_or_b32 s20, s21, s20
	s_add_u32 s2, s2, 2
	v_cvt_f32_u32_e32 v42, s20
	s_addc_u32 s3, s3, 0
	v_cmp_ge_u64_e32 vcc_lo, s[2:3], v[17:18]
	s_delay_alu instid0(VALU_DEP_2) | instskip(SKIP_1) | instid1(VALU_DEP_1)
	v_ldexp_f32 v42, v42, s19
	s_or_b32 s18, vcc_lo, s18
	v_dual_mul_f32 v42, v41, v42 :: v_dual_mov_b32 v41, v22
	s_delay_alu instid0(VALU_DEP_1)
	v_fma_f32 v22, v13, v22, -v42
	s_and_not1_b32 exec_lo, exec_lo, s18
	s_cbranch_execnz .LBB55_200
; %bb.201:
	s_or_b32 exec_lo, exec_lo, s18
.LBB55_202:
	s_delay_alu instid0(SALU_CYCLE_1)
	s_or_b32 exec_lo, exec_lo, s17
                                        ; implicit-def: $vgpr13
.LBB55_203:
	s_and_not1_saveexec_b32 s2, s16
; %bb.204:
	v_add_f32_e32 v22, v13, v13
; %bb.205:
	s_or_b32 exec_lo, exec_lo, s2
.LBB55_206:
	s_delay_alu instid0(SALU_CYCLE_1)
	s_or_b32 exec_lo, exec_lo, s14
.LBB55_207:
	s_delay_alu instid0(SALU_CYCLE_1) | instskip(SKIP_3) | instid1(VALU_DEP_2)
	s_or_b32 exec_lo, exec_lo, s13
	v_bfe_u32 v13, v14, 16, 1
	v_cmp_u_f32_e32 vcc_lo, v14, v14
	s_mov_b32 s13, exec_lo
	v_add3_u32 v13, v14, v13, 0x7fff
	s_delay_alu instid0(VALU_DEP_1) | instskip(NEXT) | instid1(VALU_DEP_1)
	v_and_b32_e32 v13, 0xffff0000, v13
	v_cndmask_b32_e64 v14, v13, 0x7fc00000, vcc_lo
	v_and_b32_e32 v13, 0x7fffffff, v13
	s_delay_alu instid0(VALU_DEP_2) | instskip(NEXT) | instid1(VALU_DEP_2)
	v_trunc_f32_e32 v14, v14
	v_cmp_nlg_f32_e64 s2, 0x7f800000, v13
	s_delay_alu instid0(VALU_DEP_2) | instskip(NEXT) | instid1(VALU_DEP_2)
	v_mul_f32_e64 v17, 0x2f800000, |v14|
	s_or_b32 s2, vcc_lo, s2
	s_delay_alu instid0(VALU_DEP_1) | instskip(NEXT) | instid1(VALU_DEP_1)
	v_floor_f32_e32 v17, v17
	v_fma_f32 v18, 0xcf800000, v17, |v14|
	v_ashrrev_i32_e32 v14, 31, v14
	v_cvt_u32_f32_e32 v17, v17
	s_delay_alu instid0(VALU_DEP_3) | instskip(NEXT) | instid1(VALU_DEP_2)
	v_cvt_u32_f32_e32 v18, v18
	v_xor_b32_e32 v17, v17, v14
	s_delay_alu instid0(VALU_DEP_2) | instskip(NEXT) | instid1(VALU_DEP_1)
	v_xor_b32_e32 v18, v18, v14
	v_sub_co_u32 v13, s3, v18, v14
	s_delay_alu instid0(VALU_DEP_1) | instskip(SKIP_1) | instid1(VALU_DEP_3)
	v_sub_co_ci_u32_e64 v14, s3, v17, v14, s3
	v_mov_b32_e32 v17, 0
	v_cndmask_b32_e64 v13, v13, -1, s2
	s_delay_alu instid0(VALU_DEP_3) | instskip(NEXT) | instid1(VALU_DEP_1)
	v_cndmask_b32_e64 v14, v14, -1, s2
	v_cmpx_lt_i64_e32 -1, v[13:14]
	s_cbranch_execz .LBB55_219
; %bb.208:
	v_mov_b32_e32 v17, 1.0
	s_mov_b32 s14, exec_lo
	v_cmpx_lt_i64_e32 0, v[13:14]
	s_cbranch_execz .LBB55_218
; %bb.209:
	v_and_b32_e32 v18, 0xffff0000, v39
                                        ; implicit-def: $vgpr17
	s_mov_b32 s2, exec_lo
	v_cmpx_ne_u64_e32 1, v[13:14]
	s_xor_b32 s16, exec_lo, s2
	s_cbranch_execz .LBB55_215
; %bb.210:
	v_mov_b32_e32 v17, 0x7fc00000
	s_mov_b32 s17, exec_lo
	v_cmpx_gt_u64_e32 0x81, v[13:14]
	s_cbranch_execz .LBB55_214
; %bb.211:
	v_dual_add_f32 v18, v18, v18 :: v_dual_mov_b32 v39, 1.0
	v_lshlrev_b64 v[13:14], 1, v[13:14]
	s_mov_b64 s[2:3], 2
	s_mov_b32 s18, 0
	s_delay_alu instid0(VALU_DEP_2)
	v_mov_b32_e32 v17, v18
	.p2align	6
.LBB55_212:                             ; =>This Inner Loop Header: Depth=1
	s_clz_i32_u32 s19, s3
	s_delay_alu instid0(SALU_CYCLE_1) | instskip(NEXT) | instid1(SALU_CYCLE_1)
	s_min_u32 s19, s19, 32
	s_lshl_b64 s[20:21], s[2:3], s19
	s_sub_i32 s19, 32, s19
	s_min_u32 s20, s20, 1
	s_delay_alu instid0(SALU_CYCLE_1) | instskip(SKIP_3) | instid1(SALU_CYCLE_1)
	s_or_b32 s20, s21, s20
	s_add_u32 s2, s2, 2
	v_cvt_f32_u32_e32 v41, s20
	s_addc_u32 s3, s3, 0
	v_cmp_ge_u64_e32 vcc_lo, s[2:3], v[13:14]
	s_delay_alu instid0(VALU_DEP_2) | instskip(SKIP_1) | instid1(VALU_DEP_1)
	v_ldexp_f32 v41, v41, s19
	s_or_b32 s18, vcc_lo, s18
	v_mul_f32_e32 v41, v39, v41
	v_mov_b32_e32 v39, v17
	s_delay_alu instid0(VALU_DEP_2)
	v_fma_f32 v17, v18, v17, -v41
	s_and_not1_b32 exec_lo, exec_lo, s18
	s_cbranch_execnz .LBB55_212
; %bb.213:
	s_or_b32 exec_lo, exec_lo, s18
.LBB55_214:
	s_delay_alu instid0(SALU_CYCLE_1)
	s_or_b32 exec_lo, exec_lo, s17
                                        ; implicit-def: $vgpr18
.LBB55_215:
	s_and_not1_saveexec_b32 s2, s16
; %bb.216:
	v_add_f32_e32 v17, v18, v18
; %bb.217:
	s_or_b32 exec_lo, exec_lo, s2
.LBB55_218:
	s_delay_alu instid0(SALU_CYCLE_1)
	s_or_b32 exec_lo, exec_lo, s14
.LBB55_219:
	s_delay_alu instid0(SALU_CYCLE_1) | instskip(SKIP_3) | instid1(VALU_DEP_2)
	s_or_b32 exec_lo, exec_lo, s13
	v_bfe_u32 v13, v15, 16, 1
	v_cmp_u_f32_e32 vcc_lo, v15, v15
	s_mov_b32 s13, exec_lo
	v_add3_u32 v13, v15, v13, 0x7fff
	s_delay_alu instid0(VALU_DEP_1) | instskip(NEXT) | instid1(VALU_DEP_1)
	v_and_b32_e32 v13, 0xffff0000, v13
	v_cndmask_b32_e64 v14, v13, 0x7fc00000, vcc_lo
	v_and_b32_e32 v13, 0x7fffffff, v13
	s_delay_alu instid0(VALU_DEP_2) | instskip(NEXT) | instid1(VALU_DEP_2)
	v_trunc_f32_e32 v14, v14
	v_cmp_nlg_f32_e64 s2, 0x7f800000, v13
	s_delay_alu instid0(VALU_DEP_2) | instskip(NEXT) | instid1(VALU_DEP_2)
	v_mul_f32_e64 v15, 0x2f800000, |v14|
	s_or_b32 s2, vcc_lo, s2
	s_delay_alu instid0(VALU_DEP_1) | instskip(NEXT) | instid1(VALU_DEP_1)
	v_floor_f32_e32 v15, v15
	v_fma_f32 v18, 0xcf800000, v15, |v14|
	v_ashrrev_i32_e32 v14, 31, v14
	v_cvt_u32_f32_e32 v15, v15
	s_delay_alu instid0(VALU_DEP_3) | instskip(NEXT) | instid1(VALU_DEP_2)
	v_cvt_u32_f32_e32 v18, v18
	v_xor_b32_e32 v15, v15, v14
	s_delay_alu instid0(VALU_DEP_2) | instskip(NEXT) | instid1(VALU_DEP_1)
	v_xor_b32_e32 v18, v18, v14
	v_sub_co_u32 v13, s3, v18, v14
	s_delay_alu instid0(VALU_DEP_1) | instskip(SKIP_1) | instid1(VALU_DEP_3)
	v_sub_co_ci_u32_e64 v14, s3, v15, v14, s3
	v_mov_b32_e32 v15, 0
	v_cndmask_b32_e64 v13, v13, -1, s2
	s_delay_alu instid0(VALU_DEP_3) | instskip(NEXT) | instid1(VALU_DEP_1)
	v_cndmask_b32_e64 v14, v14, -1, s2
	v_cmpx_lt_i64_e32 -1, v[13:14]
	s_cbranch_execz .LBB55_231
; %bb.220:
	v_mov_b32_e32 v15, 1.0
	s_mov_b32 s14, exec_lo
	v_cmpx_lt_i64_e32 0, v[13:14]
	s_cbranch_execz .LBB55_230
; %bb.221:
	v_lshlrev_b32_e32 v18, 16, v40
                                        ; implicit-def: $vgpr15
	s_mov_b32 s2, exec_lo
	v_cmpx_ne_u64_e32 1, v[13:14]
	s_xor_b32 s16, exec_lo, s2
	s_cbranch_execz .LBB55_227
; %bb.222:
	v_mov_b32_e32 v15, 0x7fc00000
	s_mov_b32 s17, exec_lo
	v_cmpx_gt_u64_e32 0x81, v[13:14]
	s_cbranch_execz .LBB55_226
; %bb.223:
	v_dual_add_f32 v18, v18, v18 :: v_dual_mov_b32 v39, 1.0
	v_lshlrev_b64 v[13:14], 1, v[13:14]
	s_mov_b64 s[2:3], 2
	s_mov_b32 s18, 0
	s_delay_alu instid0(VALU_DEP_2)
	v_mov_b32_e32 v15, v18
	.p2align	6
.LBB55_224:                             ; =>This Inner Loop Header: Depth=1
	s_clz_i32_u32 s19, s3
	s_delay_alu instid0(SALU_CYCLE_1) | instskip(NEXT) | instid1(SALU_CYCLE_1)
	s_min_u32 s19, s19, 32
	s_lshl_b64 s[20:21], s[2:3], s19
	s_sub_i32 s19, 32, s19
	s_min_u32 s20, s20, 1
	s_delay_alu instid0(SALU_CYCLE_1) | instskip(SKIP_3) | instid1(SALU_CYCLE_1)
	s_or_b32 s20, s21, s20
	s_add_u32 s2, s2, 2
	v_cvt_f32_u32_e32 v41, s20
	s_addc_u32 s3, s3, 0
	v_cmp_ge_u64_e32 vcc_lo, s[2:3], v[13:14]
	s_delay_alu instid0(VALU_DEP_2) | instskip(SKIP_1) | instid1(VALU_DEP_1)
	v_ldexp_f32 v41, v41, s19
	s_or_b32 s18, vcc_lo, s18
	v_mul_f32_e32 v41, v39, v41
	v_mov_b32_e32 v39, v15
	s_delay_alu instid0(VALU_DEP_2)
	v_fma_f32 v15, v18, v15, -v41
	s_and_not1_b32 exec_lo, exec_lo, s18
	s_cbranch_execnz .LBB55_224
; %bb.225:
	s_or_b32 exec_lo, exec_lo, s18
.LBB55_226:
	s_delay_alu instid0(SALU_CYCLE_1)
	s_or_b32 exec_lo, exec_lo, s17
                                        ; implicit-def: $vgpr18
.LBB55_227:
	s_and_not1_saveexec_b32 s2, s16
; %bb.228:
	v_add_f32_e32 v15, v18, v18
; %bb.229:
	s_or_b32 exec_lo, exec_lo, s2
.LBB55_230:
	s_delay_alu instid0(SALU_CYCLE_1)
	s_or_b32 exec_lo, exec_lo, s14
.LBB55_231:
	s_delay_alu instid0(SALU_CYCLE_1) | instskip(SKIP_3) | instid1(VALU_DEP_2)
	s_or_b32 exec_lo, exec_lo, s13
	v_bfe_u32 v13, v16, 16, 1
	v_cmp_u_f32_e32 vcc_lo, v16, v16
	s_mov_b32 s13, exec_lo
	v_add3_u32 v13, v16, v13, 0x7fff
	s_delay_alu instid0(VALU_DEP_1) | instskip(NEXT) | instid1(VALU_DEP_1)
	v_and_b32_e32 v13, 0xffff0000, v13
	v_cndmask_b32_e64 v14, v13, 0x7fc00000, vcc_lo
	v_and_b32_e32 v13, 0x7fffffff, v13
	s_delay_alu instid0(VALU_DEP_2) | instskip(NEXT) | instid1(VALU_DEP_2)
	v_trunc_f32_e32 v14, v14
	v_cmp_nlg_f32_e64 s2, 0x7f800000, v13
	s_delay_alu instid0(VALU_DEP_2) | instskip(NEXT) | instid1(VALU_DEP_2)
	v_mul_f32_e64 v16, 0x2f800000, |v14|
	s_or_b32 s2, vcc_lo, s2
	s_delay_alu instid0(VALU_DEP_1) | instskip(NEXT) | instid1(VALU_DEP_1)
	v_floor_f32_e32 v16, v16
	v_fma_f32 v18, 0xcf800000, v16, |v14|
	v_ashrrev_i32_e32 v14, 31, v14
	v_cvt_u32_f32_e32 v16, v16
	s_delay_alu instid0(VALU_DEP_3) | instskip(NEXT) | instid1(VALU_DEP_2)
	v_cvt_u32_f32_e32 v18, v18
	v_xor_b32_e32 v16, v16, v14
	s_delay_alu instid0(VALU_DEP_2) | instskip(NEXT) | instid1(VALU_DEP_1)
	v_xor_b32_e32 v18, v18, v14
	v_sub_co_u32 v13, s3, v18, v14
	s_delay_alu instid0(VALU_DEP_1) | instskip(SKIP_1) | instid1(VALU_DEP_3)
	v_sub_co_ci_u32_e64 v14, s3, v16, v14, s3
	v_mov_b32_e32 v16, 0
	v_cndmask_b32_e64 v13, v13, -1, s2
	s_delay_alu instid0(VALU_DEP_3) | instskip(NEXT) | instid1(VALU_DEP_1)
	v_cndmask_b32_e64 v14, v14, -1, s2
	v_cmpx_lt_i64_e32 -1, v[13:14]
	s_cbranch_execz .LBB55_243
; %bb.232:
	v_mov_b32_e32 v16, 1.0
	s_mov_b32 s14, exec_lo
	v_cmpx_lt_i64_e32 0, v[13:14]
	s_cbranch_execz .LBB55_242
; %bb.233:
	v_and_b32_e32 v18, 0xffff0000, v40
                                        ; implicit-def: $vgpr16
	s_mov_b32 s2, exec_lo
	v_cmpx_ne_u64_e32 1, v[13:14]
	s_xor_b32 s16, exec_lo, s2
	s_cbranch_execz .LBB55_239
; %bb.234:
	v_mov_b32_e32 v16, 0x7fc00000
	s_mov_b32 s17, exec_lo
	v_cmpx_gt_u64_e32 0x81, v[13:14]
	s_cbranch_execz .LBB55_238
; %bb.235:
	v_dual_add_f32 v18, v18, v18 :: v_dual_mov_b32 v39, 1.0
	v_lshlrev_b64 v[13:14], 1, v[13:14]
	s_mov_b64 s[2:3], 2
	s_mov_b32 s18, 0
	s_delay_alu instid0(VALU_DEP_2)
	v_mov_b32_e32 v16, v18
	.p2align	6
.LBB55_236:                             ; =>This Inner Loop Header: Depth=1
	s_clz_i32_u32 s19, s3
	s_delay_alu instid0(SALU_CYCLE_1) | instskip(NEXT) | instid1(SALU_CYCLE_1)
	s_min_u32 s19, s19, 32
	s_lshl_b64 s[20:21], s[2:3], s19
	s_sub_i32 s19, 32, s19
	s_min_u32 s20, s20, 1
	s_delay_alu instid0(SALU_CYCLE_1) | instskip(SKIP_3) | instid1(SALU_CYCLE_1)
	s_or_b32 s20, s21, s20
	s_add_u32 s2, s2, 2
	v_cvt_f32_u32_e32 v40, s20
	s_addc_u32 s3, s3, 0
	v_cmp_ge_u64_e32 vcc_lo, s[2:3], v[13:14]
	s_delay_alu instid0(VALU_DEP_2) | instskip(SKIP_1) | instid1(VALU_DEP_1)
	v_ldexp_f32 v40, v40, s19
	s_or_b32 s18, vcc_lo, s18
	v_dual_mul_f32 v40, v39, v40 :: v_dual_mov_b32 v39, v16
	s_delay_alu instid0(VALU_DEP_1)
	v_fma_f32 v16, v18, v16, -v40
	s_and_not1_b32 exec_lo, exec_lo, s18
	s_cbranch_execnz .LBB55_236
; %bb.237:
	s_or_b32 exec_lo, exec_lo, s18
.LBB55_238:
	s_delay_alu instid0(SALU_CYCLE_1)
	s_or_b32 exec_lo, exec_lo, s17
                                        ; implicit-def: $vgpr18
.LBB55_239:
	s_and_not1_saveexec_b32 s2, s16
; %bb.240:
	v_add_f32_e32 v16, v18, v18
; %bb.241:
	s_or_b32 exec_lo, exec_lo, s2
.LBB55_242:
	s_delay_alu instid0(SALU_CYCLE_1)
	s_or_b32 exec_lo, exec_lo, s14
.LBB55_243:
	s_delay_alu instid0(SALU_CYCLE_1) | instskip(SKIP_4) | instid1(VALU_DEP_2)
	s_or_b32 exec_lo, exec_lo, s13
	s_waitcnt vmcnt(2)
	v_bfe_u32 v13, v9, 16, 1
	v_cmp_u_f32_e32 vcc_lo, v9, v9
	s_mov_b32 s13, exec_lo
	v_add3_u32 v13, v9, v13, 0x7fff
	s_delay_alu instid0(VALU_DEP_1) | instskip(NEXT) | instid1(VALU_DEP_1)
	v_and_b32_e32 v13, 0xffff0000, v13
	v_cndmask_b32_e64 v9, v13, 0x7fc00000, vcc_lo
	v_and_b32_e32 v13, 0x7fffffff, v13
	s_delay_alu instid0(VALU_DEP_2) | instskip(NEXT) | instid1(VALU_DEP_2)
	v_trunc_f32_e32 v9, v9
	v_cmp_nlg_f32_e64 s2, 0x7f800000, v13
	s_delay_alu instid0(VALU_DEP_2) | instskip(NEXT) | instid1(VALU_DEP_2)
	v_mul_f32_e64 v14, 0x2f800000, |v9|
	s_or_b32 s2, vcc_lo, s2
	s_delay_alu instid0(VALU_DEP_1) | instskip(NEXT) | instid1(VALU_DEP_1)
	v_floor_f32_e32 v14, v14
	v_fma_f32 v18, 0xcf800000, v14, |v9|
	v_ashrrev_i32_e32 v9, 31, v9
	v_cvt_u32_f32_e32 v14, v14
	s_delay_alu instid0(VALU_DEP_3) | instskip(NEXT) | instid1(VALU_DEP_2)
	v_cvt_u32_f32_e32 v18, v18
	v_xor_b32_e32 v14, v14, v9
	s_delay_alu instid0(VALU_DEP_2) | instskip(NEXT) | instid1(VALU_DEP_1)
	v_xor_b32_e32 v18, v18, v9
	v_sub_co_u32 v13, s3, v18, v9
	v_mov_b32_e32 v18, 0
	s_delay_alu instid0(VALU_DEP_4) | instskip(NEXT) | instid1(VALU_DEP_3)
	v_sub_co_ci_u32_e64 v9, s3, v14, v9, s3
	v_cndmask_b32_e64 v13, v13, -1, s2
	s_delay_alu instid0(VALU_DEP_2) | instskip(NEXT) | instid1(VALU_DEP_1)
	v_cndmask_b32_e64 v14, v9, -1, s2
	v_cmpx_lt_i64_e32 -1, v[13:14]
	s_cbranch_execz .LBB55_255
; %bb.244:
	v_mov_b32_e32 v18, 1.0
	s_mov_b32 s14, exec_lo
	v_cmpx_lt_i64_e32 0, v[13:14]
	s_cbranch_execz .LBB55_254
; %bb.245:
	v_lshlrev_b32_e32 v9, 16, v37
                                        ; implicit-def: $vgpr18
	s_mov_b32 s2, exec_lo
	v_cmpx_ne_u64_e32 1, v[13:14]
	s_xor_b32 s16, exec_lo, s2
	s_cbranch_execz .LBB55_251
; %bb.246:
	v_mov_b32_e32 v18, 0x7fc00000
	s_mov_b32 s17, exec_lo
	v_cmpx_gt_u64_e32 0x81, v[13:14]
	s_cbranch_execz .LBB55_250
; %bb.247:
	v_add_f32_e32 v9, v9, v9
	v_lshlrev_b64 v[13:14], 1, v[13:14]
	v_mov_b32_e32 v39, 1.0
	s_mov_b64 s[2:3], 2
	s_mov_b32 s18, 0
	v_mov_b32_e32 v18, v9
	.p2align	6
.LBB55_248:                             ; =>This Inner Loop Header: Depth=1
	s_clz_i32_u32 s19, s3
	s_delay_alu instid0(SALU_CYCLE_1) | instskip(NEXT) | instid1(SALU_CYCLE_1)
	s_min_u32 s19, s19, 32
	s_lshl_b64 s[20:21], s[2:3], s19
	s_sub_i32 s19, 32, s19
	s_min_u32 s20, s20, 1
	s_delay_alu instid0(SALU_CYCLE_1) | instskip(SKIP_3) | instid1(SALU_CYCLE_1)
	s_or_b32 s20, s21, s20
	s_add_u32 s2, s2, 2
	v_cvt_f32_u32_e32 v40, s20
	s_addc_u32 s3, s3, 0
	v_cmp_ge_u64_e32 vcc_lo, s[2:3], v[13:14]
	s_delay_alu instid0(VALU_DEP_2) | instskip(SKIP_1) | instid1(VALU_DEP_1)
	v_ldexp_f32 v40, v40, s19
	s_or_b32 s18, vcc_lo, s18
	v_dual_mul_f32 v40, v39, v40 :: v_dual_mov_b32 v39, v18
	s_delay_alu instid0(VALU_DEP_1)
	v_fma_f32 v18, v9, v18, -v40
	s_and_not1_b32 exec_lo, exec_lo, s18
	s_cbranch_execnz .LBB55_248
; %bb.249:
	s_or_b32 exec_lo, exec_lo, s18
.LBB55_250:
	s_delay_alu instid0(SALU_CYCLE_1)
	s_or_b32 exec_lo, exec_lo, s17
                                        ; implicit-def: $vgpr9
.LBB55_251:
	s_and_not1_saveexec_b32 s2, s16
; %bb.252:
	v_add_f32_e32 v18, v9, v9
; %bb.253:
	s_or_b32 exec_lo, exec_lo, s2
.LBB55_254:
	s_delay_alu instid0(SALU_CYCLE_1)
	s_or_b32 exec_lo, exec_lo, s14
.LBB55_255:
	s_delay_alu instid0(SALU_CYCLE_1) | instskip(SKIP_3) | instid1(VALU_DEP_2)
	s_or_b32 exec_lo, exec_lo, s13
	v_bfe_u32 v9, v10, 16, 1
	v_cmp_u_f32_e32 vcc_lo, v10, v10
	s_mov_b32 s13, exec_lo
	v_add3_u32 v9, v10, v9, 0x7fff
	s_delay_alu instid0(VALU_DEP_1) | instskip(NEXT) | instid1(VALU_DEP_1)
	v_and_b32_e32 v9, 0xffff0000, v9
	v_cndmask_b32_e64 v10, v9, 0x7fc00000, vcc_lo
	v_and_b32_e32 v9, 0x7fffffff, v9
	s_delay_alu instid0(VALU_DEP_2) | instskip(NEXT) | instid1(VALU_DEP_2)
	v_trunc_f32_e32 v10, v10
	v_cmp_nlg_f32_e64 s2, 0x7f800000, v9
	s_delay_alu instid0(VALU_DEP_2) | instskip(NEXT) | instid1(VALU_DEP_2)
	v_mul_f32_e64 v13, 0x2f800000, |v10|
	s_or_b32 s2, vcc_lo, s2
	s_delay_alu instid0(VALU_DEP_1) | instskip(NEXT) | instid1(VALU_DEP_1)
	v_floor_f32_e32 v13, v13
	v_fma_f32 v14, 0xcf800000, v13, |v10|
	v_ashrrev_i32_e32 v10, 31, v10
	v_cvt_u32_f32_e32 v13, v13
	s_delay_alu instid0(VALU_DEP_3) | instskip(NEXT) | instid1(VALU_DEP_2)
	v_cvt_u32_f32_e32 v14, v14
	v_xor_b32_e32 v13, v13, v10
	s_delay_alu instid0(VALU_DEP_2) | instskip(NEXT) | instid1(VALU_DEP_1)
	v_xor_b32_e32 v14, v14, v10
	v_sub_co_u32 v9, s3, v14, v10
	s_delay_alu instid0(VALU_DEP_1) | instskip(SKIP_1) | instid1(VALU_DEP_3)
	v_sub_co_ci_u32_e64 v10, s3, v13, v10, s3
	v_mov_b32_e32 v13, 0
	v_cndmask_b32_e64 v9, v9, -1, s2
	s_delay_alu instid0(VALU_DEP_3) | instskip(NEXT) | instid1(VALU_DEP_1)
	v_cndmask_b32_e64 v10, v10, -1, s2
	v_cmpx_lt_i64_e32 -1, v[9:10]
	s_cbranch_execz .LBB55_267
; %bb.256:
	v_mov_b32_e32 v13, 1.0
	s_mov_b32 s14, exec_lo
	v_cmpx_lt_i64_e32 0, v[9:10]
	s_cbranch_execz .LBB55_266
; %bb.257:
	v_and_b32_e32 v14, 0xffff0000, v37
                                        ; implicit-def: $vgpr13
	s_mov_b32 s2, exec_lo
	v_cmpx_ne_u64_e32 1, v[9:10]
	s_xor_b32 s16, exec_lo, s2
	s_cbranch_execz .LBB55_263
; %bb.258:
	v_mov_b32_e32 v13, 0x7fc00000
	s_mov_b32 s17, exec_lo
	v_cmpx_gt_u64_e32 0x81, v[9:10]
	s_cbranch_execz .LBB55_262
; %bb.259:
	v_dual_add_f32 v14, v14, v14 :: v_dual_mov_b32 v37, 1.0
	v_lshlrev_b64 v[9:10], 1, v[9:10]
	s_mov_b64 s[2:3], 2
	s_mov_b32 s18, 0
	s_delay_alu instid0(VALU_DEP_2)
	v_mov_b32_e32 v13, v14
	.p2align	6
.LBB55_260:                             ; =>This Inner Loop Header: Depth=1
	s_clz_i32_u32 s19, s3
	s_delay_alu instid0(SALU_CYCLE_1) | instskip(NEXT) | instid1(SALU_CYCLE_1)
	s_min_u32 s19, s19, 32
	s_lshl_b64 s[20:21], s[2:3], s19
	s_sub_i32 s19, 32, s19
	s_min_u32 s20, s20, 1
	s_delay_alu instid0(SALU_CYCLE_1) | instskip(SKIP_3) | instid1(SALU_CYCLE_1)
	s_or_b32 s20, s21, s20
	s_add_u32 s2, s2, 2
	v_cvt_f32_u32_e32 v39, s20
	s_addc_u32 s3, s3, 0
	v_cmp_ge_u64_e32 vcc_lo, s[2:3], v[9:10]
	s_delay_alu instid0(VALU_DEP_2) | instskip(SKIP_1) | instid1(VALU_DEP_1)
	v_ldexp_f32 v39, v39, s19
	s_or_b32 s18, vcc_lo, s18
	v_mul_f32_e32 v39, v37, v39
	v_mov_b32_e32 v37, v13
	s_delay_alu instid0(VALU_DEP_2)
	v_fma_f32 v13, v14, v13, -v39
	s_and_not1_b32 exec_lo, exec_lo, s18
	s_cbranch_execnz .LBB55_260
; %bb.261:
	s_or_b32 exec_lo, exec_lo, s18
.LBB55_262:
	s_delay_alu instid0(SALU_CYCLE_1)
	s_or_b32 exec_lo, exec_lo, s17
                                        ; implicit-def: $vgpr14
.LBB55_263:
	s_and_not1_saveexec_b32 s2, s16
; %bb.264:
	v_add_f32_e32 v13, v14, v14
; %bb.265:
	s_or_b32 exec_lo, exec_lo, s2
.LBB55_266:
	s_delay_alu instid0(SALU_CYCLE_1)
	s_or_b32 exec_lo, exec_lo, s14
.LBB55_267:
	s_delay_alu instid0(SALU_CYCLE_1) | instskip(SKIP_3) | instid1(VALU_DEP_2)
	s_or_b32 exec_lo, exec_lo, s13
	v_bfe_u32 v9, v11, 16, 1
	v_cmp_u_f32_e32 vcc_lo, v11, v11
	s_mov_b32 s13, exec_lo
	v_add3_u32 v9, v11, v9, 0x7fff
	s_delay_alu instid0(VALU_DEP_1) | instskip(NEXT) | instid1(VALU_DEP_1)
	v_and_b32_e32 v9, 0xffff0000, v9
	v_cndmask_b32_e64 v10, v9, 0x7fc00000, vcc_lo
	v_and_b32_e32 v9, 0x7fffffff, v9
	s_delay_alu instid0(VALU_DEP_2) | instskip(NEXT) | instid1(VALU_DEP_2)
	v_trunc_f32_e32 v10, v10
	v_cmp_nlg_f32_e64 s2, 0x7f800000, v9
	s_delay_alu instid0(VALU_DEP_2) | instskip(NEXT) | instid1(VALU_DEP_2)
	v_mul_f32_e64 v11, 0x2f800000, |v10|
	s_or_b32 s2, vcc_lo, s2
	s_delay_alu instid0(VALU_DEP_1) | instskip(NEXT) | instid1(VALU_DEP_1)
	v_floor_f32_e32 v11, v11
	v_fma_f32 v14, 0xcf800000, v11, |v10|
	v_ashrrev_i32_e32 v10, 31, v10
	v_cvt_u32_f32_e32 v11, v11
	s_delay_alu instid0(VALU_DEP_3) | instskip(NEXT) | instid1(VALU_DEP_2)
	v_cvt_u32_f32_e32 v14, v14
	v_xor_b32_e32 v11, v11, v10
	s_delay_alu instid0(VALU_DEP_2) | instskip(NEXT) | instid1(VALU_DEP_1)
	v_xor_b32_e32 v14, v14, v10
	v_sub_co_u32 v9, s3, v14, v10
	s_delay_alu instid0(VALU_DEP_1) | instskip(SKIP_1) | instid1(VALU_DEP_3)
	v_sub_co_ci_u32_e64 v10, s3, v11, v10, s3
	v_mov_b32_e32 v11, 0
	v_cndmask_b32_e64 v9, v9, -1, s2
	s_delay_alu instid0(VALU_DEP_3) | instskip(NEXT) | instid1(VALU_DEP_1)
	v_cndmask_b32_e64 v10, v10, -1, s2
	v_cmpx_lt_i64_e32 -1, v[9:10]
	s_cbranch_execz .LBB55_279
; %bb.268:
	v_mov_b32_e32 v11, 1.0
	s_mov_b32 s14, exec_lo
	v_cmpx_lt_i64_e32 0, v[9:10]
	s_cbranch_execz .LBB55_278
; %bb.269:
	v_lshlrev_b32_e32 v14, 16, v38
                                        ; implicit-def: $vgpr11
	s_mov_b32 s2, exec_lo
	v_cmpx_ne_u64_e32 1, v[9:10]
	s_xor_b32 s16, exec_lo, s2
	s_cbranch_execz .LBB55_275
; %bb.270:
	v_mov_b32_e32 v11, 0x7fc00000
	s_mov_b32 s17, exec_lo
	v_cmpx_gt_u64_e32 0x81, v[9:10]
	s_cbranch_execz .LBB55_274
; %bb.271:
	v_dual_add_f32 v14, v14, v14 :: v_dual_mov_b32 v37, 1.0
	v_lshlrev_b64 v[9:10], 1, v[9:10]
	s_mov_b64 s[2:3], 2
	s_mov_b32 s18, 0
	s_delay_alu instid0(VALU_DEP_2)
	v_mov_b32_e32 v11, v14
	.p2align	6
.LBB55_272:                             ; =>This Inner Loop Header: Depth=1
	s_clz_i32_u32 s19, s3
	s_delay_alu instid0(SALU_CYCLE_1) | instskip(NEXT) | instid1(SALU_CYCLE_1)
	s_min_u32 s19, s19, 32
	s_lshl_b64 s[20:21], s[2:3], s19
	s_sub_i32 s19, 32, s19
	s_min_u32 s20, s20, 1
	s_delay_alu instid0(SALU_CYCLE_1) | instskip(SKIP_3) | instid1(SALU_CYCLE_1)
	s_or_b32 s20, s21, s20
	s_add_u32 s2, s2, 2
	v_cvt_f32_u32_e32 v39, s20
	s_addc_u32 s3, s3, 0
	v_cmp_ge_u64_e32 vcc_lo, s[2:3], v[9:10]
	s_delay_alu instid0(VALU_DEP_2) | instskip(SKIP_1) | instid1(VALU_DEP_1)
	v_ldexp_f32 v39, v39, s19
	s_or_b32 s18, vcc_lo, s18
	v_mul_f32_e32 v39, v37, v39
	v_mov_b32_e32 v37, v11
	s_delay_alu instid0(VALU_DEP_2)
	v_fma_f32 v11, v14, v11, -v39
	s_and_not1_b32 exec_lo, exec_lo, s18
	s_cbranch_execnz .LBB55_272
; %bb.273:
	s_or_b32 exec_lo, exec_lo, s18
.LBB55_274:
	s_delay_alu instid0(SALU_CYCLE_1)
	s_or_b32 exec_lo, exec_lo, s17
                                        ; implicit-def: $vgpr14
.LBB55_275:
	s_and_not1_saveexec_b32 s2, s16
; %bb.276:
	v_add_f32_e32 v11, v14, v14
; %bb.277:
	s_or_b32 exec_lo, exec_lo, s2
.LBB55_278:
	s_delay_alu instid0(SALU_CYCLE_1)
	s_or_b32 exec_lo, exec_lo, s14
.LBB55_279:
	s_delay_alu instid0(SALU_CYCLE_1) | instskip(SKIP_3) | instid1(VALU_DEP_2)
	s_or_b32 exec_lo, exec_lo, s13
	v_bfe_u32 v9, v12, 16, 1
	v_cmp_u_f32_e32 vcc_lo, v12, v12
	s_mov_b32 s13, exec_lo
	v_add3_u32 v9, v12, v9, 0x7fff
	s_delay_alu instid0(VALU_DEP_1) | instskip(NEXT) | instid1(VALU_DEP_1)
	v_and_b32_e32 v9, 0xffff0000, v9
	v_cndmask_b32_e64 v10, v9, 0x7fc00000, vcc_lo
	v_and_b32_e32 v9, 0x7fffffff, v9
	s_delay_alu instid0(VALU_DEP_2) | instskip(NEXT) | instid1(VALU_DEP_2)
	v_trunc_f32_e32 v10, v10
	v_cmp_nlg_f32_e64 s2, 0x7f800000, v9
	s_delay_alu instid0(VALU_DEP_2) | instskip(NEXT) | instid1(VALU_DEP_2)
	v_mul_f32_e64 v12, 0x2f800000, |v10|
	s_or_b32 s2, vcc_lo, s2
	s_delay_alu instid0(VALU_DEP_1) | instskip(NEXT) | instid1(VALU_DEP_1)
	v_floor_f32_e32 v12, v12
	v_fma_f32 v14, 0xcf800000, v12, |v10|
	v_ashrrev_i32_e32 v10, 31, v10
	v_cvt_u32_f32_e32 v12, v12
	s_delay_alu instid0(VALU_DEP_3) | instskip(NEXT) | instid1(VALU_DEP_2)
	v_cvt_u32_f32_e32 v14, v14
	v_xor_b32_e32 v12, v12, v10
	s_delay_alu instid0(VALU_DEP_2) | instskip(NEXT) | instid1(VALU_DEP_1)
	v_xor_b32_e32 v14, v14, v10
	v_sub_co_u32 v9, s3, v14, v10
	s_delay_alu instid0(VALU_DEP_1) | instskip(SKIP_1) | instid1(VALU_DEP_3)
	v_sub_co_ci_u32_e64 v10, s3, v12, v10, s3
	v_mov_b32_e32 v12, 0
	v_cndmask_b32_e64 v9, v9, -1, s2
	s_delay_alu instid0(VALU_DEP_3) | instskip(NEXT) | instid1(VALU_DEP_1)
	v_cndmask_b32_e64 v10, v10, -1, s2
	v_cmpx_lt_i64_e32 -1, v[9:10]
	s_cbranch_execz .LBB55_291
; %bb.280:
	v_mov_b32_e32 v12, 1.0
	s_mov_b32 s14, exec_lo
	v_cmpx_lt_i64_e32 0, v[9:10]
	s_cbranch_execz .LBB55_290
; %bb.281:
	v_and_b32_e32 v14, 0xffff0000, v38
                                        ; implicit-def: $vgpr12
	s_mov_b32 s2, exec_lo
	v_cmpx_ne_u64_e32 1, v[9:10]
	s_xor_b32 s16, exec_lo, s2
	s_cbranch_execz .LBB55_287
; %bb.282:
	v_mov_b32_e32 v12, 0x7fc00000
	s_mov_b32 s17, exec_lo
	v_cmpx_gt_u64_e32 0x81, v[9:10]
	s_cbranch_execz .LBB55_286
; %bb.283:
	v_dual_add_f32 v14, v14, v14 :: v_dual_mov_b32 v37, 1.0
	v_lshlrev_b64 v[9:10], 1, v[9:10]
	s_mov_b64 s[2:3], 2
	s_mov_b32 s18, 0
	s_delay_alu instid0(VALU_DEP_2)
	v_mov_b32_e32 v12, v14
	.p2align	6
.LBB55_284:                             ; =>This Inner Loop Header: Depth=1
	s_clz_i32_u32 s19, s3
	s_delay_alu instid0(SALU_CYCLE_1) | instskip(NEXT) | instid1(SALU_CYCLE_1)
	s_min_u32 s19, s19, 32
	s_lshl_b64 s[20:21], s[2:3], s19
	s_sub_i32 s19, 32, s19
	s_min_u32 s20, s20, 1
	s_delay_alu instid0(SALU_CYCLE_1) | instskip(SKIP_3) | instid1(SALU_CYCLE_1)
	s_or_b32 s20, s21, s20
	s_add_u32 s2, s2, 2
	v_cvt_f32_u32_e32 v38, s20
	s_addc_u32 s3, s3, 0
	v_cmp_ge_u64_e32 vcc_lo, s[2:3], v[9:10]
	s_delay_alu instid0(VALU_DEP_2) | instskip(SKIP_1) | instid1(VALU_DEP_1)
	v_ldexp_f32 v38, v38, s19
	s_or_b32 s18, vcc_lo, s18
	v_dual_mul_f32 v38, v37, v38 :: v_dual_mov_b32 v37, v12
	s_delay_alu instid0(VALU_DEP_1)
	v_fma_f32 v12, v14, v12, -v38
	s_and_not1_b32 exec_lo, exec_lo, s18
	s_cbranch_execnz .LBB55_284
; %bb.285:
	s_or_b32 exec_lo, exec_lo, s18
.LBB55_286:
	s_delay_alu instid0(SALU_CYCLE_1)
	s_or_b32 exec_lo, exec_lo, s17
                                        ; implicit-def: $vgpr14
.LBB55_287:
	s_and_not1_saveexec_b32 s2, s16
; %bb.288:
	v_add_f32_e32 v12, v14, v14
; %bb.289:
	s_or_b32 exec_lo, exec_lo, s2
.LBB55_290:
	s_delay_alu instid0(SALU_CYCLE_1)
	s_or_b32 exec_lo, exec_lo, s14
.LBB55_291:
	s_delay_alu instid0(SALU_CYCLE_1) | instskip(SKIP_4) | instid1(VALU_DEP_2)
	s_or_b32 exec_lo, exec_lo, s13
	s_waitcnt vmcnt(1)
	v_bfe_u32 v9, v5, 16, 1
	v_cmp_u_f32_e32 vcc_lo, v5, v5
	s_mov_b32 s13, exec_lo
	v_add3_u32 v9, v5, v9, 0x7fff
	s_delay_alu instid0(VALU_DEP_1) | instskip(NEXT) | instid1(VALU_DEP_1)
	v_and_b32_e32 v9, 0xffff0000, v9
	v_cndmask_b32_e64 v5, v9, 0x7fc00000, vcc_lo
	v_and_b32_e32 v9, 0x7fffffff, v9
	s_delay_alu instid0(VALU_DEP_2) | instskip(NEXT) | instid1(VALU_DEP_2)
	v_trunc_f32_e32 v5, v5
	v_cmp_nlg_f32_e64 s2, 0x7f800000, v9
	s_delay_alu instid0(VALU_DEP_2) | instskip(NEXT) | instid1(VALU_DEP_2)
	v_mul_f32_e64 v10, 0x2f800000, |v5|
	s_or_b32 s2, vcc_lo, s2
	s_delay_alu instid0(VALU_DEP_1) | instskip(NEXT) | instid1(VALU_DEP_1)
	v_floor_f32_e32 v10, v10
	v_fma_f32 v14, 0xcf800000, v10, |v5|
	v_ashrrev_i32_e32 v5, 31, v5
	v_cvt_u32_f32_e32 v10, v10
	s_delay_alu instid0(VALU_DEP_3) | instskip(NEXT) | instid1(VALU_DEP_2)
	v_cvt_u32_f32_e32 v14, v14
	v_xor_b32_e32 v10, v10, v5
	s_delay_alu instid0(VALU_DEP_2) | instskip(NEXT) | instid1(VALU_DEP_1)
	v_xor_b32_e32 v14, v14, v5
	v_sub_co_u32 v9, s3, v14, v5
	v_mov_b32_e32 v14, 0
	s_delay_alu instid0(VALU_DEP_4) | instskip(NEXT) | instid1(VALU_DEP_3)
	v_sub_co_ci_u32_e64 v5, s3, v10, v5, s3
	v_cndmask_b32_e64 v9, v9, -1, s2
	s_delay_alu instid0(VALU_DEP_2) | instskip(NEXT) | instid1(VALU_DEP_1)
	v_cndmask_b32_e64 v10, v5, -1, s2
	v_cmpx_lt_i64_e32 -1, v[9:10]
	s_cbranch_execz .LBB55_303
; %bb.292:
	v_mov_b32_e32 v14, 1.0
	s_mov_b32 s14, exec_lo
	v_cmpx_lt_i64_e32 0, v[9:10]
	s_cbranch_execz .LBB55_302
; %bb.293:
	v_lshlrev_b32_e32 v5, 16, v35
                                        ; implicit-def: $vgpr14
	s_mov_b32 s2, exec_lo
	v_cmpx_ne_u64_e32 1, v[9:10]
	s_xor_b32 s16, exec_lo, s2
	s_cbranch_execz .LBB55_299
; %bb.294:
	v_mov_b32_e32 v14, 0x7fc00000
	s_mov_b32 s17, exec_lo
	v_cmpx_gt_u64_e32 0x81, v[9:10]
	s_cbranch_execz .LBB55_298
; %bb.295:
	v_add_f32_e32 v5, v5, v5
	v_lshlrev_b64 v[9:10], 1, v[9:10]
	v_mov_b32_e32 v37, 1.0
	s_mov_b64 s[2:3], 2
	s_mov_b32 s18, 0
	v_mov_b32_e32 v14, v5
	.p2align	6
.LBB55_296:                             ; =>This Inner Loop Header: Depth=1
	s_clz_i32_u32 s19, s3
	s_delay_alu instid0(SALU_CYCLE_1) | instskip(NEXT) | instid1(SALU_CYCLE_1)
	s_min_u32 s19, s19, 32
	s_lshl_b64 s[20:21], s[2:3], s19
	s_sub_i32 s19, 32, s19
	s_min_u32 s20, s20, 1
	s_delay_alu instid0(SALU_CYCLE_1) | instskip(SKIP_3) | instid1(SALU_CYCLE_1)
	s_or_b32 s20, s21, s20
	s_add_u32 s2, s2, 2
	v_cvt_f32_u32_e32 v38, s20
	s_addc_u32 s3, s3, 0
	v_cmp_ge_u64_e32 vcc_lo, s[2:3], v[9:10]
	s_delay_alu instid0(VALU_DEP_2) | instskip(SKIP_1) | instid1(VALU_DEP_1)
	v_ldexp_f32 v38, v38, s19
	s_or_b32 s18, vcc_lo, s18
	v_dual_mul_f32 v38, v37, v38 :: v_dual_mov_b32 v37, v14
	s_delay_alu instid0(VALU_DEP_1)
	v_fma_f32 v14, v5, v14, -v38
	s_and_not1_b32 exec_lo, exec_lo, s18
	s_cbranch_execnz .LBB55_296
; %bb.297:
	s_or_b32 exec_lo, exec_lo, s18
.LBB55_298:
	s_delay_alu instid0(SALU_CYCLE_1)
	s_or_b32 exec_lo, exec_lo, s17
                                        ; implicit-def: $vgpr5
.LBB55_299:
	s_and_not1_saveexec_b32 s2, s16
; %bb.300:
	v_add_f32_e32 v14, v5, v5
; %bb.301:
	s_or_b32 exec_lo, exec_lo, s2
.LBB55_302:
	s_delay_alu instid0(SALU_CYCLE_1)
	s_or_b32 exec_lo, exec_lo, s14
.LBB55_303:
	s_delay_alu instid0(SALU_CYCLE_1) | instskip(SKIP_3) | instid1(VALU_DEP_2)
	s_or_b32 exec_lo, exec_lo, s13
	v_bfe_u32 v5, v6, 16, 1
	v_cmp_u_f32_e32 vcc_lo, v6, v6
	s_mov_b32 s13, exec_lo
	v_add3_u32 v5, v6, v5, 0x7fff
	s_delay_alu instid0(VALU_DEP_1) | instskip(NEXT) | instid1(VALU_DEP_1)
	v_and_b32_e32 v5, 0xffff0000, v5
	v_cndmask_b32_e64 v6, v5, 0x7fc00000, vcc_lo
	v_and_b32_e32 v5, 0x7fffffff, v5
	s_delay_alu instid0(VALU_DEP_2) | instskip(NEXT) | instid1(VALU_DEP_2)
	v_trunc_f32_e32 v6, v6
	v_cmp_nlg_f32_e64 s2, 0x7f800000, v5
	s_delay_alu instid0(VALU_DEP_2) | instskip(NEXT) | instid1(VALU_DEP_2)
	v_mul_f32_e64 v9, 0x2f800000, |v6|
	s_or_b32 s2, vcc_lo, s2
	s_delay_alu instid0(VALU_DEP_1) | instskip(NEXT) | instid1(VALU_DEP_1)
	v_floor_f32_e32 v9, v9
	v_fma_f32 v10, 0xcf800000, v9, |v6|
	v_ashrrev_i32_e32 v6, 31, v6
	v_cvt_u32_f32_e32 v9, v9
	s_delay_alu instid0(VALU_DEP_3) | instskip(NEXT) | instid1(VALU_DEP_2)
	v_cvt_u32_f32_e32 v10, v10
	v_xor_b32_e32 v9, v9, v6
	s_delay_alu instid0(VALU_DEP_2) | instskip(NEXT) | instid1(VALU_DEP_1)
	v_xor_b32_e32 v10, v10, v6
	v_sub_co_u32 v5, s3, v10, v6
	s_delay_alu instid0(VALU_DEP_1) | instskip(SKIP_1) | instid1(VALU_DEP_3)
	v_sub_co_ci_u32_e64 v6, s3, v9, v6, s3
	v_mov_b32_e32 v9, 0
	v_cndmask_b32_e64 v5, v5, -1, s2
	s_delay_alu instid0(VALU_DEP_3) | instskip(NEXT) | instid1(VALU_DEP_1)
	v_cndmask_b32_e64 v6, v6, -1, s2
	v_cmpx_lt_i64_e32 -1, v[5:6]
	s_cbranch_execz .LBB55_315
; %bb.304:
	v_mov_b32_e32 v9, 1.0
	s_mov_b32 s14, exec_lo
	v_cmpx_lt_i64_e32 0, v[5:6]
	s_cbranch_execz .LBB55_314
; %bb.305:
	v_and_b32_e32 v10, 0xffff0000, v35
                                        ; implicit-def: $vgpr9
	s_mov_b32 s2, exec_lo
	v_cmpx_ne_u64_e32 1, v[5:6]
	s_xor_b32 s16, exec_lo, s2
	s_cbranch_execz .LBB55_311
; %bb.306:
	v_mov_b32_e32 v9, 0x7fc00000
	s_mov_b32 s17, exec_lo
	v_cmpx_gt_u64_e32 0x81, v[5:6]
	s_cbranch_execz .LBB55_310
; %bb.307:
	v_dual_add_f32 v10, v10, v10 :: v_dual_mov_b32 v35, 1.0
	v_lshlrev_b64 v[5:6], 1, v[5:6]
	s_mov_b64 s[2:3], 2
	s_mov_b32 s18, 0
	s_delay_alu instid0(VALU_DEP_2)
	v_mov_b32_e32 v9, v10
	.p2align	6
.LBB55_308:                             ; =>This Inner Loop Header: Depth=1
	s_clz_i32_u32 s19, s3
	s_delay_alu instid0(SALU_CYCLE_1) | instskip(NEXT) | instid1(SALU_CYCLE_1)
	s_min_u32 s19, s19, 32
	s_lshl_b64 s[20:21], s[2:3], s19
	s_sub_i32 s19, 32, s19
	s_min_u32 s20, s20, 1
	s_delay_alu instid0(SALU_CYCLE_1) | instskip(SKIP_3) | instid1(SALU_CYCLE_1)
	s_or_b32 s20, s21, s20
	s_add_u32 s2, s2, 2
	v_cvt_f32_u32_e32 v37, s20
	s_addc_u32 s3, s3, 0
	v_cmp_ge_u64_e32 vcc_lo, s[2:3], v[5:6]
	s_delay_alu instid0(VALU_DEP_2) | instskip(SKIP_1) | instid1(VALU_DEP_1)
	v_ldexp_f32 v37, v37, s19
	s_or_b32 s18, vcc_lo, s18
	v_mul_f32_e32 v37, v35, v37
	v_mov_b32_e32 v35, v9
	s_delay_alu instid0(VALU_DEP_2)
	v_fma_f32 v9, v10, v9, -v37
	s_and_not1_b32 exec_lo, exec_lo, s18
	s_cbranch_execnz .LBB55_308
; %bb.309:
	s_or_b32 exec_lo, exec_lo, s18
.LBB55_310:
	s_delay_alu instid0(SALU_CYCLE_1)
	s_or_b32 exec_lo, exec_lo, s17
                                        ; implicit-def: $vgpr10
.LBB55_311:
	s_and_not1_saveexec_b32 s2, s16
; %bb.312:
	v_add_f32_e32 v9, v10, v10
; %bb.313:
	s_or_b32 exec_lo, exec_lo, s2
.LBB55_314:
	s_delay_alu instid0(SALU_CYCLE_1)
	s_or_b32 exec_lo, exec_lo, s14
.LBB55_315:
	s_delay_alu instid0(SALU_CYCLE_1) | instskip(SKIP_3) | instid1(VALU_DEP_2)
	s_or_b32 exec_lo, exec_lo, s13
	v_bfe_u32 v5, v7, 16, 1
	v_cmp_u_f32_e32 vcc_lo, v7, v7
	s_mov_b32 s13, exec_lo
	v_add3_u32 v5, v7, v5, 0x7fff
	s_delay_alu instid0(VALU_DEP_1) | instskip(NEXT) | instid1(VALU_DEP_1)
	v_and_b32_e32 v5, 0xffff0000, v5
	v_cndmask_b32_e64 v6, v5, 0x7fc00000, vcc_lo
	v_and_b32_e32 v5, 0x7fffffff, v5
	s_delay_alu instid0(VALU_DEP_2) | instskip(NEXT) | instid1(VALU_DEP_2)
	v_trunc_f32_e32 v6, v6
	v_cmp_nlg_f32_e64 s2, 0x7f800000, v5
	s_delay_alu instid0(VALU_DEP_2) | instskip(NEXT) | instid1(VALU_DEP_2)
	v_mul_f32_e64 v7, 0x2f800000, |v6|
	s_or_b32 s2, vcc_lo, s2
	s_delay_alu instid0(VALU_DEP_1) | instskip(NEXT) | instid1(VALU_DEP_1)
	v_floor_f32_e32 v7, v7
	v_fma_f32 v10, 0xcf800000, v7, |v6|
	v_ashrrev_i32_e32 v6, 31, v6
	v_cvt_u32_f32_e32 v7, v7
	s_delay_alu instid0(VALU_DEP_3) | instskip(NEXT) | instid1(VALU_DEP_2)
	v_cvt_u32_f32_e32 v10, v10
	v_xor_b32_e32 v7, v7, v6
	s_delay_alu instid0(VALU_DEP_2) | instskip(NEXT) | instid1(VALU_DEP_1)
	v_xor_b32_e32 v10, v10, v6
	v_sub_co_u32 v5, s3, v10, v6
	s_delay_alu instid0(VALU_DEP_1) | instskip(SKIP_1) | instid1(VALU_DEP_3)
	v_sub_co_ci_u32_e64 v6, s3, v7, v6, s3
	v_mov_b32_e32 v7, 0
	v_cndmask_b32_e64 v5, v5, -1, s2
	s_delay_alu instid0(VALU_DEP_3) | instskip(NEXT) | instid1(VALU_DEP_1)
	v_cndmask_b32_e64 v6, v6, -1, s2
	v_cmpx_lt_i64_e32 -1, v[5:6]
	s_cbranch_execz .LBB55_327
; %bb.316:
	v_mov_b32_e32 v7, 1.0
	s_mov_b32 s14, exec_lo
	v_cmpx_lt_i64_e32 0, v[5:6]
	s_cbranch_execz .LBB55_326
; %bb.317:
	v_lshlrev_b32_e32 v10, 16, v36
                                        ; implicit-def: $vgpr7
	s_mov_b32 s2, exec_lo
	v_cmpx_ne_u64_e32 1, v[5:6]
	s_xor_b32 s16, exec_lo, s2
	s_cbranch_execz .LBB55_323
; %bb.318:
	v_mov_b32_e32 v7, 0x7fc00000
	s_mov_b32 s17, exec_lo
	v_cmpx_gt_u64_e32 0x81, v[5:6]
	s_cbranch_execz .LBB55_322
; %bb.319:
	v_dual_add_f32 v10, v10, v10 :: v_dual_mov_b32 v35, 1.0
	v_lshlrev_b64 v[5:6], 1, v[5:6]
	s_mov_b64 s[2:3], 2
	s_mov_b32 s18, 0
	s_delay_alu instid0(VALU_DEP_2)
	v_mov_b32_e32 v7, v10
	.p2align	6
.LBB55_320:                             ; =>This Inner Loop Header: Depth=1
	s_clz_i32_u32 s19, s3
	s_delay_alu instid0(SALU_CYCLE_1) | instskip(NEXT) | instid1(SALU_CYCLE_1)
	s_min_u32 s19, s19, 32
	s_lshl_b64 s[20:21], s[2:3], s19
	s_sub_i32 s19, 32, s19
	s_min_u32 s20, s20, 1
	s_delay_alu instid0(SALU_CYCLE_1) | instskip(SKIP_3) | instid1(SALU_CYCLE_1)
	s_or_b32 s20, s21, s20
	s_add_u32 s2, s2, 2
	v_cvt_f32_u32_e32 v37, s20
	s_addc_u32 s3, s3, 0
	v_cmp_ge_u64_e32 vcc_lo, s[2:3], v[5:6]
	s_delay_alu instid0(VALU_DEP_2) | instskip(SKIP_1) | instid1(VALU_DEP_1)
	v_ldexp_f32 v37, v37, s19
	s_or_b32 s18, vcc_lo, s18
	v_mul_f32_e32 v37, v35, v37
	v_mov_b32_e32 v35, v7
	s_delay_alu instid0(VALU_DEP_2)
	v_fma_f32 v7, v10, v7, -v37
	s_and_not1_b32 exec_lo, exec_lo, s18
	s_cbranch_execnz .LBB55_320
; %bb.321:
	s_or_b32 exec_lo, exec_lo, s18
.LBB55_322:
	s_delay_alu instid0(SALU_CYCLE_1)
	s_or_b32 exec_lo, exec_lo, s17
                                        ; implicit-def: $vgpr10
.LBB55_323:
	s_and_not1_saveexec_b32 s2, s16
; %bb.324:
	v_add_f32_e32 v7, v10, v10
; %bb.325:
	s_or_b32 exec_lo, exec_lo, s2
.LBB55_326:
	s_delay_alu instid0(SALU_CYCLE_1)
	s_or_b32 exec_lo, exec_lo, s14
.LBB55_327:
	s_delay_alu instid0(SALU_CYCLE_1) | instskip(SKIP_3) | instid1(VALU_DEP_2)
	s_or_b32 exec_lo, exec_lo, s13
	v_bfe_u32 v5, v8, 16, 1
	v_cmp_u_f32_e32 vcc_lo, v8, v8
	s_mov_b32 s13, exec_lo
	v_add3_u32 v5, v8, v5, 0x7fff
	s_delay_alu instid0(VALU_DEP_1) | instskip(NEXT) | instid1(VALU_DEP_1)
	v_and_b32_e32 v5, 0xffff0000, v5
	v_cndmask_b32_e64 v6, v5, 0x7fc00000, vcc_lo
	v_and_b32_e32 v5, 0x7fffffff, v5
	s_delay_alu instid0(VALU_DEP_2) | instskip(NEXT) | instid1(VALU_DEP_2)
	v_trunc_f32_e32 v6, v6
	v_cmp_nlg_f32_e64 s2, 0x7f800000, v5
	s_delay_alu instid0(VALU_DEP_2) | instskip(NEXT) | instid1(VALU_DEP_2)
	v_mul_f32_e64 v8, 0x2f800000, |v6|
	s_or_b32 s2, vcc_lo, s2
	s_delay_alu instid0(VALU_DEP_1) | instskip(NEXT) | instid1(VALU_DEP_1)
	v_floor_f32_e32 v8, v8
	v_fma_f32 v10, 0xcf800000, v8, |v6|
	v_ashrrev_i32_e32 v6, 31, v6
	v_cvt_u32_f32_e32 v8, v8
	s_delay_alu instid0(VALU_DEP_3) | instskip(NEXT) | instid1(VALU_DEP_2)
	v_cvt_u32_f32_e32 v10, v10
	v_xor_b32_e32 v8, v8, v6
	s_delay_alu instid0(VALU_DEP_2) | instskip(NEXT) | instid1(VALU_DEP_1)
	v_xor_b32_e32 v10, v10, v6
	v_sub_co_u32 v5, s3, v10, v6
	s_delay_alu instid0(VALU_DEP_1) | instskip(SKIP_1) | instid1(VALU_DEP_3)
	v_sub_co_ci_u32_e64 v6, s3, v8, v6, s3
	v_mov_b32_e32 v8, 0
	v_cndmask_b32_e64 v5, v5, -1, s2
	s_delay_alu instid0(VALU_DEP_3) | instskip(NEXT) | instid1(VALU_DEP_1)
	v_cndmask_b32_e64 v6, v6, -1, s2
	v_cmpx_lt_i64_e32 -1, v[5:6]
	s_cbranch_execz .LBB55_339
; %bb.328:
	v_mov_b32_e32 v8, 1.0
	s_mov_b32 s14, exec_lo
	v_cmpx_lt_i64_e32 0, v[5:6]
	s_cbranch_execz .LBB55_338
; %bb.329:
	v_and_b32_e32 v10, 0xffff0000, v36
                                        ; implicit-def: $vgpr8
	s_mov_b32 s2, exec_lo
	v_cmpx_ne_u64_e32 1, v[5:6]
	s_xor_b32 s16, exec_lo, s2
	s_cbranch_execz .LBB55_335
; %bb.330:
	v_mov_b32_e32 v8, 0x7fc00000
	s_mov_b32 s17, exec_lo
	v_cmpx_gt_u64_e32 0x81, v[5:6]
	s_cbranch_execz .LBB55_334
; %bb.331:
	v_dual_add_f32 v10, v10, v10 :: v_dual_mov_b32 v35, 1.0
	v_lshlrev_b64 v[5:6], 1, v[5:6]
	s_mov_b64 s[2:3], 2
	s_mov_b32 s18, 0
	s_delay_alu instid0(VALU_DEP_2)
	v_mov_b32_e32 v8, v10
	.p2align	6
.LBB55_332:                             ; =>This Inner Loop Header: Depth=1
	s_clz_i32_u32 s19, s3
	s_delay_alu instid0(SALU_CYCLE_1) | instskip(NEXT) | instid1(SALU_CYCLE_1)
	s_min_u32 s19, s19, 32
	s_lshl_b64 s[20:21], s[2:3], s19
	s_sub_i32 s19, 32, s19
	s_min_u32 s20, s20, 1
	s_delay_alu instid0(SALU_CYCLE_1) | instskip(SKIP_3) | instid1(SALU_CYCLE_1)
	s_or_b32 s20, s21, s20
	s_add_u32 s2, s2, 2
	v_cvt_f32_u32_e32 v36, s20
	s_addc_u32 s3, s3, 0
	v_cmp_ge_u64_e32 vcc_lo, s[2:3], v[5:6]
	s_delay_alu instid0(VALU_DEP_2) | instskip(SKIP_1) | instid1(VALU_DEP_1)
	v_ldexp_f32 v36, v36, s19
	s_or_b32 s18, vcc_lo, s18
	v_dual_mul_f32 v36, v35, v36 :: v_dual_mov_b32 v35, v8
	s_delay_alu instid0(VALU_DEP_1)
	v_fma_f32 v8, v10, v8, -v36
	s_and_not1_b32 exec_lo, exec_lo, s18
	s_cbranch_execnz .LBB55_332
; %bb.333:
	s_or_b32 exec_lo, exec_lo, s18
.LBB55_334:
	s_delay_alu instid0(SALU_CYCLE_1)
	s_or_b32 exec_lo, exec_lo, s17
                                        ; implicit-def: $vgpr10
.LBB55_335:
	s_and_not1_saveexec_b32 s2, s16
; %bb.336:
	v_add_f32_e32 v8, v10, v10
; %bb.337:
	s_or_b32 exec_lo, exec_lo, s2
.LBB55_338:
	s_delay_alu instid0(SALU_CYCLE_1)
	s_or_b32 exec_lo, exec_lo, s14
.LBB55_339:
	s_delay_alu instid0(SALU_CYCLE_1) | instskip(SKIP_4) | instid1(VALU_DEP_2)
	s_or_b32 exec_lo, exec_lo, s13
	s_waitcnt vmcnt(0)
	v_bfe_u32 v5, v1, 16, 1
	v_cmp_u_f32_e32 vcc_lo, v1, v1
	s_mov_b32 s13, exec_lo
	v_add3_u32 v5, v1, v5, 0x7fff
	s_delay_alu instid0(VALU_DEP_1) | instskip(NEXT) | instid1(VALU_DEP_1)
	v_and_b32_e32 v5, 0xffff0000, v5
	v_cndmask_b32_e64 v1, v5, 0x7fc00000, vcc_lo
	v_and_b32_e32 v5, 0x7fffffff, v5
	s_delay_alu instid0(VALU_DEP_2) | instskip(NEXT) | instid1(VALU_DEP_2)
	v_trunc_f32_e32 v1, v1
	v_cmp_nlg_f32_e64 s2, 0x7f800000, v5
	s_delay_alu instid0(VALU_DEP_2) | instskip(NEXT) | instid1(VALU_DEP_2)
	v_mul_f32_e64 v6, 0x2f800000, |v1|
	s_or_b32 s2, vcc_lo, s2
	s_delay_alu instid0(VALU_DEP_1) | instskip(NEXT) | instid1(VALU_DEP_1)
	v_floor_f32_e32 v6, v6
	v_fma_f32 v10, 0xcf800000, v6, |v1|
	v_ashrrev_i32_e32 v1, 31, v1
	v_cvt_u32_f32_e32 v6, v6
	s_delay_alu instid0(VALU_DEP_3) | instskip(NEXT) | instid1(VALU_DEP_2)
	v_cvt_u32_f32_e32 v10, v10
	v_xor_b32_e32 v6, v6, v1
	s_delay_alu instid0(VALU_DEP_2) | instskip(NEXT) | instid1(VALU_DEP_1)
	v_xor_b32_e32 v10, v10, v1
	v_sub_co_u32 v5, s3, v10, v1
	v_mov_b32_e32 v10, 0
	s_delay_alu instid0(VALU_DEP_4) | instskip(NEXT) | instid1(VALU_DEP_3)
	v_sub_co_ci_u32_e64 v1, s3, v6, v1, s3
	v_cndmask_b32_e64 v5, v5, -1, s2
	s_delay_alu instid0(VALU_DEP_2) | instskip(NEXT) | instid1(VALU_DEP_1)
	v_cndmask_b32_e64 v6, v1, -1, s2
	v_cmpx_lt_i64_e32 -1, v[5:6]
	s_cbranch_execz .LBB55_351
; %bb.340:
	v_mov_b32_e32 v10, 1.0
	s_mov_b32 s14, exec_lo
	v_cmpx_lt_i64_e32 0, v[5:6]
	s_cbranch_execz .LBB55_350
; %bb.341:
	v_lshlrev_b32_e32 v1, 16, v33
                                        ; implicit-def: $vgpr10
	s_mov_b32 s2, exec_lo
	v_cmpx_ne_u64_e32 1, v[5:6]
	s_xor_b32 s16, exec_lo, s2
	s_cbranch_execz .LBB55_347
; %bb.342:
	v_mov_b32_e32 v10, 0x7fc00000
	s_mov_b32 s17, exec_lo
	v_cmpx_gt_u64_e32 0x81, v[5:6]
	s_cbranch_execz .LBB55_346
; %bb.343:
	v_add_f32_e32 v1, v1, v1
	v_lshlrev_b64 v[5:6], 1, v[5:6]
	v_mov_b32_e32 v35, 1.0
	s_mov_b64 s[2:3], 2
	s_mov_b32 s18, 0
	v_mov_b32_e32 v10, v1
	.p2align	6
.LBB55_344:                             ; =>This Inner Loop Header: Depth=1
	s_clz_i32_u32 s19, s3
	s_delay_alu instid0(SALU_CYCLE_1) | instskip(NEXT) | instid1(SALU_CYCLE_1)
	s_min_u32 s19, s19, 32
	s_lshl_b64 s[20:21], s[2:3], s19
	s_sub_i32 s19, 32, s19
	s_min_u32 s20, s20, 1
	s_delay_alu instid0(SALU_CYCLE_1) | instskip(SKIP_3) | instid1(SALU_CYCLE_1)
	s_or_b32 s20, s21, s20
	s_add_u32 s2, s2, 2
	v_cvt_f32_u32_e32 v36, s20
	s_addc_u32 s3, s3, 0
	v_cmp_ge_u64_e32 vcc_lo, s[2:3], v[5:6]
	s_delay_alu instid0(VALU_DEP_2) | instskip(SKIP_1) | instid1(VALU_DEP_1)
	v_ldexp_f32 v36, v36, s19
	s_or_b32 s18, vcc_lo, s18
	v_dual_mul_f32 v36, v35, v36 :: v_dual_mov_b32 v35, v10
	s_delay_alu instid0(VALU_DEP_1)
	v_fma_f32 v10, v1, v10, -v36
	s_and_not1_b32 exec_lo, exec_lo, s18
	s_cbranch_execnz .LBB55_344
; %bb.345:
	s_or_b32 exec_lo, exec_lo, s18
.LBB55_346:
	s_delay_alu instid0(SALU_CYCLE_1)
	s_or_b32 exec_lo, exec_lo, s17
                                        ; implicit-def: $vgpr1
.LBB55_347:
	s_and_not1_saveexec_b32 s2, s16
; %bb.348:
	v_add_f32_e32 v10, v1, v1
; %bb.349:
	s_or_b32 exec_lo, exec_lo, s2
.LBB55_350:
	s_delay_alu instid0(SALU_CYCLE_1)
	s_or_b32 exec_lo, exec_lo, s14
.LBB55_351:
	s_delay_alu instid0(SALU_CYCLE_1) | instskip(SKIP_3) | instid1(VALU_DEP_2)
	s_or_b32 exec_lo, exec_lo, s13
	v_bfe_u32 v1, v2, 16, 1
	v_cmp_u_f32_e32 vcc_lo, v2, v2
	s_mov_b32 s13, exec_lo
	v_add3_u32 v1, v2, v1, 0x7fff
	s_delay_alu instid0(VALU_DEP_1) | instskip(NEXT) | instid1(VALU_DEP_1)
	v_and_b32_e32 v1, 0xffff0000, v1
	v_cndmask_b32_e64 v2, v1, 0x7fc00000, vcc_lo
	v_and_b32_e32 v1, 0x7fffffff, v1
	s_delay_alu instid0(VALU_DEP_2) | instskip(NEXT) | instid1(VALU_DEP_2)
	v_trunc_f32_e32 v2, v2
	v_cmp_nlg_f32_e64 s2, 0x7f800000, v1
	s_delay_alu instid0(VALU_DEP_2) | instskip(NEXT) | instid1(VALU_DEP_2)
	v_mul_f32_e64 v5, 0x2f800000, |v2|
	s_or_b32 s2, vcc_lo, s2
	s_delay_alu instid0(VALU_DEP_1) | instskip(NEXT) | instid1(VALU_DEP_1)
	v_floor_f32_e32 v5, v5
	v_fma_f32 v6, 0xcf800000, v5, |v2|
	v_ashrrev_i32_e32 v2, 31, v2
	v_cvt_u32_f32_e32 v5, v5
	s_delay_alu instid0(VALU_DEP_3) | instskip(NEXT) | instid1(VALU_DEP_2)
	v_cvt_u32_f32_e32 v6, v6
	v_xor_b32_e32 v5, v5, v2
	s_delay_alu instid0(VALU_DEP_2) | instskip(NEXT) | instid1(VALU_DEP_1)
	v_xor_b32_e32 v6, v6, v2
	v_sub_co_u32 v1, s3, v6, v2
	s_delay_alu instid0(VALU_DEP_1) | instskip(SKIP_1) | instid1(VALU_DEP_3)
	v_sub_co_ci_u32_e64 v2, s3, v5, v2, s3
	v_mov_b32_e32 v5, 0
	v_cndmask_b32_e64 v1, v1, -1, s2
	s_delay_alu instid0(VALU_DEP_3) | instskip(NEXT) | instid1(VALU_DEP_1)
	v_cndmask_b32_e64 v2, v2, -1, s2
	v_cmpx_lt_i64_e32 -1, v[1:2]
	s_cbranch_execz .LBB55_363
; %bb.352:
	v_mov_b32_e32 v5, 1.0
	s_mov_b32 s14, exec_lo
	v_cmpx_lt_i64_e32 0, v[1:2]
	s_cbranch_execz .LBB55_362
; %bb.353:
	v_and_b32_e32 v6, 0xffff0000, v33
                                        ; implicit-def: $vgpr5
	s_mov_b32 s2, exec_lo
	v_cmpx_ne_u64_e32 1, v[1:2]
	s_xor_b32 s16, exec_lo, s2
	s_cbranch_execz .LBB55_359
; %bb.354:
	v_mov_b32_e32 v5, 0x7fc00000
	s_mov_b32 s17, exec_lo
	v_cmpx_gt_u64_e32 0x81, v[1:2]
	s_cbranch_execz .LBB55_358
; %bb.355:
	v_dual_add_f32 v6, v6, v6 :: v_dual_mov_b32 v33, 1.0
	v_lshlrev_b64 v[1:2], 1, v[1:2]
	s_mov_b64 s[2:3], 2
	s_mov_b32 s18, 0
	s_delay_alu instid0(VALU_DEP_2)
	v_mov_b32_e32 v5, v6
	.p2align	6
.LBB55_356:                             ; =>This Inner Loop Header: Depth=1
	s_clz_i32_u32 s19, s3
	s_delay_alu instid0(SALU_CYCLE_1) | instskip(NEXT) | instid1(SALU_CYCLE_1)
	s_min_u32 s19, s19, 32
	s_lshl_b64 s[20:21], s[2:3], s19
	s_sub_i32 s19, 32, s19
	s_min_u32 s20, s20, 1
	s_delay_alu instid0(SALU_CYCLE_1) | instskip(SKIP_3) | instid1(SALU_CYCLE_1)
	s_or_b32 s20, s21, s20
	s_add_u32 s2, s2, 2
	v_cvt_f32_u32_e32 v35, s20
	s_addc_u32 s3, s3, 0
	v_cmp_ge_u64_e32 vcc_lo, s[2:3], v[1:2]
	s_delay_alu instid0(VALU_DEP_2) | instskip(SKIP_1) | instid1(VALU_DEP_1)
	v_ldexp_f32 v35, v35, s19
	s_or_b32 s18, vcc_lo, s18
	v_mul_f32_e32 v35, v33, v35
	v_mov_b32_e32 v33, v5
	s_delay_alu instid0(VALU_DEP_2)
	v_fma_f32 v5, v6, v5, -v35
	s_and_not1_b32 exec_lo, exec_lo, s18
	s_cbranch_execnz .LBB55_356
; %bb.357:
	s_or_b32 exec_lo, exec_lo, s18
.LBB55_358:
	s_delay_alu instid0(SALU_CYCLE_1)
	s_or_b32 exec_lo, exec_lo, s17
                                        ; implicit-def: $vgpr6
.LBB55_359:
	s_and_not1_saveexec_b32 s2, s16
; %bb.360:
	v_add_f32_e32 v5, v6, v6
; %bb.361:
	s_or_b32 exec_lo, exec_lo, s2
.LBB55_362:
	s_delay_alu instid0(SALU_CYCLE_1)
	s_or_b32 exec_lo, exec_lo, s14
.LBB55_363:
	s_delay_alu instid0(SALU_CYCLE_1) | instskip(SKIP_3) | instid1(VALU_DEP_2)
	s_or_b32 exec_lo, exec_lo, s13
	v_bfe_u32 v1, v3, 16, 1
	v_cmp_u_f32_e32 vcc_lo, v3, v3
	s_mov_b32 s13, exec_lo
	v_add3_u32 v1, v3, v1, 0x7fff
	s_delay_alu instid0(VALU_DEP_1) | instskip(NEXT) | instid1(VALU_DEP_1)
	v_and_b32_e32 v1, 0xffff0000, v1
	v_cndmask_b32_e64 v2, v1, 0x7fc00000, vcc_lo
	v_and_b32_e32 v1, 0x7fffffff, v1
	s_delay_alu instid0(VALU_DEP_2) | instskip(NEXT) | instid1(VALU_DEP_2)
	v_trunc_f32_e32 v2, v2
	v_cmp_nlg_f32_e64 s2, 0x7f800000, v1
	s_delay_alu instid0(VALU_DEP_2) | instskip(NEXT) | instid1(VALU_DEP_2)
	v_mul_f32_e64 v3, 0x2f800000, |v2|
	s_or_b32 s2, vcc_lo, s2
	s_delay_alu instid0(VALU_DEP_1) | instskip(NEXT) | instid1(VALU_DEP_1)
	v_floor_f32_e32 v3, v3
	v_fma_f32 v6, 0xcf800000, v3, |v2|
	v_ashrrev_i32_e32 v2, 31, v2
	v_cvt_u32_f32_e32 v3, v3
	s_delay_alu instid0(VALU_DEP_3) | instskip(NEXT) | instid1(VALU_DEP_2)
	v_cvt_u32_f32_e32 v6, v6
	v_xor_b32_e32 v3, v3, v2
	s_delay_alu instid0(VALU_DEP_2) | instskip(NEXT) | instid1(VALU_DEP_1)
	v_xor_b32_e32 v6, v6, v2
	v_sub_co_u32 v1, s3, v6, v2
	s_delay_alu instid0(VALU_DEP_1) | instskip(SKIP_1) | instid1(VALU_DEP_3)
	v_sub_co_ci_u32_e64 v2, s3, v3, v2, s3
	v_mov_b32_e32 v3, 0
	v_cndmask_b32_e64 v1, v1, -1, s2
	s_delay_alu instid0(VALU_DEP_3) | instskip(NEXT) | instid1(VALU_DEP_1)
	v_cndmask_b32_e64 v2, v2, -1, s2
	v_cmpx_lt_i64_e32 -1, v[1:2]
	s_cbranch_execz .LBB55_375
; %bb.364:
	v_mov_b32_e32 v3, 1.0
	s_mov_b32 s14, exec_lo
	v_cmpx_lt_i64_e32 0, v[1:2]
	s_cbranch_execz .LBB55_374
; %bb.365:
	v_lshlrev_b32_e32 v6, 16, v34
                                        ; implicit-def: $vgpr3
	s_mov_b32 s2, exec_lo
	v_cmpx_ne_u64_e32 1, v[1:2]
	s_xor_b32 s16, exec_lo, s2
	s_cbranch_execz .LBB55_371
; %bb.366:
	v_mov_b32_e32 v3, 0x7fc00000
	s_mov_b32 s17, exec_lo
	v_cmpx_gt_u64_e32 0x81, v[1:2]
	s_cbranch_execz .LBB55_370
; %bb.367:
	v_dual_add_f32 v6, v6, v6 :: v_dual_mov_b32 v33, 1.0
	v_lshlrev_b64 v[1:2], 1, v[1:2]
	s_mov_b64 s[2:3], 2
	s_mov_b32 s18, 0
	s_delay_alu instid0(VALU_DEP_2)
	v_mov_b32_e32 v3, v6
	.p2align	6
.LBB55_368:                             ; =>This Inner Loop Header: Depth=1
	s_clz_i32_u32 s19, s3
	s_delay_alu instid0(SALU_CYCLE_1) | instskip(NEXT) | instid1(SALU_CYCLE_1)
	s_min_u32 s19, s19, 32
	s_lshl_b64 s[20:21], s[2:3], s19
	s_sub_i32 s19, 32, s19
	s_min_u32 s20, s20, 1
	s_delay_alu instid0(SALU_CYCLE_1) | instskip(SKIP_3) | instid1(SALU_CYCLE_1)
	s_or_b32 s20, s21, s20
	s_add_u32 s2, s2, 2
	v_cvt_f32_u32_e32 v35, s20
	s_addc_u32 s3, s3, 0
	v_cmp_ge_u64_e32 vcc_lo, s[2:3], v[1:2]
	s_delay_alu instid0(VALU_DEP_2) | instskip(SKIP_1) | instid1(VALU_DEP_1)
	v_ldexp_f32 v35, v35, s19
	s_or_b32 s18, vcc_lo, s18
	v_mul_f32_e32 v35, v33, v35
	v_mov_b32_e32 v33, v3
	s_delay_alu instid0(VALU_DEP_2)
	v_fma_f32 v3, v6, v3, -v35
	s_and_not1_b32 exec_lo, exec_lo, s18
	s_cbranch_execnz .LBB55_368
; %bb.369:
	s_or_b32 exec_lo, exec_lo, s18
.LBB55_370:
	s_delay_alu instid0(SALU_CYCLE_1)
	s_or_b32 exec_lo, exec_lo, s17
                                        ; implicit-def: $vgpr6
.LBB55_371:
	s_and_not1_saveexec_b32 s2, s16
; %bb.372:
	v_add_f32_e32 v3, v6, v6
; %bb.373:
	s_or_b32 exec_lo, exec_lo, s2
.LBB55_374:
	s_delay_alu instid0(SALU_CYCLE_1)
	s_or_b32 exec_lo, exec_lo, s14
.LBB55_375:
	s_delay_alu instid0(SALU_CYCLE_1) | instskip(SKIP_3) | instid1(VALU_DEP_2)
	s_or_b32 exec_lo, exec_lo, s13
	v_bfe_u32 v1, v4, 16, 1
	v_cmp_u_f32_e32 vcc_lo, v4, v4
	s_mov_b32 s13, exec_lo
	v_add3_u32 v1, v4, v1, 0x7fff
	s_delay_alu instid0(VALU_DEP_1) | instskip(NEXT) | instid1(VALU_DEP_1)
	v_and_b32_e32 v1, 0xffff0000, v1
	v_cndmask_b32_e64 v2, v1, 0x7fc00000, vcc_lo
	v_and_b32_e32 v1, 0x7fffffff, v1
	s_delay_alu instid0(VALU_DEP_2) | instskip(NEXT) | instid1(VALU_DEP_2)
	v_trunc_f32_e32 v2, v2
	v_cmp_nlg_f32_e64 s2, 0x7f800000, v1
	s_delay_alu instid0(VALU_DEP_2) | instskip(NEXT) | instid1(VALU_DEP_2)
	v_mul_f32_e64 v4, 0x2f800000, |v2|
	s_or_b32 s2, vcc_lo, s2
	s_delay_alu instid0(VALU_DEP_1) | instskip(NEXT) | instid1(VALU_DEP_1)
	v_floor_f32_e32 v4, v4
	v_fma_f32 v6, 0xcf800000, v4, |v2|
	v_ashrrev_i32_e32 v2, 31, v2
	v_cvt_u32_f32_e32 v4, v4
	s_delay_alu instid0(VALU_DEP_3) | instskip(NEXT) | instid1(VALU_DEP_2)
	v_cvt_u32_f32_e32 v6, v6
	v_xor_b32_e32 v4, v4, v2
	s_delay_alu instid0(VALU_DEP_2) | instskip(NEXT) | instid1(VALU_DEP_1)
	v_xor_b32_e32 v6, v6, v2
	v_sub_co_u32 v1, s3, v6, v2
	s_delay_alu instid0(VALU_DEP_1) | instskip(SKIP_1) | instid1(VALU_DEP_3)
	v_sub_co_ci_u32_e64 v2, s3, v4, v2, s3
	v_mov_b32_e32 v4, 0
	v_cndmask_b32_e64 v1, v1, -1, s2
	s_delay_alu instid0(VALU_DEP_3) | instskip(NEXT) | instid1(VALU_DEP_1)
	v_cndmask_b32_e64 v2, v2, -1, s2
	v_cmpx_lt_i64_e32 -1, v[1:2]
	s_cbranch_execz .LBB55_387
; %bb.376:
	v_mov_b32_e32 v4, 1.0
	s_mov_b32 s14, exec_lo
	v_cmpx_lt_i64_e32 0, v[1:2]
	s_cbranch_execz .LBB55_386
; %bb.377:
	v_and_b32_e32 v6, 0xffff0000, v34
                                        ; implicit-def: $vgpr4
	s_mov_b32 s2, exec_lo
	v_cmpx_ne_u64_e32 1, v[1:2]
	s_xor_b32 s16, exec_lo, s2
	s_cbranch_execz .LBB55_383
; %bb.378:
	v_mov_b32_e32 v4, 0x7fc00000
	s_mov_b32 s17, exec_lo
	v_cmpx_gt_u64_e32 0x81, v[1:2]
	s_cbranch_execz .LBB55_382
; %bb.379:
	v_dual_add_f32 v6, v6, v6 :: v_dual_mov_b32 v33, 1.0
	v_lshlrev_b64 v[1:2], 1, v[1:2]
	s_mov_b64 s[2:3], 2
	s_mov_b32 s18, 0
	s_delay_alu instid0(VALU_DEP_2)
	v_mov_b32_e32 v4, v6
	.p2align	6
.LBB55_380:                             ; =>This Inner Loop Header: Depth=1
	s_clz_i32_u32 s19, s3
	s_delay_alu instid0(SALU_CYCLE_1) | instskip(NEXT) | instid1(SALU_CYCLE_1)
	s_min_u32 s19, s19, 32
	s_lshl_b64 s[20:21], s[2:3], s19
	s_sub_i32 s19, 32, s19
	s_min_u32 s20, s20, 1
	s_delay_alu instid0(SALU_CYCLE_1) | instskip(SKIP_3) | instid1(SALU_CYCLE_1)
	s_or_b32 s20, s21, s20
	s_add_u32 s2, s2, 2
	v_cvt_f32_u32_e32 v34, s20
	s_addc_u32 s3, s3, 0
	v_cmp_ge_u64_e32 vcc_lo, s[2:3], v[1:2]
	s_delay_alu instid0(VALU_DEP_2) | instskip(SKIP_1) | instid1(VALU_DEP_1)
	v_ldexp_f32 v34, v34, s19
	s_or_b32 s18, vcc_lo, s18
	v_dual_mul_f32 v34, v33, v34 :: v_dual_mov_b32 v33, v4
	s_delay_alu instid0(VALU_DEP_1)
	v_fma_f32 v4, v6, v4, -v34
	s_and_not1_b32 exec_lo, exec_lo, s18
	s_cbranch_execnz .LBB55_380
; %bb.381:
	s_or_b32 exec_lo, exec_lo, s18
.LBB55_382:
	s_delay_alu instid0(SALU_CYCLE_1)
	s_or_b32 exec_lo, exec_lo, s17
                                        ; implicit-def: $vgpr6
.LBB55_383:
	s_and_not1_saveexec_b32 s2, s16
; %bb.384:
	v_add_f32_e32 v4, v6, v6
; %bb.385:
	s_or_b32 exec_lo, exec_lo, s2
.LBB55_386:
	s_delay_alu instid0(SALU_CYCLE_1)
	s_or_b32 exec_lo, exec_lo, s14
.LBB55_387:
	s_delay_alu instid0(SALU_CYCLE_1)
	s_or_b32 exec_lo, exec_lo, s13
	v_bfe_u32 v2, v49, 16, 1
	v_bfe_u32 v1, v55, 16, 1
	;; [unrolled: 1-line block ×3, first 2 shown]
	v_cmp_o_f32_e32 vcc_lo, v49, v49
	v_bfe_u32 v6, v31, 16, 1
	v_add3_u32 v2, v49, v2, 0x7fff
	v_add3_u32 v1, v55, v1, 0x7fff
	;; [unrolled: 1-line block ×3, first 2 shown]
	v_bfe_u32 v37, v28, 16, 1
	v_add3_u32 v6, v31, v6, 0x7fff
	v_and_b32_e32 v2, 0xffff0000, v2
	v_lshrrev_b32_e32 v1, 16, v1
	v_and_b32_e32 v33, 0xffff0000, v33
	v_bfe_u32 v36, v27, 16, 1
	v_lshrrev_b32_e32 v6, 16, v6
	v_cndmask_b32_e32 v2, 0x7fc00000, v2, vcc_lo
	v_cmp_o_f32_e32 vcc_lo, v55, v55
	s_add_u32 s2, s4, s8
	s_addc_u32 s3, s5, s9
	v_add_co_u32 v34, s9, s2, v51
	v_cndmask_b32_e32 v1, 0x7fc0, v1, vcc_lo
	v_cmp_o_f32_e32 vcc_lo, v32, v32
	v_add_co_ci_u32_e64 v35, null, s3, 0, s9
	s_delay_alu instid0(VALU_DEP_3)
	v_or_b32_e32 v1, v2, v1
	v_cndmask_b32_e32 v32, 0x7fc00000, v33, vcc_lo
	v_cmp_o_f32_e32 vcc_lo, v31, v31
	v_bfe_u32 v31, v29, 16, 1
	v_bfe_u32 v33, v47, 16, 1
	v_or3_b32 v1, v1, 0, 0
	v_cndmask_b32_e32 v6, 0x7fc0, v6, vcc_lo
	v_cmp_o_f32_e32 vcc_lo, v29, v29
	s_delay_alu instid0(VALU_DEP_2) | instskip(SKIP_4) | instid1(VALU_DEP_4)
	v_or3_b32 v2, 0, v6, v32
	v_add3_u32 v6, v29, v31, 0x7fff
	v_add3_u32 v31, v47, v33, 0x7fff
	;; [unrolled: 1-line block ×4, first 2 shown]
	v_and_b32_e32 v6, 0xffff0000, v6
	s_delay_alu instid0(VALU_DEP_4) | instskip(NEXT) | instid1(VALU_DEP_4)
	v_lshrrev_b32_e32 v31, 16, v31
	v_and_b32_e32 v33, 0xffff0000, v33
	s_delay_alu instid0(VALU_DEP_4) | instskip(NEXT) | instid1(VALU_DEP_4)
	v_lshrrev_b32_e32 v32, 16, v32
	v_cndmask_b32_e32 v6, 0x7fc00000, v6, vcc_lo
	v_cmp_o_f32_e32 vcc_lo, v47, v47
	v_cndmask_b32_e32 v29, 0x7fc0, v31, vcc_lo
	v_cmp_o_f32_e32 vcc_lo, v28, v28
	v_bfe_u32 v31, v30, 16, 1
	s_delay_alu instid0(VALU_DEP_3)
	v_or_b32_e32 v6, v6, v29
	v_cndmask_b32_e32 v28, 0x7fc00000, v33, vcc_lo
	v_cmp_o_f32_e32 vcc_lo, v27, v27
	v_bfe_u32 v29, v24, 16, 1
	v_bfe_u32 v33, v25, 16, 1
	v_add3_u32 v31, v30, v31, 0x7fff
	v_cndmask_b32_e32 v27, 0x7fc0, v32, vcc_lo
	v_bfe_u32 v32, v23, 16, 1
	v_add3_u32 v29, v24, v29, 0x7fff
	v_cmp_o_f32_e32 vcc_lo, v24, v24
	v_add3_u32 v33, v25, v33, 0x7fff
	v_or3_b32 v28, 0, v27, v28
	v_add3_u32 v32, v23, v32, 0x7fff
	v_or3_b32 v27, v6, 0, 0
	v_and_b32_e32 v6, 0xffff0000, v29
	v_lshrrev_b32_e32 v29, 16, v31
	s_delay_alu instid0(VALU_DEP_4) | instskip(SKIP_1) | instid1(VALU_DEP_4)
	v_lshrrev_b32_e32 v31, 16, v32
	v_and_b32_e32 v32, 0xffff0000, v33
	v_cndmask_b32_e32 v6, 0x7fc00000, v6, vcc_lo
	v_cmp_o_f32_e32 vcc_lo, v23, v23
	v_bfe_u32 v33, v19, 16, 1
	v_cndmask_b32_e32 v23, 0x7fc0, v31, vcc_lo
	v_cmp_o_f32_e32 vcc_lo, v25, v25
	v_bfe_u32 v31, v20, 16, 1
	v_bfe_u32 v25, v26, 16, 1
	v_cndmask_b32_e32 v24, 0x7fc00000, v32, vcc_lo
	v_cmp_o_f32_e32 vcc_lo, v30, v30
	v_bfe_u32 v32, v21, 16, 1
	v_add3_u32 v30, v20, v31, 0x7fff
	v_add3_u32 v31, v19, v33, 0x7fff
	;; [unrolled: 1-line block ×3, first 2 shown]
	v_cndmask_b32_e32 v29, 0x7fc0, v29, vcc_lo
	v_add3_u32 v32, v21, v32, 0x7fff
	v_cmp_o_f32_e32 vcc_lo, v20, v20
	s_delay_alu instid0(VALU_DEP_4) | instskip(NEXT) | instid1(VALU_DEP_4)
	v_lshrrev_b32_e32 v25, 16, v25
	v_or_b32_e32 v29, v24, v29
	v_and_b32_e32 v24, 0xffff0000, v30
	v_lshrrev_b32_e32 v30, 16, v31
	v_and_b32_e32 v31, 0xffff0000, v32
	s_delay_alu instid0(VALU_DEP_3)
	v_cndmask_b32_e32 v32, 0x7fc00000, v24, vcc_lo
	v_cmp_o_f32_e32 vcc_lo, v19, v19
	v_or3_b32 v24, 0, v23, v6
	v_or3_b32 v23, v29, 0, 0
	v_bfe_u32 v29, v17, 16, 1
	v_cndmask_b32_e32 v30, 0x7fc0, v30, vcc_lo
	v_cmp_o_f32_e32 vcc_lo, v21, v21
	v_cndmask_b32_e32 v21, 0x7fc00000, v31, vcc_lo
	v_cmp_o_f32_e32 vcc_lo, v26, v26
	s_delay_alu instid0(VALU_DEP_4)
	v_or3_b32 v26, 0, v30, v32
	v_bfe_u32 v30, v15, 16, 1
	v_bfe_u32 v31, v16, 16, 1
	v_cndmask_b32_e32 v25, 0x7fc0, v25, vcc_lo
	v_add_co_u32 v19, vcc_lo, 0x1000, v34
	v_add_co_ci_u32_e32 v20, vcc_lo, 0, v35, vcc_lo
	s_delay_alu instid0(VALU_DEP_3) | instskip(SKIP_3) | instid1(VALU_DEP_4)
	v_or_b32_e32 v6, v21, v25
	v_bfe_u32 v21, v22, 16, 1
	v_add3_u32 v32, v15, v30, 0x7fff
	v_add3_u32 v31, v16, v31, 0x7fff
	v_or3_b32 v25, v6, 0, 0
	s_delay_alu instid0(VALU_DEP_4) | instskip(SKIP_3) | instid1(VALU_DEP_3)
	v_add3_u32 v6, v22, v21, 0x7fff
	v_add3_u32 v21, v17, v29, 0x7fff
	v_add_co_u32 v29, vcc_lo, 0x3000, v34
	v_add_co_ci_u32_e32 v30, vcc_lo, 0, v35, vcc_lo
	v_and_b32_e32 v21, 0xffff0000, v21
	v_cmp_o_f32_e32 vcc_lo, v17, v17
	v_lshrrev_b32_e32 v6, 16, v6
	v_and_b32_e32 v31, 0xffff0000, v31
	v_lshrrev_b32_e32 v32, 16, v32
	v_cndmask_b32_e32 v17, 0x7fc00000, v21, vcc_lo
	v_cmp_o_f32_e32 vcc_lo, v22, v22
	v_bfe_u32 v21, v18, 16, 1
	v_bfe_u32 v22, v11, 16, 1
	v_cndmask_b32_e32 v6, 0x7fc0, v6, vcc_lo
	v_cmp_o_f32_e32 vcc_lo, v16, v16
	s_delay_alu instid0(VALU_DEP_4) | instskip(NEXT) | instid1(VALU_DEP_4)
	v_add3_u32 v21, v18, v21, 0x7fff
	v_add3_u32 v22, v11, v22, 0x7fff
	s_delay_alu instid0(VALU_DEP_4)
	v_or_b32_e32 v6, v17, v6
	v_cndmask_b32_e32 v16, 0x7fc00000, v31, vcc_lo
	v_cmp_o_f32_e32 vcc_lo, v15, v15
	v_bfe_u32 v17, v13, 16, 1
	v_bfe_u32 v31, v12, 16, 1
	v_cndmask_b32_e32 v15, 0x7fc0, v32, vcc_lo
	s_delay_alu instid0(VALU_DEP_3) | instskip(SKIP_1) | instid1(VALU_DEP_4)
	v_add3_u32 v17, v13, v17, 0x7fff
	v_cmp_o_f32_e32 vcc_lo, v13, v13
	v_add3_u32 v31, v12, v31, 0x7fff
	s_delay_alu instid0(VALU_DEP_4)
	v_or3_b32 v16, 0, v15, v16
	v_or3_b32 v15, v6, 0, 0
	v_and_b32_e32 v6, 0xffff0000, v17
	v_lshrrev_b32_e32 v17, 16, v21
	v_lshrrev_b32_e32 v21, 16, v22
	v_and_b32_e32 v22, 0xffff0000, v31
	s_delay_alu instid0(VALU_DEP_4)
	v_cndmask_b32_e32 v6, 0x7fc00000, v6, vcc_lo
	v_cmp_o_f32_e32 vcc_lo, v18, v18
	v_bfe_u32 v18, v7, 16, 1
	v_cndmask_b32_e32 v13, 0x7fc0, v17, vcc_lo
	v_cmp_o_f32_e32 vcc_lo, v12, v12
	v_bfe_u32 v17, v14, 16, 1
	s_delay_alu instid0(VALU_DEP_4) | instskip(NEXT) | instid1(VALU_DEP_4)
	v_add3_u32 v18, v7, v18, 0x7fff
	v_or_b32_e32 v6, v6, v13
	v_cndmask_b32_e32 v12, 0x7fc00000, v22, vcc_lo
	v_cmp_o_f32_e32 vcc_lo, v11, v11
	v_bfe_u32 v13, v8, 16, 1
	v_add3_u32 v17, v14, v17, 0x7fff
	v_cndmask_b32_e32 v11, 0x7fc0, v21, vcc_lo
	s_delay_alu instid0(VALU_DEP_3) | instskip(SKIP_2) | instid1(VALU_DEP_4)
	v_add3_u32 v13, v8, v13, 0x7fff
	v_bfe_u32 v21, v9, 16, 1
	v_cmp_o_f32_e32 vcc_lo, v8, v8
	v_or3_b32 v12, 0, v11, v12
	v_or3_b32 v11, v6, 0, 0
	v_and_b32_e32 v6, 0xffff0000, v13
	v_add3_u32 v21, v9, v21, 0x7fff
	v_lshrrev_b32_e32 v13, 16, v17
	v_lshrrev_b32_e32 v17, 16, v18
	s_delay_alu instid0(VALU_DEP_4)
	v_cndmask_b32_e32 v6, 0x7fc00000, v6, vcc_lo
	v_cmp_o_f32_e32 vcc_lo, v7, v7
	v_and_b32_e32 v18, 0xffff0000, v21
	v_bfe_u32 v21, v4, 16, 1
	v_cndmask_b32_e32 v7, 0x7fc0, v17, vcc_lo
	v_cmp_o_f32_e32 vcc_lo, v9, v9
	v_bfe_u32 v17, v5, 16, 1
	v_bfe_u32 v9, v10, 16, 1
	s_delay_alu instid0(VALU_DEP_4)
	v_or3_b32 v6, 0, v7, v6
	v_cndmask_b32_e32 v8, 0x7fc00000, v18, vcc_lo
	v_cmp_o_f32_e32 vcc_lo, v14, v14
	v_add3_u32 v14, v5, v17, 0x7fff
	v_bfe_u32 v18, v3, 16, 1
	v_add3_u32 v9, v10, v9, 0x7fff
	v_cndmask_b32_e32 v13, 0x7fc0, v13, vcc_lo
	v_cmp_o_f32_e32 vcc_lo, v5, v5
	s_delay_alu instid0(VALU_DEP_4)
	v_add3_u32 v17, v3, v18, 0x7fff
	v_add3_u32 v18, v4, v21, 0x7fff
	v_lshrrev_b32_e32 v9, 16, v9
	v_or_b32_e32 v8, v8, v13
	v_and_b32_e32 v13, 0xffff0000, v14
	v_lshrrev_b32_e32 v14, 16, v17
	v_and_b32_e32 v17, 0xffff0000, v18
	s_delay_alu instid0(VALU_DEP_3) | instskip(SKIP_3) | instid1(VALU_DEP_2)
	v_cndmask_b32_e32 v5, 0x7fc00000, v13, vcc_lo
	v_cmp_o_f32_e32 vcc_lo, v10, v10
	v_cndmask_b32_e32 v9, 0x7fc0, v9, vcc_lo
	v_cmp_o_f32_e32 vcc_lo, v4, v4
	v_or_b32_e32 v9, v5, v9
	v_cndmask_b32_e32 v10, 0x7fc00000, v17, vcc_lo
	v_cmp_o_f32_e32 vcc_lo, v3, v3
	v_or3_b32 v5, v8, 0, 0
	s_delay_alu instid0(VALU_DEP_4) | instskip(SKIP_4) | instid1(VALU_DEP_4)
	v_or3_b32 v7, v9, 0, 0
	v_cndmask_b32_e32 v13, 0x7fc0, v14, vcc_lo
	v_add_co_u32 v3, vcc_lo, 0x5000, v34
	v_add_co_ci_u32_e32 v4, vcc_lo, 0, v35, vcc_lo
	v_add_co_u32 v9, vcc_lo, 0x7000, v34
	v_or3_b32 v8, 0, v13, v10
	v_add_co_ci_u32_e32 v10, vcc_lo, 0, v35, vcc_lo
	s_clause 0x7
	global_store_b64 v51, v[1:2], s[2:3]
	global_store_b64 v52, v[23:24], s[2:3]
	;; [unrolled: 1-line block ×4, first 2 shown]
	global_store_b64 v[19:20], v[27:28], off
	global_store_b64 v[29:30], v[25:26], off
	;; [unrolled: 1-line block ×4, first 2 shown]
	s_branch .LBB55_2
.LBB55_388:
	s_clause 0x1
	s_load_b32 s2, s[0:1], 0x24
	s_load_b128 s[16:19], s[0:1], 0x28
	v_dual_mov_b32 v31, v0 :: v_dual_mov_b32 v0, s4
	v_dual_mov_b32 v1, s5 :: v_dual_mov_b32 v2, s6
	;; [unrolled: 1-line block ×4, first 2 shown]
	s_add_u32 s8, s0, 56
	s_addc_u32 s9, s1, 0
	s_mov_b32 s12, s15
	s_getpc_b64 s[0:1]
	s_add_u32 s0, s0, _ZN2at6native25elementwise_kernel_helperILb1ENS0_13BinaryFunctorIfffZZZNS0_12_GLOBAL__N_132hermite_polynomial_h_kernel_cudaERNS_18TensorIteratorBaseEENKUlvE_clEvENKUlvE0_clEvEUlffE_EENS0_6memory8policies11unroll_baseILi512ESt5arrayIPcLm3EE23TrivialOffsetCalculatorILi2EjESG_ILi1EjENSA_12LoadWithCastILi2EEENSA_13StoreWithCastILi1EEELi32ELi1EEEEEvT0_T1_@rel32@lo+4
	s_addc_u32 s1, s1, _ZN2at6native25elementwise_kernel_helperILb1ENS0_13BinaryFunctorIfffZZZNS0_12_GLOBAL__N_132hermite_polynomial_h_kernel_cudaERNS_18TensorIteratorBaseEENKUlvE_clEvENKUlvE0_clEvEUlffE_EENS0_6memory8policies11unroll_baseILi512ESt5arrayIPcLm3EE23TrivialOffsetCalculatorILi2EjESG_ILi1EjENSA_12LoadWithCastILi2EEENSA_13StoreWithCastILi1EEELi32ELi1EEEEEvT0_T1_@rel32@hi+12
	s_waitcnt lgkmcnt(0)
	v_lshrrev_b16 v8, 8, s2
	v_dual_mov_b32 v7, s2 :: v_dual_mov_b32 v10, s17
	v_dual_mov_b32 v9, s16 :: v_dual_mov_b32 v12, s19
	v_mov_b32_e32 v11, s18
	s_swappc_b64 s[30:31], s[0:1]
	s_endpgm
	.section	.rodata,"a",@progbits
	.p2align	6, 0x0
	.amdhsa_kernel _ZN2at6native39vectorized_templated_elementwise_kernelILi4ENS0_13BinaryFunctorIfffZZZNS0_12_GLOBAL__N_132hermite_polynomial_h_kernel_cudaERNS_18TensorIteratorBaseEENKUlvE_clEvENKUlvE0_clEvEUlffE_EESt5arrayIPcLm3EE23TrivialOffsetCalculatorILi2EjESD_ILi1EjENS0_6memory12LoadWithCastILi2EEENSG_13StoreWithCastILi1EEEN3c108BFloat16EJSM_fEEEviT0_T1_T2_T3_T4_T5_
		.amdhsa_group_segment_fixed_size 0
		.amdhsa_private_segment_fixed_size 272
		.amdhsa_kernarg_size 312
		.amdhsa_user_sgpr_count 15
		.amdhsa_user_sgpr_dispatch_ptr 0
		.amdhsa_user_sgpr_queue_ptr 0
		.amdhsa_user_sgpr_kernarg_segment_ptr 1
		.amdhsa_user_sgpr_dispatch_id 0
		.amdhsa_user_sgpr_private_segment_size 0
		.amdhsa_wavefront_size32 1
		.amdhsa_uses_dynamic_stack 0
		.amdhsa_enable_private_segment 1
		.amdhsa_system_sgpr_workgroup_id_x 1
		.amdhsa_system_sgpr_workgroup_id_y 0
		.amdhsa_system_sgpr_workgroup_id_z 0
		.amdhsa_system_sgpr_workgroup_info 0
		.amdhsa_system_vgpr_workitem_id 0
		.amdhsa_next_free_vgpr 68
		.amdhsa_next_free_sgpr 77
		.amdhsa_reserve_vcc 1
		.amdhsa_float_round_mode_32 0
		.amdhsa_float_round_mode_16_64 0
		.amdhsa_float_denorm_mode_32 3
		.amdhsa_float_denorm_mode_16_64 3
		.amdhsa_dx10_clamp 1
		.amdhsa_ieee_mode 1
		.amdhsa_fp16_overflow 0
		.amdhsa_workgroup_processor_mode 1
		.amdhsa_memory_ordered 1
		.amdhsa_forward_progress 0
		.amdhsa_shared_vgpr_count 0
		.amdhsa_exception_fp_ieee_invalid_op 0
		.amdhsa_exception_fp_denorm_src 0
		.amdhsa_exception_fp_ieee_div_zero 0
		.amdhsa_exception_fp_ieee_overflow 0
		.amdhsa_exception_fp_ieee_underflow 0
		.amdhsa_exception_fp_ieee_inexact 0
		.amdhsa_exception_int_div_zero 0
	.end_amdhsa_kernel
	.section	.text._ZN2at6native39vectorized_templated_elementwise_kernelILi4ENS0_13BinaryFunctorIfffZZZNS0_12_GLOBAL__N_132hermite_polynomial_h_kernel_cudaERNS_18TensorIteratorBaseEENKUlvE_clEvENKUlvE0_clEvEUlffE_EESt5arrayIPcLm3EE23TrivialOffsetCalculatorILi2EjESD_ILi1EjENS0_6memory12LoadWithCastILi2EEENSG_13StoreWithCastILi1EEEN3c108BFloat16EJSM_fEEEviT0_T1_T2_T3_T4_T5_,"axG",@progbits,_ZN2at6native39vectorized_templated_elementwise_kernelILi4ENS0_13BinaryFunctorIfffZZZNS0_12_GLOBAL__N_132hermite_polynomial_h_kernel_cudaERNS_18TensorIteratorBaseEENKUlvE_clEvENKUlvE0_clEvEUlffE_EESt5arrayIPcLm3EE23TrivialOffsetCalculatorILi2EjESD_ILi1EjENS0_6memory12LoadWithCastILi2EEENSG_13StoreWithCastILi1EEEN3c108BFloat16EJSM_fEEEviT0_T1_T2_T3_T4_T5_,comdat
.Lfunc_end55:
	.size	_ZN2at6native39vectorized_templated_elementwise_kernelILi4ENS0_13BinaryFunctorIfffZZZNS0_12_GLOBAL__N_132hermite_polynomial_h_kernel_cudaERNS_18TensorIteratorBaseEENKUlvE_clEvENKUlvE0_clEvEUlffE_EESt5arrayIPcLm3EE23TrivialOffsetCalculatorILi2EjESD_ILi1EjENS0_6memory12LoadWithCastILi2EEENSG_13StoreWithCastILi1EEEN3c108BFloat16EJSM_fEEEviT0_T1_T2_T3_T4_T5_, .Lfunc_end55-_ZN2at6native39vectorized_templated_elementwise_kernelILi4ENS0_13BinaryFunctorIfffZZZNS0_12_GLOBAL__N_132hermite_polynomial_h_kernel_cudaERNS_18TensorIteratorBaseEENKUlvE_clEvENKUlvE0_clEvEUlffE_EESt5arrayIPcLm3EE23TrivialOffsetCalculatorILi2EjESD_ILi1EjENS0_6memory12LoadWithCastILi2EEENSG_13StoreWithCastILi1EEEN3c108BFloat16EJSM_fEEEviT0_T1_T2_T3_T4_T5_
                                        ; -- End function
	.section	.AMDGPU.csdata,"",@progbits
; Kernel info:
; codeLenInByte = 15888
; NumSgprs: 79
; NumVgprs: 68
; ScratchSize: 272
; MemoryBound: 0
; FloatMode: 240
; IeeeMode: 1
; LDSByteSize: 0 bytes/workgroup (compile time only)
; SGPRBlocks: 9
; VGPRBlocks: 8
; NumSGPRsForWavesPerEU: 79
; NumVGPRsForWavesPerEU: 68
; Occupancy: 16
; WaveLimiterHint : 0
; COMPUTE_PGM_RSRC2:SCRATCH_EN: 1
; COMPUTE_PGM_RSRC2:USER_SGPR: 15
; COMPUTE_PGM_RSRC2:TRAP_HANDLER: 0
; COMPUTE_PGM_RSRC2:TGID_X_EN: 1
; COMPUTE_PGM_RSRC2:TGID_Y_EN: 0
; COMPUTE_PGM_RSRC2:TGID_Z_EN: 0
; COMPUTE_PGM_RSRC2:TIDIG_COMP_CNT: 0
	.section	.text._ZN2at6native39vectorized_templated_elementwise_kernelILi2ENS0_13BinaryFunctorIfffZZZNS0_12_GLOBAL__N_132hermite_polynomial_h_kernel_cudaERNS_18TensorIteratorBaseEENKUlvE_clEvENKUlvE0_clEvEUlffE_EESt5arrayIPcLm3EE23TrivialOffsetCalculatorILi2EjESD_ILi1EjENS0_6memory12LoadWithCastILi2EEENSG_13StoreWithCastILi1EEEN3c108BFloat16EJSM_fEEEviT0_T1_T2_T3_T4_T5_,"axG",@progbits,_ZN2at6native39vectorized_templated_elementwise_kernelILi2ENS0_13BinaryFunctorIfffZZZNS0_12_GLOBAL__N_132hermite_polynomial_h_kernel_cudaERNS_18TensorIteratorBaseEENKUlvE_clEvENKUlvE0_clEvEUlffE_EESt5arrayIPcLm3EE23TrivialOffsetCalculatorILi2EjESD_ILi1EjENS0_6memory12LoadWithCastILi2EEENSG_13StoreWithCastILi1EEEN3c108BFloat16EJSM_fEEEviT0_T1_T2_T3_T4_T5_,comdat
	.globl	_ZN2at6native39vectorized_templated_elementwise_kernelILi2ENS0_13BinaryFunctorIfffZZZNS0_12_GLOBAL__N_132hermite_polynomial_h_kernel_cudaERNS_18TensorIteratorBaseEENKUlvE_clEvENKUlvE0_clEvEUlffE_EESt5arrayIPcLm3EE23TrivialOffsetCalculatorILi2EjESD_ILi1EjENS0_6memory12LoadWithCastILi2EEENSG_13StoreWithCastILi1EEEN3c108BFloat16EJSM_fEEEviT0_T1_T2_T3_T4_T5_ ; -- Begin function _ZN2at6native39vectorized_templated_elementwise_kernelILi2ENS0_13BinaryFunctorIfffZZZNS0_12_GLOBAL__N_132hermite_polynomial_h_kernel_cudaERNS_18TensorIteratorBaseEENKUlvE_clEvENKUlvE0_clEvEUlffE_EESt5arrayIPcLm3EE23TrivialOffsetCalculatorILi2EjESD_ILi1EjENS0_6memory12LoadWithCastILi2EEENSG_13StoreWithCastILi1EEEN3c108BFloat16EJSM_fEEEviT0_T1_T2_T3_T4_T5_
	.p2align	8
	.type	_ZN2at6native39vectorized_templated_elementwise_kernelILi2ENS0_13BinaryFunctorIfffZZZNS0_12_GLOBAL__N_132hermite_polynomial_h_kernel_cudaERNS_18TensorIteratorBaseEENKUlvE_clEvENKUlvE0_clEvEUlffE_EESt5arrayIPcLm3EE23TrivialOffsetCalculatorILi2EjESD_ILi1EjENS0_6memory12LoadWithCastILi2EEENSG_13StoreWithCastILi1EEEN3c108BFloat16EJSM_fEEEviT0_T1_T2_T3_T4_T5_,@function
_ZN2at6native39vectorized_templated_elementwise_kernelILi2ENS0_13BinaryFunctorIfffZZZNS0_12_GLOBAL__N_132hermite_polynomial_h_kernel_cudaERNS_18TensorIteratorBaseEENKUlvE_clEvENKUlvE0_clEvEUlffE_EESt5arrayIPcLm3EE23TrivialOffsetCalculatorILi2EjESD_ILi1EjENS0_6memory12LoadWithCastILi2EEENSG_13StoreWithCastILi1EEEN3c108BFloat16EJSM_fEEEviT0_T1_T2_T3_T4_T5_: ; @_ZN2at6native39vectorized_templated_elementwise_kernelILi2ENS0_13BinaryFunctorIfffZZZNS0_12_GLOBAL__N_132hermite_polynomial_h_kernel_cudaERNS_18TensorIteratorBaseEENKUlvE_clEvENKUlvE0_clEvEUlffE_EESt5arrayIPcLm3EE23TrivialOffsetCalculatorILi2EjESD_ILi1EjENS0_6memory12LoadWithCastILi2EEENSG_13StoreWithCastILi1EEEN3c108BFloat16EJSM_fEEEviT0_T1_T2_T3_T4_T5_
; %bb.0:
	s_clause 0x3
	s_load_b32 s2, s[0:1], 0x38
	s_load_b32 s3, s[0:1], 0x0
	s_load_b64 s[10:11], s[0:1], 0x18
	s_load_b128 s[4:7], s[0:1], 0x8
	s_not_b32 s8, s15
	s_mov_b32 s32, 0
	s_waitcnt lgkmcnt(0)
	s_add_i32 s2, s2, s8
	s_mov_b32 s8, -1
	s_lshl_b32 s2, s2, 14
	s_delay_alu instid0(SALU_CYCLE_1) | instskip(NEXT) | instid1(SALU_CYCLE_1)
	s_sub_i32 s12, s3, s2
	s_cmpk_gt_i32 s12, 0x3fff
	s_cbranch_scc1 .LBB56_3
; %bb.1:
	s_and_b32 vcc_lo, exec_lo, s8
	s_cbranch_vccnz .LBB56_388
.LBB56_2:
	s_nop 0
	s_sendmsg sendmsg(MSG_DEALLOC_VGPRS)
	s_endpgm
.LBB56_3:
	s_ashr_i32 s3, s2, 31
	v_lshlrev_b32_e32 v35, 2, v0
	s_lshl_b64 s[8:9], s[2:3], 1
	v_or_b32_e32 v9, 0x400, v0
	s_add_u32 s16, s6, s8
	s_addc_u32 s17, s7, s9
	v_add_co_u32 v7, s13, s16, v35
	s_delay_alu instid0(VALU_DEP_1) | instskip(SKIP_1) | instid1(VALU_DEP_3)
	v_add_co_ci_u32_e64 v8, null, s17, 0, s13
	v_or_b32_e32 v10, 0x800, v0
	v_add_co_u32 v1, vcc_lo, 0x1000, v7
	s_delay_alu instid0(VALU_DEP_3)
	v_add_co_ci_u32_e32 v2, vcc_lo, 0, v8, vcc_lo
	v_or_b32_e32 v11, 0xc00, v0
	v_add_co_u32 v3, vcc_lo, 0x2000, v7
	s_lshl_b64 s[2:3], s[2:3], 2
	v_lshlrev_b32_e32 v16, 3, v0
	v_lshlrev_b32_e32 v36, 2, v9
	v_add_co_ci_u32_e32 v4, vcc_lo, 0, v8, vcc_lo
	s_add_u32 s2, s10, s2
	v_add_co_u32 v5, vcc_lo, 0x3000, v7
	s_addc_u32 s3, s11, s3
	v_lshlrev_b32_e32 v37, 2, v10
	v_lshlrev_b32_e32 v38, 2, v11
	v_add_co_ci_u32_e32 v6, vcc_lo, 0, v8, vcc_lo
	s_clause 0x7
	global_load_b32 v59, v35, s[16:17]
	global_load_b32 v58, v35, s[16:17] offset:2048
	global_load_b32 v57, v36, s[16:17]
	global_load_b32 v56, v[1:2], off offset:2048
	global_load_b32 v55, v37, s[16:17]
	global_load_b32 v54, v[3:4], off offset:2048
	;; [unrolled: 2-line block ×3, first 2 shown]
	global_load_b64 v[31:32], v16, s[2:3]
	v_add_co_u32 v1, vcc_lo, 0x4000, v7
	v_or_b32_e32 v12, 0x1000, v0
	v_add_co_ci_u32_e32 v2, vcc_lo, 0, v8, vcc_lo
	v_add_co_u32 v3, vcc_lo, 0x5000, v7
	v_or_b32_e32 v13, 0x1400, v0
	v_add_co_ci_u32_e32 v4, vcc_lo, 0, v8, vcc_lo
	v_or_b32_e32 v14, 0x1800, v0
	v_add_co_u32 v5, vcc_lo, 0x6000, v7
	v_lshlrev_b32_e32 v39, 2, v12
	v_or_b32_e32 v15, 0x1c00, v0
	v_add_co_u32 v16, s13, s2, v16
	v_add_co_ci_u32_e32 v6, vcc_lo, 0, v8, vcc_lo
	v_lshlrev_b32_e32 v40, 2, v13
	v_add_co_u32 v7, vcc_lo, 0x7000, v7
	v_add_co_ci_u32_e64 v34, null, s3, 0, s13
	v_lshlrev_b32_e32 v41, 2, v14
	v_add_co_ci_u32_e32 v8, vcc_lo, 0, v8, vcc_lo
	v_lshlrev_b32_e32 v42, 2, v15
	s_clause 0x7
	global_load_b32 v51, v39, s[16:17]
	global_load_b32 v50, v[1:2], off offset:2048
	global_load_b32 v49, v40, s[16:17]
	global_load_b32 v48, v[3:4], off offset:2048
	;; [unrolled: 2-line block ×4, first 2 shown]
	v_add_co_u32 v1, vcc_lo, 0x1000, v16
	v_add_co_ci_u32_e32 v2, vcc_lo, 0, v34, vcc_lo
	v_add_co_u32 v3, vcc_lo, 0x3000, v16
	v_add_co_ci_u32_e32 v4, vcc_lo, 0, v34, vcc_lo
	v_add_co_u32 v5, vcc_lo, 0x5000, v16
	v_lshlrev_b32_e32 v9, 3, v9
	v_add_co_ci_u32_e32 v6, vcc_lo, 0, v34, vcc_lo
	v_add_co_u32 v7, vcc_lo, 0x7000, v16
	v_lshlrev_b32_e32 v10, 3, v10
	v_add_co_ci_u32_e32 v8, vcc_lo, 0, v34, vcc_lo
	v_lshlrev_b32_e32 v11, 3, v11
	s_clause 0x6
	global_load_b64 v[29:30], v[1:2], off
	global_load_b64 v[27:28], v9, s[2:3]
	global_load_b64 v[25:26], v[3:4], off
	global_load_b64 v[23:24], v10, s[2:3]
	;; [unrolled: 2-line block ×3, first 2 shown]
	global_load_b64 v[17:18], v[7:8], off
	v_add_co_u32 v1, vcc_lo, 0x9000, v16
	v_add_co_ci_u32_e32 v2, vcc_lo, 0, v34, vcc_lo
	v_add_co_u32 v3, vcc_lo, 0xb000, v16
	v_add_co_ci_u32_e32 v4, vcc_lo, 0, v34, vcc_lo
	v_lshlrev_b32_e32 v7, 3, v12
	v_add_co_u32 v5, vcc_lo, 0xd000, v16
	v_lshlrev_b32_e32 v8, 3, v13
	v_add_co_ci_u32_e32 v6, vcc_lo, 0, v34, vcc_lo
	v_add_co_u32 v33, vcc_lo, 0xf000, v16
	v_lshlrev_b32_e32 v44, 3, v14
	v_lshlrev_b32_e32 v60, 3, v15
	v_add_co_ci_u32_e32 v34, vcc_lo, 0, v34, vcc_lo
	s_clause 0x7
	global_load_b64 v[15:16], v7, s[2:3]
	global_load_b64 v[13:14], v[1:2], off
	global_load_b64 v[11:12], v8, s[2:3]
	global_load_b64 v[9:10], v[3:4], off
	;; [unrolled: 2-line block ×4, first 2 shown]
	s_mov_b32 s13, exec_lo
	s_waitcnt vmcnt(23)
	v_bfe_u32 v33, v31, 16, 1
	v_cmp_u_f32_e32 vcc_lo, v31, v31
	s_delay_alu instid0(VALU_DEP_2) | instskip(NEXT) | instid1(VALU_DEP_1)
	v_add3_u32 v33, v31, v33, 0x7fff
	v_and_b32_e32 v33, 0xffff0000, v33
	s_delay_alu instid0(VALU_DEP_1) | instskip(SKIP_1) | instid1(VALU_DEP_2)
	v_cndmask_b32_e64 v31, v33, 0x7fc00000, vcc_lo
	v_and_b32_e32 v33, 0x7fffffff, v33
	v_trunc_f32_e32 v31, v31
	s_delay_alu instid0(VALU_DEP_2) | instskip(NEXT) | instid1(VALU_DEP_2)
	v_cmp_nlg_f32_e64 s2, 0x7f800000, v33
	v_mul_f32_e64 v34, 0x2f800000, |v31|
	s_delay_alu instid0(VALU_DEP_2) | instskip(NEXT) | instid1(VALU_DEP_1)
	s_or_b32 s2, vcc_lo, s2
	v_floor_f32_e32 v34, v34
	s_delay_alu instid0(VALU_DEP_1) | instskip(SKIP_2) | instid1(VALU_DEP_3)
	v_fma_f32 v44, 0xcf800000, v34, |v31|
	v_ashrrev_i32_e32 v31, 31, v31
	v_cvt_u32_f32_e32 v34, v34
	v_cvt_u32_f32_e32 v44, v44
	s_delay_alu instid0(VALU_DEP_2) | instskip(NEXT) | instid1(VALU_DEP_2)
	v_xor_b32_e32 v34, v34, v31
	v_xor_b32_e32 v44, v44, v31
	s_delay_alu instid0(VALU_DEP_1) | instskip(SKIP_1) | instid1(VALU_DEP_4)
	v_sub_co_u32 v33, s3, v44, v31
	v_mov_b32_e32 v44, 0
	v_sub_co_ci_u32_e64 v31, s3, v34, v31, s3
	s_delay_alu instid0(VALU_DEP_3) | instskip(NEXT) | instid1(VALU_DEP_2)
	v_cndmask_b32_e64 v33, v33, -1, s2
	v_cndmask_b32_e64 v34, v31, -1, s2
	s_delay_alu instid0(VALU_DEP_1)
	v_cmpx_lt_i64_e32 -1, v[33:34]
	s_cbranch_execz .LBB56_15
; %bb.4:
	v_mov_b32_e32 v44, 1.0
	s_mov_b32 s14, exec_lo
	v_cmpx_lt_i64_e32 0, v[33:34]
	s_cbranch_execz .LBB56_14
; %bb.5:
	v_lshlrev_b32_e32 v31, 16, v59
                                        ; implicit-def: $vgpr44
	s_mov_b32 s2, exec_lo
	v_cmpx_ne_u64_e32 1, v[33:34]
	s_xor_b32 s16, exec_lo, s2
	s_cbranch_execz .LBB56_11
; %bb.6:
	v_mov_b32_e32 v44, 0x7fc00000
	s_mov_b32 s17, exec_lo
	v_cmpx_gt_u64_e32 0x81, v[33:34]
	s_cbranch_execz .LBB56_10
; %bb.7:
	v_dual_add_f32 v31, v31, v31 :: v_dual_mov_b32 v60, 1.0
	v_lshlrev_b64 v[33:34], 1, v[33:34]
	s_mov_b64 s[2:3], 2
	s_mov_b32 s18, 0
	s_delay_alu instid0(VALU_DEP_2)
	v_mov_b32_e32 v44, v31
	.p2align	6
.LBB56_8:                               ; =>This Inner Loop Header: Depth=1
	s_clz_i32_u32 s19, s3
	s_delay_alu instid0(SALU_CYCLE_1) | instskip(NEXT) | instid1(SALU_CYCLE_1)
	s_min_u32 s19, s19, 32
	s_lshl_b64 s[20:21], s[2:3], s19
	s_sub_i32 s19, 32, s19
	s_min_u32 s20, s20, 1
	s_delay_alu instid0(SALU_CYCLE_1) | instskip(SKIP_3) | instid1(SALU_CYCLE_1)
	s_or_b32 s20, s21, s20
	s_add_u32 s2, s2, 2
	v_cvt_f32_u32_e32 v61, s20
	s_addc_u32 s3, s3, 0
	v_cmp_ge_u64_e32 vcc_lo, s[2:3], v[33:34]
	s_delay_alu instid0(VALU_DEP_2) | instskip(SKIP_1) | instid1(VALU_DEP_1)
	v_ldexp_f32 v61, v61, s19
	s_or_b32 s18, vcc_lo, s18
	v_mul_f32_e32 v61, v60, v61
	v_mov_b32_e32 v60, v44
	s_delay_alu instid0(VALU_DEP_2)
	v_fma_f32 v44, v31, v44, -v61
	s_and_not1_b32 exec_lo, exec_lo, s18
	s_cbranch_execnz .LBB56_8
; %bb.9:
	s_or_b32 exec_lo, exec_lo, s18
.LBB56_10:
	s_delay_alu instid0(SALU_CYCLE_1)
	s_or_b32 exec_lo, exec_lo, s17
                                        ; implicit-def: $vgpr31
.LBB56_11:
	s_and_not1_saveexec_b32 s2, s16
; %bb.12:
	v_add_f32_e32 v44, v31, v31
; %bb.13:
	s_or_b32 exec_lo, exec_lo, s2
.LBB56_14:
	s_delay_alu instid0(SALU_CYCLE_1)
	s_or_b32 exec_lo, exec_lo, s14
.LBB56_15:
	s_delay_alu instid0(SALU_CYCLE_1) | instskip(SKIP_3) | instid1(VALU_DEP_2)
	s_or_b32 exec_lo, exec_lo, s13
	v_bfe_u32 v31, v32, 16, 1
	v_cmp_u_f32_e32 vcc_lo, v32, v32
	s_mov_b32 s13, exec_lo
	v_add3_u32 v31, v32, v31, 0x7fff
	s_delay_alu instid0(VALU_DEP_1) | instskip(NEXT) | instid1(VALU_DEP_1)
	v_and_b32_e32 v31, 0xffff0000, v31
	v_cndmask_b32_e64 v32, v31, 0x7fc00000, vcc_lo
	v_and_b32_e32 v31, 0x7fffffff, v31
	s_delay_alu instid0(VALU_DEP_2) | instskip(NEXT) | instid1(VALU_DEP_2)
	v_trunc_f32_e32 v32, v32
	v_cmp_nlg_f32_e64 s2, 0x7f800000, v31
	s_delay_alu instid0(VALU_DEP_2) | instskip(NEXT) | instid1(VALU_DEP_2)
	v_mul_f32_e64 v33, 0x2f800000, |v32|
	s_or_b32 s2, vcc_lo, s2
	s_delay_alu instid0(VALU_DEP_1) | instskip(NEXT) | instid1(VALU_DEP_1)
	v_floor_f32_e32 v33, v33
	v_fma_f32 v34, 0xcf800000, v33, |v32|
	v_ashrrev_i32_e32 v32, 31, v32
	v_cvt_u32_f32_e32 v33, v33
	s_delay_alu instid0(VALU_DEP_3) | instskip(NEXT) | instid1(VALU_DEP_2)
	v_cvt_u32_f32_e32 v34, v34
	v_xor_b32_e32 v33, v33, v32
	s_delay_alu instid0(VALU_DEP_2) | instskip(NEXT) | instid1(VALU_DEP_1)
	v_xor_b32_e32 v34, v34, v32
	v_sub_co_u32 v31, s3, v34, v32
	s_delay_alu instid0(VALU_DEP_1) | instskip(SKIP_1) | instid1(VALU_DEP_3)
	v_sub_co_ci_u32_e64 v32, s3, v33, v32, s3
	v_mov_b32_e32 v33, 0
	v_cndmask_b32_e64 v31, v31, -1, s2
	s_delay_alu instid0(VALU_DEP_3) | instskip(NEXT) | instid1(VALU_DEP_1)
	v_cndmask_b32_e64 v32, v32, -1, s2
	v_cmpx_lt_i64_e32 -1, v[31:32]
	s_cbranch_execz .LBB56_27
; %bb.16:
	v_mov_b32_e32 v33, 1.0
	s_mov_b32 s14, exec_lo
	v_cmpx_lt_i64_e32 0, v[31:32]
	s_cbranch_execz .LBB56_26
; %bb.17:
	v_and_b32_e32 v34, 0xffff0000, v59
                                        ; implicit-def: $vgpr33
	s_mov_b32 s2, exec_lo
	v_cmpx_ne_u64_e32 1, v[31:32]
	s_xor_b32 s16, exec_lo, s2
	s_cbranch_execz .LBB56_23
; %bb.18:
	v_mov_b32_e32 v33, 0x7fc00000
	s_mov_b32 s17, exec_lo
	v_cmpx_gt_u64_e32 0x81, v[31:32]
	s_cbranch_execz .LBB56_22
; %bb.19:
	v_dual_add_f32 v34, v34, v34 :: v_dual_mov_b32 v59, 1.0
	v_lshlrev_b64 v[31:32], 1, v[31:32]
	s_mov_b64 s[2:3], 2
	s_mov_b32 s18, 0
	s_delay_alu instid0(VALU_DEP_2)
	v_mov_b32_e32 v33, v34
	.p2align	6
.LBB56_20:                              ; =>This Inner Loop Header: Depth=1
	s_clz_i32_u32 s19, s3
	s_delay_alu instid0(SALU_CYCLE_1) | instskip(NEXT) | instid1(SALU_CYCLE_1)
	s_min_u32 s19, s19, 32
	s_lshl_b64 s[20:21], s[2:3], s19
	s_sub_i32 s19, 32, s19
	s_min_u32 s20, s20, 1
	s_delay_alu instid0(SALU_CYCLE_1) | instskip(SKIP_3) | instid1(SALU_CYCLE_1)
	s_or_b32 s20, s21, s20
	s_add_u32 s2, s2, 2
	v_cvt_f32_u32_e32 v60, s20
	s_addc_u32 s3, s3, 0
	v_cmp_ge_u64_e32 vcc_lo, s[2:3], v[31:32]
	s_delay_alu instid0(VALU_DEP_2) | instskip(SKIP_1) | instid1(VALU_DEP_1)
	v_ldexp_f32 v60, v60, s19
	s_or_b32 s18, vcc_lo, s18
	v_dual_mul_f32 v60, v59, v60 :: v_dual_mov_b32 v59, v33
	s_delay_alu instid0(VALU_DEP_1)
	v_fma_f32 v33, v34, v33, -v60
	s_and_not1_b32 exec_lo, exec_lo, s18
	s_cbranch_execnz .LBB56_20
; %bb.21:
	s_or_b32 exec_lo, exec_lo, s18
.LBB56_22:
	s_delay_alu instid0(SALU_CYCLE_1)
	s_or_b32 exec_lo, exec_lo, s17
                                        ; implicit-def: $vgpr34
.LBB56_23:
	s_and_not1_saveexec_b32 s2, s16
; %bb.24:
	v_add_f32_e32 v33, v34, v34
; %bb.25:
	s_or_b32 exec_lo, exec_lo, s2
.LBB56_26:
	s_delay_alu instid0(SALU_CYCLE_1)
	s_or_b32 exec_lo, exec_lo, s14
.LBB56_27:
	s_delay_alu instid0(SALU_CYCLE_1) | instskip(SKIP_4) | instid1(VALU_DEP_2)
	s_or_b32 exec_lo, exec_lo, s13
	s_waitcnt vmcnt(14)
	v_bfe_u32 v31, v29, 16, 1
	v_cmp_u_f32_e32 vcc_lo, v29, v29
	s_mov_b32 s13, exec_lo
	v_add3_u32 v31, v29, v31, 0x7fff
	s_delay_alu instid0(VALU_DEP_1) | instskip(NEXT) | instid1(VALU_DEP_1)
	v_and_b32_e32 v31, 0xffff0000, v31
	v_cndmask_b32_e64 v29, v31, 0x7fc00000, vcc_lo
	v_and_b32_e32 v31, 0x7fffffff, v31
	s_delay_alu instid0(VALU_DEP_2) | instskip(NEXT) | instid1(VALU_DEP_2)
	v_trunc_f32_e32 v29, v29
	v_cmp_nlg_f32_e64 s2, 0x7f800000, v31
	s_delay_alu instid0(VALU_DEP_2) | instskip(NEXT) | instid1(VALU_DEP_2)
	v_mul_f32_e64 v32, 0x2f800000, |v29|
	s_or_b32 s2, vcc_lo, s2
	s_delay_alu instid0(VALU_DEP_1) | instskip(NEXT) | instid1(VALU_DEP_1)
	v_floor_f32_e32 v32, v32
	v_fma_f32 v34, 0xcf800000, v32, |v29|
	v_ashrrev_i32_e32 v29, 31, v29
	v_cvt_u32_f32_e32 v32, v32
	s_delay_alu instid0(VALU_DEP_3) | instskip(NEXT) | instid1(VALU_DEP_2)
	v_cvt_u32_f32_e32 v34, v34
	v_xor_b32_e32 v32, v32, v29
	s_delay_alu instid0(VALU_DEP_2) | instskip(NEXT) | instid1(VALU_DEP_1)
	v_xor_b32_e32 v34, v34, v29
	v_sub_co_u32 v31, s3, v34, v29
	v_mov_b32_e32 v34, 0
	s_delay_alu instid0(VALU_DEP_4) | instskip(NEXT) | instid1(VALU_DEP_3)
	v_sub_co_ci_u32_e64 v29, s3, v32, v29, s3
	v_cndmask_b32_e64 v31, v31, -1, s2
	s_delay_alu instid0(VALU_DEP_2) | instskip(NEXT) | instid1(VALU_DEP_1)
	v_cndmask_b32_e64 v32, v29, -1, s2
	v_cmpx_lt_i64_e32 -1, v[31:32]
	s_cbranch_execz .LBB56_39
; %bb.28:
	v_mov_b32_e32 v34, 1.0
	s_mov_b32 s14, exec_lo
	v_cmpx_lt_i64_e32 0, v[31:32]
	s_cbranch_execz .LBB56_38
; %bb.29:
	v_lshlrev_b32_e32 v29, 16, v58
                                        ; implicit-def: $vgpr34
	s_mov_b32 s2, exec_lo
	v_cmpx_ne_u64_e32 1, v[31:32]
	s_xor_b32 s16, exec_lo, s2
	s_cbranch_execz .LBB56_35
; %bb.30:
	v_mov_b32_e32 v34, 0x7fc00000
	s_mov_b32 s17, exec_lo
	v_cmpx_gt_u64_e32 0x81, v[31:32]
	s_cbranch_execz .LBB56_34
; %bb.31:
	v_add_f32_e32 v29, v29, v29
	v_lshlrev_b64 v[31:32], 1, v[31:32]
	v_mov_b32_e32 v59, 1.0
	s_mov_b64 s[2:3], 2
	s_mov_b32 s18, 0
	v_mov_b32_e32 v34, v29
	.p2align	6
.LBB56_32:                              ; =>This Inner Loop Header: Depth=1
	s_clz_i32_u32 s19, s3
	s_delay_alu instid0(SALU_CYCLE_1) | instskip(NEXT) | instid1(SALU_CYCLE_1)
	s_min_u32 s19, s19, 32
	s_lshl_b64 s[20:21], s[2:3], s19
	s_sub_i32 s19, 32, s19
	s_min_u32 s20, s20, 1
	s_delay_alu instid0(SALU_CYCLE_1) | instskip(SKIP_3) | instid1(SALU_CYCLE_1)
	s_or_b32 s20, s21, s20
	s_add_u32 s2, s2, 2
	v_cvt_f32_u32_e32 v60, s20
	s_addc_u32 s3, s3, 0
	v_cmp_ge_u64_e32 vcc_lo, s[2:3], v[31:32]
	s_delay_alu instid0(VALU_DEP_2) | instskip(SKIP_1) | instid1(VALU_DEP_1)
	v_ldexp_f32 v60, v60, s19
	s_or_b32 s18, vcc_lo, s18
	v_dual_mul_f32 v60, v59, v60 :: v_dual_mov_b32 v59, v34
	s_delay_alu instid0(VALU_DEP_1)
	v_fma_f32 v34, v29, v34, -v60
	s_and_not1_b32 exec_lo, exec_lo, s18
	s_cbranch_execnz .LBB56_32
; %bb.33:
	s_or_b32 exec_lo, exec_lo, s18
.LBB56_34:
	s_delay_alu instid0(SALU_CYCLE_1)
	s_or_b32 exec_lo, exec_lo, s17
                                        ; implicit-def: $vgpr29
.LBB56_35:
	s_and_not1_saveexec_b32 s2, s16
; %bb.36:
	v_add_f32_e32 v34, v29, v29
; %bb.37:
	s_or_b32 exec_lo, exec_lo, s2
.LBB56_38:
	s_delay_alu instid0(SALU_CYCLE_1)
	s_or_b32 exec_lo, exec_lo, s14
.LBB56_39:
	s_delay_alu instid0(SALU_CYCLE_1) | instskip(SKIP_3) | instid1(VALU_DEP_2)
	s_or_b32 exec_lo, exec_lo, s13
	v_bfe_u32 v29, v30, 16, 1
	v_cmp_u_f32_e32 vcc_lo, v30, v30
	s_mov_b32 s13, exec_lo
	v_add3_u32 v29, v30, v29, 0x7fff
	s_delay_alu instid0(VALU_DEP_1) | instskip(NEXT) | instid1(VALU_DEP_1)
	v_and_b32_e32 v29, 0xffff0000, v29
	v_cndmask_b32_e64 v30, v29, 0x7fc00000, vcc_lo
	v_and_b32_e32 v29, 0x7fffffff, v29
	s_delay_alu instid0(VALU_DEP_2) | instskip(NEXT) | instid1(VALU_DEP_2)
	v_trunc_f32_e32 v30, v30
	v_cmp_nlg_f32_e64 s2, 0x7f800000, v29
	s_delay_alu instid0(VALU_DEP_2) | instskip(NEXT) | instid1(VALU_DEP_2)
	v_mul_f32_e64 v31, 0x2f800000, |v30|
	s_or_b32 s2, vcc_lo, s2
	s_delay_alu instid0(VALU_DEP_1) | instskip(NEXT) | instid1(VALU_DEP_1)
	v_floor_f32_e32 v31, v31
	v_fma_f32 v32, 0xcf800000, v31, |v30|
	v_ashrrev_i32_e32 v30, 31, v30
	v_cvt_u32_f32_e32 v31, v31
	s_delay_alu instid0(VALU_DEP_3) | instskip(NEXT) | instid1(VALU_DEP_2)
	v_cvt_u32_f32_e32 v32, v32
	v_xor_b32_e32 v31, v31, v30
	s_delay_alu instid0(VALU_DEP_2) | instskip(NEXT) | instid1(VALU_DEP_1)
	v_xor_b32_e32 v32, v32, v30
	v_sub_co_u32 v29, s3, v32, v30
	s_delay_alu instid0(VALU_DEP_1) | instskip(SKIP_1) | instid1(VALU_DEP_3)
	v_sub_co_ci_u32_e64 v30, s3, v31, v30, s3
	v_mov_b32_e32 v31, 0
	v_cndmask_b32_e64 v29, v29, -1, s2
	s_delay_alu instid0(VALU_DEP_3) | instskip(NEXT) | instid1(VALU_DEP_1)
	v_cndmask_b32_e64 v30, v30, -1, s2
	v_cmpx_lt_i64_e32 -1, v[29:30]
	s_cbranch_execz .LBB56_51
; %bb.40:
	v_mov_b32_e32 v31, 1.0
	s_mov_b32 s14, exec_lo
	v_cmpx_lt_i64_e32 0, v[29:30]
	s_cbranch_execz .LBB56_50
; %bb.41:
	v_and_b32_e32 v32, 0xffff0000, v58
                                        ; implicit-def: $vgpr31
	s_mov_b32 s2, exec_lo
	v_cmpx_ne_u64_e32 1, v[29:30]
	s_xor_b32 s16, exec_lo, s2
	s_cbranch_execz .LBB56_47
; %bb.42:
	v_mov_b32_e32 v31, 0x7fc00000
	s_mov_b32 s17, exec_lo
	v_cmpx_gt_u64_e32 0x81, v[29:30]
	s_cbranch_execz .LBB56_46
; %bb.43:
	v_add_f32_e32 v32, v32, v32
	v_lshlrev_b64 v[29:30], 1, v[29:30]
	v_mov_b32_e32 v58, 1.0
	s_mov_b64 s[2:3], 2
	s_mov_b32 s18, 0
	v_mov_b32_e32 v31, v32
	.p2align	6
.LBB56_44:                              ; =>This Inner Loop Header: Depth=1
	s_clz_i32_u32 s19, s3
	s_delay_alu instid0(SALU_CYCLE_1) | instskip(NEXT) | instid1(SALU_CYCLE_1)
	s_min_u32 s19, s19, 32
	s_lshl_b64 s[20:21], s[2:3], s19
	s_sub_i32 s19, 32, s19
	s_min_u32 s20, s20, 1
	s_delay_alu instid0(SALU_CYCLE_1) | instskip(SKIP_3) | instid1(SALU_CYCLE_1)
	s_or_b32 s20, s21, s20
	s_add_u32 s2, s2, 2
	v_cvt_f32_u32_e32 v59, s20
	s_addc_u32 s3, s3, 0
	v_cmp_ge_u64_e32 vcc_lo, s[2:3], v[29:30]
	s_delay_alu instid0(VALU_DEP_2) | instskip(SKIP_1) | instid1(VALU_DEP_1)
	v_ldexp_f32 v59, v59, s19
	s_or_b32 s18, vcc_lo, s18
	v_dual_mul_f32 v59, v58, v59 :: v_dual_mov_b32 v58, v31
	s_delay_alu instid0(VALU_DEP_1)
	v_fma_f32 v31, v32, v31, -v59
	s_and_not1_b32 exec_lo, exec_lo, s18
	s_cbranch_execnz .LBB56_44
; %bb.45:
	s_or_b32 exec_lo, exec_lo, s18
.LBB56_46:
	s_delay_alu instid0(SALU_CYCLE_1)
	s_or_b32 exec_lo, exec_lo, s17
                                        ; implicit-def: $vgpr32
.LBB56_47:
	s_and_not1_saveexec_b32 s2, s16
; %bb.48:
	v_add_f32_e32 v31, v32, v32
; %bb.49:
	s_or_b32 exec_lo, exec_lo, s2
.LBB56_50:
	s_delay_alu instid0(SALU_CYCLE_1)
	s_or_b32 exec_lo, exec_lo, s14
.LBB56_51:
	s_delay_alu instid0(SALU_CYCLE_1) | instskip(SKIP_4) | instid1(VALU_DEP_2)
	s_or_b32 exec_lo, exec_lo, s13
	s_waitcnt vmcnt(13)
	v_bfe_u32 v29, v27, 16, 1
	v_cmp_u_f32_e32 vcc_lo, v27, v27
	s_mov_b32 s13, exec_lo
	v_add3_u32 v29, v27, v29, 0x7fff
	s_delay_alu instid0(VALU_DEP_1) | instskip(NEXT) | instid1(VALU_DEP_1)
	v_and_b32_e32 v29, 0xffff0000, v29
	v_cndmask_b32_e64 v27, v29, 0x7fc00000, vcc_lo
	v_and_b32_e32 v29, 0x7fffffff, v29
	s_delay_alu instid0(VALU_DEP_2) | instskip(NEXT) | instid1(VALU_DEP_2)
	v_trunc_f32_e32 v27, v27
	v_cmp_nlg_f32_e64 s2, 0x7f800000, v29
	s_delay_alu instid0(VALU_DEP_2) | instskip(NEXT) | instid1(VALU_DEP_2)
	v_mul_f32_e64 v30, 0x2f800000, |v27|
	s_or_b32 s2, vcc_lo, s2
	s_delay_alu instid0(VALU_DEP_1) | instskip(NEXT) | instid1(VALU_DEP_1)
	v_floor_f32_e32 v30, v30
	v_fma_f32 v32, 0xcf800000, v30, |v27|
	v_ashrrev_i32_e32 v27, 31, v27
	v_cvt_u32_f32_e32 v30, v30
	s_delay_alu instid0(VALU_DEP_3) | instskip(NEXT) | instid1(VALU_DEP_2)
	v_cvt_u32_f32_e32 v32, v32
	v_xor_b32_e32 v30, v30, v27
	s_delay_alu instid0(VALU_DEP_2) | instskip(NEXT) | instid1(VALU_DEP_1)
	v_xor_b32_e32 v32, v32, v27
	v_sub_co_u32 v29, s3, v32, v27
	v_mov_b32_e32 v32, 0
	s_delay_alu instid0(VALU_DEP_4) | instskip(NEXT) | instid1(VALU_DEP_3)
	v_sub_co_ci_u32_e64 v27, s3, v30, v27, s3
	v_cndmask_b32_e64 v29, v29, -1, s2
	s_delay_alu instid0(VALU_DEP_2) | instskip(NEXT) | instid1(VALU_DEP_1)
	v_cndmask_b32_e64 v30, v27, -1, s2
	v_cmpx_lt_i64_e32 -1, v[29:30]
	s_cbranch_execz .LBB56_63
; %bb.52:
	v_mov_b32_e32 v32, 1.0
	s_mov_b32 s14, exec_lo
	v_cmpx_lt_i64_e32 0, v[29:30]
	s_cbranch_execz .LBB56_62
; %bb.53:
	v_lshlrev_b32_e32 v27, 16, v57
                                        ; implicit-def: $vgpr32
	s_mov_b32 s2, exec_lo
	v_cmpx_ne_u64_e32 1, v[29:30]
	s_xor_b32 s16, exec_lo, s2
	s_cbranch_execz .LBB56_59
; %bb.54:
	v_mov_b32_e32 v32, 0x7fc00000
	s_mov_b32 s17, exec_lo
	v_cmpx_gt_u64_e32 0x81, v[29:30]
	s_cbranch_execz .LBB56_58
; %bb.55:
	v_dual_add_f32 v27, v27, v27 :: v_dual_mov_b32 v58, 1.0
	v_lshlrev_b64 v[29:30], 1, v[29:30]
	s_mov_b64 s[2:3], 2
	s_mov_b32 s18, 0
	s_delay_alu instid0(VALU_DEP_2)
	v_mov_b32_e32 v32, v27
	.p2align	6
.LBB56_56:                              ; =>This Inner Loop Header: Depth=1
	s_clz_i32_u32 s19, s3
	s_delay_alu instid0(SALU_CYCLE_1) | instskip(NEXT) | instid1(SALU_CYCLE_1)
	s_min_u32 s19, s19, 32
	s_lshl_b64 s[20:21], s[2:3], s19
	s_sub_i32 s19, 32, s19
	s_min_u32 s20, s20, 1
	s_delay_alu instid0(SALU_CYCLE_1) | instskip(SKIP_3) | instid1(SALU_CYCLE_1)
	s_or_b32 s20, s21, s20
	s_add_u32 s2, s2, 2
	v_cvt_f32_u32_e32 v59, s20
	s_addc_u32 s3, s3, 0
	v_cmp_ge_u64_e32 vcc_lo, s[2:3], v[29:30]
	s_delay_alu instid0(VALU_DEP_2) | instskip(SKIP_1) | instid1(VALU_DEP_1)
	v_ldexp_f32 v59, v59, s19
	s_or_b32 s18, vcc_lo, s18
	v_dual_mul_f32 v59, v58, v59 :: v_dual_mov_b32 v58, v32
	s_delay_alu instid0(VALU_DEP_1)
	v_fma_f32 v32, v27, v32, -v59
	s_and_not1_b32 exec_lo, exec_lo, s18
	s_cbranch_execnz .LBB56_56
; %bb.57:
	s_or_b32 exec_lo, exec_lo, s18
.LBB56_58:
	s_delay_alu instid0(SALU_CYCLE_1)
	s_or_b32 exec_lo, exec_lo, s17
                                        ; implicit-def: $vgpr27
.LBB56_59:
	s_and_not1_saveexec_b32 s2, s16
; %bb.60:
	v_add_f32_e32 v32, v27, v27
; %bb.61:
	s_or_b32 exec_lo, exec_lo, s2
.LBB56_62:
	s_delay_alu instid0(SALU_CYCLE_1)
	s_or_b32 exec_lo, exec_lo, s14
.LBB56_63:
	s_delay_alu instid0(SALU_CYCLE_1) | instskip(SKIP_3) | instid1(VALU_DEP_2)
	s_or_b32 exec_lo, exec_lo, s13
	v_bfe_u32 v27, v28, 16, 1
	v_cmp_u_f32_e32 vcc_lo, v28, v28
	s_mov_b32 s13, exec_lo
	v_add3_u32 v27, v28, v27, 0x7fff
	s_delay_alu instid0(VALU_DEP_1) | instskip(NEXT) | instid1(VALU_DEP_1)
	v_and_b32_e32 v27, 0xffff0000, v27
	v_cndmask_b32_e64 v28, v27, 0x7fc00000, vcc_lo
	v_and_b32_e32 v27, 0x7fffffff, v27
	s_delay_alu instid0(VALU_DEP_2) | instskip(NEXT) | instid1(VALU_DEP_2)
	v_trunc_f32_e32 v28, v28
	v_cmp_nlg_f32_e64 s2, 0x7f800000, v27
	s_delay_alu instid0(VALU_DEP_2) | instskip(NEXT) | instid1(VALU_DEP_2)
	v_mul_f32_e64 v29, 0x2f800000, |v28|
	s_or_b32 s2, vcc_lo, s2
	s_delay_alu instid0(VALU_DEP_1) | instskip(NEXT) | instid1(VALU_DEP_1)
	v_floor_f32_e32 v29, v29
	v_fma_f32 v30, 0xcf800000, v29, |v28|
	v_ashrrev_i32_e32 v28, 31, v28
	v_cvt_u32_f32_e32 v29, v29
	s_delay_alu instid0(VALU_DEP_3) | instskip(NEXT) | instid1(VALU_DEP_2)
	v_cvt_u32_f32_e32 v30, v30
	v_xor_b32_e32 v29, v29, v28
	s_delay_alu instid0(VALU_DEP_2) | instskip(NEXT) | instid1(VALU_DEP_1)
	v_xor_b32_e32 v30, v30, v28
	v_sub_co_u32 v27, s3, v30, v28
	s_delay_alu instid0(VALU_DEP_1) | instskip(SKIP_1) | instid1(VALU_DEP_3)
	v_sub_co_ci_u32_e64 v28, s3, v29, v28, s3
	v_mov_b32_e32 v29, 0
	v_cndmask_b32_e64 v27, v27, -1, s2
	s_delay_alu instid0(VALU_DEP_3) | instskip(NEXT) | instid1(VALU_DEP_1)
	v_cndmask_b32_e64 v28, v28, -1, s2
	v_cmpx_lt_i64_e32 -1, v[27:28]
	s_cbranch_execz .LBB56_75
; %bb.64:
	v_mov_b32_e32 v29, 1.0
	s_mov_b32 s14, exec_lo
	v_cmpx_lt_i64_e32 0, v[27:28]
	s_cbranch_execz .LBB56_74
; %bb.65:
	v_and_b32_e32 v30, 0xffff0000, v57
                                        ; implicit-def: $vgpr29
	s_mov_b32 s2, exec_lo
	v_cmpx_ne_u64_e32 1, v[27:28]
	s_xor_b32 s16, exec_lo, s2
	s_cbranch_execz .LBB56_71
; %bb.66:
	v_mov_b32_e32 v29, 0x7fc00000
	s_mov_b32 s17, exec_lo
	v_cmpx_gt_u64_e32 0x81, v[27:28]
	s_cbranch_execz .LBB56_70
; %bb.67:
	v_dual_add_f32 v30, v30, v30 :: v_dual_mov_b32 v57, 1.0
	v_lshlrev_b64 v[27:28], 1, v[27:28]
	s_mov_b64 s[2:3], 2
	s_mov_b32 s18, 0
	s_delay_alu instid0(VALU_DEP_2)
	v_mov_b32_e32 v29, v30
	.p2align	6
.LBB56_68:                              ; =>This Inner Loop Header: Depth=1
	s_clz_i32_u32 s19, s3
	s_delay_alu instid0(SALU_CYCLE_1) | instskip(NEXT) | instid1(SALU_CYCLE_1)
	s_min_u32 s19, s19, 32
	s_lshl_b64 s[20:21], s[2:3], s19
	s_sub_i32 s19, 32, s19
	s_min_u32 s20, s20, 1
	s_delay_alu instid0(SALU_CYCLE_1) | instskip(SKIP_3) | instid1(SALU_CYCLE_1)
	s_or_b32 s20, s21, s20
	s_add_u32 s2, s2, 2
	v_cvt_f32_u32_e32 v58, s20
	s_addc_u32 s3, s3, 0
	v_cmp_ge_u64_e32 vcc_lo, s[2:3], v[27:28]
	s_delay_alu instid0(VALU_DEP_2) | instskip(SKIP_1) | instid1(VALU_DEP_1)
	v_ldexp_f32 v58, v58, s19
	s_or_b32 s18, vcc_lo, s18
	v_mul_f32_e32 v58, v57, v58
	v_mov_b32_e32 v57, v29
	s_delay_alu instid0(VALU_DEP_2)
	v_fma_f32 v29, v30, v29, -v58
	s_and_not1_b32 exec_lo, exec_lo, s18
	s_cbranch_execnz .LBB56_68
; %bb.69:
	s_or_b32 exec_lo, exec_lo, s18
.LBB56_70:
	s_delay_alu instid0(SALU_CYCLE_1)
	s_or_b32 exec_lo, exec_lo, s17
                                        ; implicit-def: $vgpr30
.LBB56_71:
	s_and_not1_saveexec_b32 s2, s16
; %bb.72:
	v_add_f32_e32 v29, v30, v30
; %bb.73:
	s_or_b32 exec_lo, exec_lo, s2
.LBB56_74:
	s_delay_alu instid0(SALU_CYCLE_1)
	s_or_b32 exec_lo, exec_lo, s14
.LBB56_75:
	s_delay_alu instid0(SALU_CYCLE_1) | instskip(SKIP_4) | instid1(VALU_DEP_2)
	s_or_b32 exec_lo, exec_lo, s13
	s_waitcnt vmcnt(12)
	v_bfe_u32 v27, v25, 16, 1
	v_cmp_u_f32_e32 vcc_lo, v25, v25
	s_mov_b32 s13, exec_lo
	v_add3_u32 v27, v25, v27, 0x7fff
	s_delay_alu instid0(VALU_DEP_1) | instskip(NEXT) | instid1(VALU_DEP_1)
	v_and_b32_e32 v27, 0xffff0000, v27
	v_cndmask_b32_e64 v25, v27, 0x7fc00000, vcc_lo
	v_and_b32_e32 v27, 0x7fffffff, v27
	s_delay_alu instid0(VALU_DEP_2) | instskip(NEXT) | instid1(VALU_DEP_2)
	v_trunc_f32_e32 v25, v25
	v_cmp_nlg_f32_e64 s2, 0x7f800000, v27
	s_delay_alu instid0(VALU_DEP_2) | instskip(NEXT) | instid1(VALU_DEP_2)
	v_mul_f32_e64 v28, 0x2f800000, |v25|
	s_or_b32 s2, vcc_lo, s2
	s_delay_alu instid0(VALU_DEP_1) | instskip(NEXT) | instid1(VALU_DEP_1)
	v_floor_f32_e32 v28, v28
	v_fma_f32 v30, 0xcf800000, v28, |v25|
	v_ashrrev_i32_e32 v25, 31, v25
	v_cvt_u32_f32_e32 v28, v28
	s_delay_alu instid0(VALU_DEP_3) | instskip(NEXT) | instid1(VALU_DEP_2)
	v_cvt_u32_f32_e32 v30, v30
	v_xor_b32_e32 v28, v28, v25
	s_delay_alu instid0(VALU_DEP_2) | instskip(NEXT) | instid1(VALU_DEP_1)
	v_xor_b32_e32 v30, v30, v25
	v_sub_co_u32 v27, s3, v30, v25
	v_mov_b32_e32 v30, 0
	s_delay_alu instid0(VALU_DEP_4) | instskip(NEXT) | instid1(VALU_DEP_3)
	v_sub_co_ci_u32_e64 v25, s3, v28, v25, s3
	v_cndmask_b32_e64 v27, v27, -1, s2
	s_delay_alu instid0(VALU_DEP_2) | instskip(NEXT) | instid1(VALU_DEP_1)
	v_cndmask_b32_e64 v28, v25, -1, s2
	v_cmpx_lt_i64_e32 -1, v[27:28]
	s_cbranch_execz .LBB56_87
; %bb.76:
	v_mov_b32_e32 v30, 1.0
	s_mov_b32 s14, exec_lo
	v_cmpx_lt_i64_e32 0, v[27:28]
	s_cbranch_execz .LBB56_86
; %bb.77:
	v_lshlrev_b32_e32 v25, 16, v56
                                        ; implicit-def: $vgpr30
	s_mov_b32 s2, exec_lo
	v_cmpx_ne_u64_e32 1, v[27:28]
	s_xor_b32 s16, exec_lo, s2
	s_cbranch_execz .LBB56_83
; %bb.78:
	v_mov_b32_e32 v30, 0x7fc00000
	s_mov_b32 s17, exec_lo
	v_cmpx_gt_u64_e32 0x81, v[27:28]
	s_cbranch_execz .LBB56_82
; %bb.79:
	v_add_f32_e32 v25, v25, v25
	v_lshlrev_b64 v[27:28], 1, v[27:28]
	v_mov_b32_e32 v57, 1.0
	s_mov_b64 s[2:3], 2
	s_mov_b32 s18, 0
	v_mov_b32_e32 v30, v25
	.p2align	6
.LBB56_80:                              ; =>This Inner Loop Header: Depth=1
	s_clz_i32_u32 s19, s3
	s_delay_alu instid0(SALU_CYCLE_1) | instskip(NEXT) | instid1(SALU_CYCLE_1)
	s_min_u32 s19, s19, 32
	s_lshl_b64 s[20:21], s[2:3], s19
	s_sub_i32 s19, 32, s19
	s_min_u32 s20, s20, 1
	s_delay_alu instid0(SALU_CYCLE_1) | instskip(SKIP_3) | instid1(SALU_CYCLE_1)
	s_or_b32 s20, s21, s20
	s_add_u32 s2, s2, 2
	v_cvt_f32_u32_e32 v58, s20
	s_addc_u32 s3, s3, 0
	v_cmp_ge_u64_e32 vcc_lo, s[2:3], v[27:28]
	s_delay_alu instid0(VALU_DEP_2) | instskip(SKIP_1) | instid1(VALU_DEP_1)
	v_ldexp_f32 v58, v58, s19
	s_or_b32 s18, vcc_lo, s18
	v_dual_mul_f32 v58, v57, v58 :: v_dual_mov_b32 v57, v30
	s_delay_alu instid0(VALU_DEP_1)
	v_fma_f32 v30, v25, v30, -v58
	s_and_not1_b32 exec_lo, exec_lo, s18
	s_cbranch_execnz .LBB56_80
; %bb.81:
	s_or_b32 exec_lo, exec_lo, s18
.LBB56_82:
	s_delay_alu instid0(SALU_CYCLE_1)
	s_or_b32 exec_lo, exec_lo, s17
                                        ; implicit-def: $vgpr25
.LBB56_83:
	s_and_not1_saveexec_b32 s2, s16
; %bb.84:
	v_add_f32_e32 v30, v25, v25
; %bb.85:
	s_or_b32 exec_lo, exec_lo, s2
.LBB56_86:
	s_delay_alu instid0(SALU_CYCLE_1)
	s_or_b32 exec_lo, exec_lo, s14
.LBB56_87:
	s_delay_alu instid0(SALU_CYCLE_1) | instskip(SKIP_3) | instid1(VALU_DEP_2)
	s_or_b32 exec_lo, exec_lo, s13
	v_bfe_u32 v25, v26, 16, 1
	v_cmp_u_f32_e32 vcc_lo, v26, v26
	s_mov_b32 s13, exec_lo
	v_add3_u32 v25, v26, v25, 0x7fff
	s_delay_alu instid0(VALU_DEP_1) | instskip(NEXT) | instid1(VALU_DEP_1)
	v_and_b32_e32 v25, 0xffff0000, v25
	v_cndmask_b32_e64 v26, v25, 0x7fc00000, vcc_lo
	v_and_b32_e32 v25, 0x7fffffff, v25
	s_delay_alu instid0(VALU_DEP_2) | instskip(NEXT) | instid1(VALU_DEP_2)
	v_trunc_f32_e32 v26, v26
	v_cmp_nlg_f32_e64 s2, 0x7f800000, v25
	s_delay_alu instid0(VALU_DEP_2) | instskip(NEXT) | instid1(VALU_DEP_2)
	v_mul_f32_e64 v27, 0x2f800000, |v26|
	s_or_b32 s2, vcc_lo, s2
	s_delay_alu instid0(VALU_DEP_1) | instskip(NEXT) | instid1(VALU_DEP_1)
	v_floor_f32_e32 v27, v27
	v_fma_f32 v28, 0xcf800000, v27, |v26|
	v_ashrrev_i32_e32 v26, 31, v26
	v_cvt_u32_f32_e32 v27, v27
	s_delay_alu instid0(VALU_DEP_3) | instskip(NEXT) | instid1(VALU_DEP_2)
	v_cvt_u32_f32_e32 v28, v28
	v_xor_b32_e32 v27, v27, v26
	s_delay_alu instid0(VALU_DEP_2) | instskip(NEXT) | instid1(VALU_DEP_1)
	v_xor_b32_e32 v28, v28, v26
	v_sub_co_u32 v25, s3, v28, v26
	s_delay_alu instid0(VALU_DEP_1) | instskip(SKIP_1) | instid1(VALU_DEP_3)
	v_sub_co_ci_u32_e64 v26, s3, v27, v26, s3
	v_mov_b32_e32 v27, 0
	v_cndmask_b32_e64 v25, v25, -1, s2
	s_delay_alu instid0(VALU_DEP_3) | instskip(NEXT) | instid1(VALU_DEP_1)
	v_cndmask_b32_e64 v26, v26, -1, s2
	v_cmpx_lt_i64_e32 -1, v[25:26]
	s_cbranch_execz .LBB56_99
; %bb.88:
	v_mov_b32_e32 v27, 1.0
	s_mov_b32 s14, exec_lo
	v_cmpx_lt_i64_e32 0, v[25:26]
	s_cbranch_execz .LBB56_98
; %bb.89:
	v_and_b32_e32 v28, 0xffff0000, v56
                                        ; implicit-def: $vgpr27
	s_mov_b32 s2, exec_lo
	v_cmpx_ne_u64_e32 1, v[25:26]
	s_xor_b32 s16, exec_lo, s2
	s_cbranch_execz .LBB56_95
; %bb.90:
	v_mov_b32_e32 v27, 0x7fc00000
	s_mov_b32 s17, exec_lo
	v_cmpx_gt_u64_e32 0x81, v[25:26]
	s_cbranch_execz .LBB56_94
; %bb.91:
	v_add_f32_e32 v28, v28, v28
	v_lshlrev_b64 v[25:26], 1, v[25:26]
	v_mov_b32_e32 v56, 1.0
	s_mov_b64 s[2:3], 2
	s_mov_b32 s18, 0
	v_mov_b32_e32 v27, v28
	.p2align	6
.LBB56_92:                              ; =>This Inner Loop Header: Depth=1
	s_clz_i32_u32 s19, s3
	s_delay_alu instid0(SALU_CYCLE_1) | instskip(NEXT) | instid1(SALU_CYCLE_1)
	s_min_u32 s19, s19, 32
	s_lshl_b64 s[20:21], s[2:3], s19
	s_sub_i32 s19, 32, s19
	s_min_u32 s20, s20, 1
	s_delay_alu instid0(SALU_CYCLE_1) | instskip(SKIP_3) | instid1(SALU_CYCLE_1)
	s_or_b32 s20, s21, s20
	s_add_u32 s2, s2, 2
	v_cvt_f32_u32_e32 v57, s20
	s_addc_u32 s3, s3, 0
	v_cmp_ge_u64_e32 vcc_lo, s[2:3], v[25:26]
	s_delay_alu instid0(VALU_DEP_2) | instskip(SKIP_1) | instid1(VALU_DEP_1)
	v_ldexp_f32 v57, v57, s19
	s_or_b32 s18, vcc_lo, s18
	v_dual_mul_f32 v57, v56, v57 :: v_dual_mov_b32 v56, v27
	s_delay_alu instid0(VALU_DEP_1)
	v_fma_f32 v27, v28, v27, -v57
	s_and_not1_b32 exec_lo, exec_lo, s18
	s_cbranch_execnz .LBB56_92
; %bb.93:
	s_or_b32 exec_lo, exec_lo, s18
.LBB56_94:
	s_delay_alu instid0(SALU_CYCLE_1)
	s_or_b32 exec_lo, exec_lo, s17
                                        ; implicit-def: $vgpr28
.LBB56_95:
	s_and_not1_saveexec_b32 s2, s16
; %bb.96:
	v_add_f32_e32 v27, v28, v28
; %bb.97:
	s_or_b32 exec_lo, exec_lo, s2
.LBB56_98:
	s_delay_alu instid0(SALU_CYCLE_1)
	s_or_b32 exec_lo, exec_lo, s14
.LBB56_99:
	s_delay_alu instid0(SALU_CYCLE_1) | instskip(SKIP_4) | instid1(VALU_DEP_2)
	s_or_b32 exec_lo, exec_lo, s13
	s_waitcnt vmcnt(11)
	v_bfe_u32 v25, v23, 16, 1
	v_cmp_u_f32_e32 vcc_lo, v23, v23
	s_mov_b32 s13, exec_lo
	v_add3_u32 v25, v23, v25, 0x7fff
	s_delay_alu instid0(VALU_DEP_1) | instskip(NEXT) | instid1(VALU_DEP_1)
	v_and_b32_e32 v25, 0xffff0000, v25
	v_cndmask_b32_e64 v23, v25, 0x7fc00000, vcc_lo
	v_and_b32_e32 v25, 0x7fffffff, v25
	s_delay_alu instid0(VALU_DEP_2) | instskip(NEXT) | instid1(VALU_DEP_2)
	v_trunc_f32_e32 v23, v23
	v_cmp_nlg_f32_e64 s2, 0x7f800000, v25
	s_delay_alu instid0(VALU_DEP_2) | instskip(NEXT) | instid1(VALU_DEP_2)
	v_mul_f32_e64 v26, 0x2f800000, |v23|
	s_or_b32 s2, vcc_lo, s2
	s_delay_alu instid0(VALU_DEP_1) | instskip(NEXT) | instid1(VALU_DEP_1)
	v_floor_f32_e32 v26, v26
	v_fma_f32 v28, 0xcf800000, v26, |v23|
	v_ashrrev_i32_e32 v23, 31, v23
	v_cvt_u32_f32_e32 v26, v26
	s_delay_alu instid0(VALU_DEP_3) | instskip(NEXT) | instid1(VALU_DEP_2)
	v_cvt_u32_f32_e32 v28, v28
	v_xor_b32_e32 v26, v26, v23
	s_delay_alu instid0(VALU_DEP_2) | instskip(NEXT) | instid1(VALU_DEP_1)
	v_xor_b32_e32 v28, v28, v23
	v_sub_co_u32 v25, s3, v28, v23
	v_mov_b32_e32 v28, 0
	s_delay_alu instid0(VALU_DEP_4) | instskip(NEXT) | instid1(VALU_DEP_3)
	v_sub_co_ci_u32_e64 v23, s3, v26, v23, s3
	v_cndmask_b32_e64 v25, v25, -1, s2
	s_delay_alu instid0(VALU_DEP_2) | instskip(NEXT) | instid1(VALU_DEP_1)
	v_cndmask_b32_e64 v26, v23, -1, s2
	v_cmpx_lt_i64_e32 -1, v[25:26]
	s_cbranch_execz .LBB56_111
; %bb.100:
	v_mov_b32_e32 v28, 1.0
	s_mov_b32 s14, exec_lo
	v_cmpx_lt_i64_e32 0, v[25:26]
	s_cbranch_execz .LBB56_110
; %bb.101:
	v_lshlrev_b32_e32 v23, 16, v55
                                        ; implicit-def: $vgpr28
	s_mov_b32 s2, exec_lo
	v_cmpx_ne_u64_e32 1, v[25:26]
	s_xor_b32 s16, exec_lo, s2
	s_cbranch_execz .LBB56_107
; %bb.102:
	v_mov_b32_e32 v28, 0x7fc00000
	s_mov_b32 s17, exec_lo
	v_cmpx_gt_u64_e32 0x81, v[25:26]
	s_cbranch_execz .LBB56_106
; %bb.103:
	v_dual_add_f32 v23, v23, v23 :: v_dual_mov_b32 v56, 1.0
	v_lshlrev_b64 v[25:26], 1, v[25:26]
	s_mov_b64 s[2:3], 2
	s_mov_b32 s18, 0
	s_delay_alu instid0(VALU_DEP_2)
	v_mov_b32_e32 v28, v23
	.p2align	6
.LBB56_104:                             ; =>This Inner Loop Header: Depth=1
	s_clz_i32_u32 s19, s3
	s_delay_alu instid0(SALU_CYCLE_1) | instskip(NEXT) | instid1(SALU_CYCLE_1)
	s_min_u32 s19, s19, 32
	s_lshl_b64 s[20:21], s[2:3], s19
	s_sub_i32 s19, 32, s19
	s_min_u32 s20, s20, 1
	s_delay_alu instid0(SALU_CYCLE_1) | instskip(SKIP_3) | instid1(SALU_CYCLE_1)
	s_or_b32 s20, s21, s20
	s_add_u32 s2, s2, 2
	v_cvt_f32_u32_e32 v57, s20
	s_addc_u32 s3, s3, 0
	v_cmp_ge_u64_e32 vcc_lo, s[2:3], v[25:26]
	s_delay_alu instid0(VALU_DEP_2) | instskip(SKIP_1) | instid1(VALU_DEP_1)
	v_ldexp_f32 v57, v57, s19
	s_or_b32 s18, vcc_lo, s18
	v_mul_f32_e32 v57, v56, v57
	v_mov_b32_e32 v56, v28
	s_delay_alu instid0(VALU_DEP_2)
	v_fma_f32 v28, v23, v28, -v57
	s_and_not1_b32 exec_lo, exec_lo, s18
	s_cbranch_execnz .LBB56_104
; %bb.105:
	s_or_b32 exec_lo, exec_lo, s18
.LBB56_106:
	s_delay_alu instid0(SALU_CYCLE_1)
	s_or_b32 exec_lo, exec_lo, s17
                                        ; implicit-def: $vgpr23
.LBB56_107:
	s_and_not1_saveexec_b32 s2, s16
; %bb.108:
	v_add_f32_e32 v28, v23, v23
; %bb.109:
	s_or_b32 exec_lo, exec_lo, s2
.LBB56_110:
	s_delay_alu instid0(SALU_CYCLE_1)
	s_or_b32 exec_lo, exec_lo, s14
.LBB56_111:
	s_delay_alu instid0(SALU_CYCLE_1) | instskip(SKIP_3) | instid1(VALU_DEP_2)
	s_or_b32 exec_lo, exec_lo, s13
	v_bfe_u32 v23, v24, 16, 1
	v_cmp_u_f32_e32 vcc_lo, v24, v24
	s_mov_b32 s13, exec_lo
	v_add3_u32 v23, v24, v23, 0x7fff
	s_delay_alu instid0(VALU_DEP_1) | instskip(NEXT) | instid1(VALU_DEP_1)
	v_and_b32_e32 v23, 0xffff0000, v23
	v_cndmask_b32_e64 v24, v23, 0x7fc00000, vcc_lo
	v_and_b32_e32 v23, 0x7fffffff, v23
	s_delay_alu instid0(VALU_DEP_2) | instskip(NEXT) | instid1(VALU_DEP_2)
	v_trunc_f32_e32 v24, v24
	v_cmp_nlg_f32_e64 s2, 0x7f800000, v23
	s_delay_alu instid0(VALU_DEP_2) | instskip(NEXT) | instid1(VALU_DEP_2)
	v_mul_f32_e64 v25, 0x2f800000, |v24|
	s_or_b32 s2, vcc_lo, s2
	s_delay_alu instid0(VALU_DEP_1) | instskip(NEXT) | instid1(VALU_DEP_1)
	v_floor_f32_e32 v25, v25
	v_fma_f32 v26, 0xcf800000, v25, |v24|
	v_ashrrev_i32_e32 v24, 31, v24
	v_cvt_u32_f32_e32 v25, v25
	s_delay_alu instid0(VALU_DEP_3) | instskip(NEXT) | instid1(VALU_DEP_2)
	v_cvt_u32_f32_e32 v26, v26
	v_xor_b32_e32 v25, v25, v24
	s_delay_alu instid0(VALU_DEP_2) | instskip(NEXT) | instid1(VALU_DEP_1)
	v_xor_b32_e32 v26, v26, v24
	v_sub_co_u32 v23, s3, v26, v24
	s_delay_alu instid0(VALU_DEP_1) | instskip(SKIP_1) | instid1(VALU_DEP_3)
	v_sub_co_ci_u32_e64 v24, s3, v25, v24, s3
	v_mov_b32_e32 v25, 0
	v_cndmask_b32_e64 v23, v23, -1, s2
	s_delay_alu instid0(VALU_DEP_3) | instskip(NEXT) | instid1(VALU_DEP_1)
	v_cndmask_b32_e64 v24, v24, -1, s2
	v_cmpx_lt_i64_e32 -1, v[23:24]
	s_cbranch_execz .LBB56_123
; %bb.112:
	v_mov_b32_e32 v25, 1.0
	s_mov_b32 s14, exec_lo
	v_cmpx_lt_i64_e32 0, v[23:24]
	s_cbranch_execz .LBB56_122
; %bb.113:
	v_and_b32_e32 v26, 0xffff0000, v55
                                        ; implicit-def: $vgpr25
	s_mov_b32 s2, exec_lo
	v_cmpx_ne_u64_e32 1, v[23:24]
	s_xor_b32 s16, exec_lo, s2
	s_cbranch_execz .LBB56_119
; %bb.114:
	v_mov_b32_e32 v25, 0x7fc00000
	s_mov_b32 s17, exec_lo
	v_cmpx_gt_u64_e32 0x81, v[23:24]
	s_cbranch_execz .LBB56_118
; %bb.115:
	v_dual_add_f32 v26, v26, v26 :: v_dual_mov_b32 v55, 1.0
	v_lshlrev_b64 v[23:24], 1, v[23:24]
	s_mov_b64 s[2:3], 2
	s_mov_b32 s18, 0
	s_delay_alu instid0(VALU_DEP_2)
	v_mov_b32_e32 v25, v26
	.p2align	6
.LBB56_116:                             ; =>This Inner Loop Header: Depth=1
	s_clz_i32_u32 s19, s3
	s_delay_alu instid0(SALU_CYCLE_1) | instskip(NEXT) | instid1(SALU_CYCLE_1)
	s_min_u32 s19, s19, 32
	s_lshl_b64 s[20:21], s[2:3], s19
	s_sub_i32 s19, 32, s19
	s_min_u32 s20, s20, 1
	s_delay_alu instid0(SALU_CYCLE_1) | instskip(SKIP_3) | instid1(SALU_CYCLE_1)
	s_or_b32 s20, s21, s20
	s_add_u32 s2, s2, 2
	v_cvt_f32_u32_e32 v56, s20
	s_addc_u32 s3, s3, 0
	v_cmp_ge_u64_e32 vcc_lo, s[2:3], v[23:24]
	s_delay_alu instid0(VALU_DEP_2) | instskip(SKIP_1) | instid1(VALU_DEP_1)
	v_ldexp_f32 v56, v56, s19
	s_or_b32 s18, vcc_lo, s18
	v_dual_mul_f32 v56, v55, v56 :: v_dual_mov_b32 v55, v25
	s_delay_alu instid0(VALU_DEP_1)
	v_fma_f32 v25, v26, v25, -v56
	s_and_not1_b32 exec_lo, exec_lo, s18
	s_cbranch_execnz .LBB56_116
; %bb.117:
	s_or_b32 exec_lo, exec_lo, s18
.LBB56_118:
	s_delay_alu instid0(SALU_CYCLE_1)
	s_or_b32 exec_lo, exec_lo, s17
                                        ; implicit-def: $vgpr26
.LBB56_119:
	s_and_not1_saveexec_b32 s2, s16
; %bb.120:
	v_add_f32_e32 v25, v26, v26
; %bb.121:
	s_or_b32 exec_lo, exec_lo, s2
.LBB56_122:
	s_delay_alu instid0(SALU_CYCLE_1)
	s_or_b32 exec_lo, exec_lo, s14
.LBB56_123:
	s_delay_alu instid0(SALU_CYCLE_1) | instskip(SKIP_4) | instid1(VALU_DEP_2)
	s_or_b32 exec_lo, exec_lo, s13
	s_waitcnt vmcnt(10)
	v_bfe_u32 v23, v21, 16, 1
	v_cmp_u_f32_e32 vcc_lo, v21, v21
	s_mov_b32 s13, exec_lo
	v_add3_u32 v23, v21, v23, 0x7fff
	s_delay_alu instid0(VALU_DEP_1) | instskip(NEXT) | instid1(VALU_DEP_1)
	v_and_b32_e32 v23, 0xffff0000, v23
	v_cndmask_b32_e64 v21, v23, 0x7fc00000, vcc_lo
	v_and_b32_e32 v23, 0x7fffffff, v23
	s_delay_alu instid0(VALU_DEP_2) | instskip(NEXT) | instid1(VALU_DEP_2)
	v_trunc_f32_e32 v21, v21
	v_cmp_nlg_f32_e64 s2, 0x7f800000, v23
	s_delay_alu instid0(VALU_DEP_2) | instskip(NEXT) | instid1(VALU_DEP_2)
	v_mul_f32_e64 v24, 0x2f800000, |v21|
	s_or_b32 s2, vcc_lo, s2
	s_delay_alu instid0(VALU_DEP_1) | instskip(NEXT) | instid1(VALU_DEP_1)
	v_floor_f32_e32 v24, v24
	v_fma_f32 v26, 0xcf800000, v24, |v21|
	v_ashrrev_i32_e32 v21, 31, v21
	v_cvt_u32_f32_e32 v24, v24
	s_delay_alu instid0(VALU_DEP_3) | instskip(NEXT) | instid1(VALU_DEP_2)
	v_cvt_u32_f32_e32 v26, v26
	v_xor_b32_e32 v24, v24, v21
	s_delay_alu instid0(VALU_DEP_2) | instskip(NEXT) | instid1(VALU_DEP_1)
	v_xor_b32_e32 v26, v26, v21
	v_sub_co_u32 v23, s3, v26, v21
	v_mov_b32_e32 v26, 0
	s_delay_alu instid0(VALU_DEP_4) | instskip(NEXT) | instid1(VALU_DEP_3)
	v_sub_co_ci_u32_e64 v21, s3, v24, v21, s3
	v_cndmask_b32_e64 v23, v23, -1, s2
	s_delay_alu instid0(VALU_DEP_2) | instskip(NEXT) | instid1(VALU_DEP_1)
	v_cndmask_b32_e64 v24, v21, -1, s2
	v_cmpx_lt_i64_e32 -1, v[23:24]
	s_cbranch_execz .LBB56_135
; %bb.124:
	v_mov_b32_e32 v26, 1.0
	s_mov_b32 s14, exec_lo
	v_cmpx_lt_i64_e32 0, v[23:24]
	s_cbranch_execz .LBB56_134
; %bb.125:
	v_lshlrev_b32_e32 v21, 16, v54
                                        ; implicit-def: $vgpr26
	s_mov_b32 s2, exec_lo
	v_cmpx_ne_u64_e32 1, v[23:24]
	s_xor_b32 s16, exec_lo, s2
	s_cbranch_execz .LBB56_131
; %bb.126:
	v_mov_b32_e32 v26, 0x7fc00000
	s_mov_b32 s17, exec_lo
	v_cmpx_gt_u64_e32 0x81, v[23:24]
	s_cbranch_execz .LBB56_130
; %bb.127:
	v_add_f32_e32 v21, v21, v21
	v_lshlrev_b64 v[23:24], 1, v[23:24]
	v_mov_b32_e32 v55, 1.0
	s_mov_b64 s[2:3], 2
	s_mov_b32 s18, 0
	v_mov_b32_e32 v26, v21
	.p2align	6
.LBB56_128:                             ; =>This Inner Loop Header: Depth=1
	s_clz_i32_u32 s19, s3
	s_delay_alu instid0(SALU_CYCLE_1) | instskip(NEXT) | instid1(SALU_CYCLE_1)
	s_min_u32 s19, s19, 32
	s_lshl_b64 s[20:21], s[2:3], s19
	s_sub_i32 s19, 32, s19
	s_min_u32 s20, s20, 1
	s_delay_alu instid0(SALU_CYCLE_1) | instskip(SKIP_3) | instid1(SALU_CYCLE_1)
	s_or_b32 s20, s21, s20
	s_add_u32 s2, s2, 2
	v_cvt_f32_u32_e32 v56, s20
	s_addc_u32 s3, s3, 0
	v_cmp_ge_u64_e32 vcc_lo, s[2:3], v[23:24]
	s_delay_alu instid0(VALU_DEP_2) | instskip(SKIP_1) | instid1(VALU_DEP_1)
	v_ldexp_f32 v56, v56, s19
	s_or_b32 s18, vcc_lo, s18
	v_dual_mul_f32 v56, v55, v56 :: v_dual_mov_b32 v55, v26
	s_delay_alu instid0(VALU_DEP_1)
	v_fma_f32 v26, v21, v26, -v56
	s_and_not1_b32 exec_lo, exec_lo, s18
	s_cbranch_execnz .LBB56_128
; %bb.129:
	s_or_b32 exec_lo, exec_lo, s18
.LBB56_130:
	s_delay_alu instid0(SALU_CYCLE_1)
	s_or_b32 exec_lo, exec_lo, s17
                                        ; implicit-def: $vgpr21
.LBB56_131:
	s_and_not1_saveexec_b32 s2, s16
; %bb.132:
	v_add_f32_e32 v26, v21, v21
; %bb.133:
	s_or_b32 exec_lo, exec_lo, s2
.LBB56_134:
	s_delay_alu instid0(SALU_CYCLE_1)
	s_or_b32 exec_lo, exec_lo, s14
.LBB56_135:
	s_delay_alu instid0(SALU_CYCLE_1) | instskip(SKIP_3) | instid1(VALU_DEP_2)
	s_or_b32 exec_lo, exec_lo, s13
	v_bfe_u32 v21, v22, 16, 1
	v_cmp_u_f32_e32 vcc_lo, v22, v22
	s_mov_b32 s13, exec_lo
	v_add3_u32 v21, v22, v21, 0x7fff
	s_delay_alu instid0(VALU_DEP_1) | instskip(NEXT) | instid1(VALU_DEP_1)
	v_and_b32_e32 v21, 0xffff0000, v21
	v_cndmask_b32_e64 v22, v21, 0x7fc00000, vcc_lo
	v_and_b32_e32 v21, 0x7fffffff, v21
	s_delay_alu instid0(VALU_DEP_2) | instskip(NEXT) | instid1(VALU_DEP_2)
	v_trunc_f32_e32 v22, v22
	v_cmp_nlg_f32_e64 s2, 0x7f800000, v21
	s_delay_alu instid0(VALU_DEP_2) | instskip(NEXT) | instid1(VALU_DEP_2)
	v_mul_f32_e64 v23, 0x2f800000, |v22|
	s_or_b32 s2, vcc_lo, s2
	s_delay_alu instid0(VALU_DEP_1) | instskip(NEXT) | instid1(VALU_DEP_1)
	v_floor_f32_e32 v23, v23
	v_fma_f32 v24, 0xcf800000, v23, |v22|
	v_ashrrev_i32_e32 v22, 31, v22
	v_cvt_u32_f32_e32 v23, v23
	s_delay_alu instid0(VALU_DEP_3) | instskip(NEXT) | instid1(VALU_DEP_2)
	v_cvt_u32_f32_e32 v24, v24
	v_xor_b32_e32 v23, v23, v22
	s_delay_alu instid0(VALU_DEP_2) | instskip(NEXT) | instid1(VALU_DEP_1)
	v_xor_b32_e32 v24, v24, v22
	v_sub_co_u32 v21, s3, v24, v22
	s_delay_alu instid0(VALU_DEP_1) | instskip(SKIP_1) | instid1(VALU_DEP_3)
	v_sub_co_ci_u32_e64 v22, s3, v23, v22, s3
	v_mov_b32_e32 v23, 0
	v_cndmask_b32_e64 v21, v21, -1, s2
	s_delay_alu instid0(VALU_DEP_3) | instskip(NEXT) | instid1(VALU_DEP_1)
	v_cndmask_b32_e64 v22, v22, -1, s2
	v_cmpx_lt_i64_e32 -1, v[21:22]
	s_cbranch_execz .LBB56_147
; %bb.136:
	v_mov_b32_e32 v23, 1.0
	s_mov_b32 s14, exec_lo
	v_cmpx_lt_i64_e32 0, v[21:22]
	s_cbranch_execz .LBB56_146
; %bb.137:
	v_and_b32_e32 v24, 0xffff0000, v54
                                        ; implicit-def: $vgpr23
	s_mov_b32 s2, exec_lo
	v_cmpx_ne_u64_e32 1, v[21:22]
	s_xor_b32 s16, exec_lo, s2
	s_cbranch_execz .LBB56_143
; %bb.138:
	v_mov_b32_e32 v23, 0x7fc00000
	s_mov_b32 s17, exec_lo
	v_cmpx_gt_u64_e32 0x81, v[21:22]
	s_cbranch_execz .LBB56_142
; %bb.139:
	v_add_f32_e32 v24, v24, v24
	v_lshlrev_b64 v[21:22], 1, v[21:22]
	v_mov_b32_e32 v54, 1.0
	s_mov_b64 s[2:3], 2
	s_mov_b32 s18, 0
	v_mov_b32_e32 v23, v24
	.p2align	6
.LBB56_140:                             ; =>This Inner Loop Header: Depth=1
	s_clz_i32_u32 s19, s3
	s_delay_alu instid0(SALU_CYCLE_1) | instskip(NEXT) | instid1(SALU_CYCLE_1)
	s_min_u32 s19, s19, 32
	s_lshl_b64 s[20:21], s[2:3], s19
	s_sub_i32 s19, 32, s19
	s_min_u32 s20, s20, 1
	s_delay_alu instid0(SALU_CYCLE_1) | instskip(SKIP_3) | instid1(SALU_CYCLE_1)
	s_or_b32 s20, s21, s20
	s_add_u32 s2, s2, 2
	v_cvt_f32_u32_e32 v55, s20
	s_addc_u32 s3, s3, 0
	v_cmp_ge_u64_e32 vcc_lo, s[2:3], v[21:22]
	s_delay_alu instid0(VALU_DEP_2) | instskip(SKIP_1) | instid1(VALU_DEP_1)
	v_ldexp_f32 v55, v55, s19
	s_or_b32 s18, vcc_lo, s18
	v_dual_mul_f32 v55, v54, v55 :: v_dual_mov_b32 v54, v23
	s_delay_alu instid0(VALU_DEP_1)
	v_fma_f32 v23, v24, v23, -v55
	s_and_not1_b32 exec_lo, exec_lo, s18
	s_cbranch_execnz .LBB56_140
; %bb.141:
	s_or_b32 exec_lo, exec_lo, s18
.LBB56_142:
	s_delay_alu instid0(SALU_CYCLE_1)
	s_or_b32 exec_lo, exec_lo, s17
                                        ; implicit-def: $vgpr24
.LBB56_143:
	s_and_not1_saveexec_b32 s2, s16
; %bb.144:
	v_add_f32_e32 v23, v24, v24
; %bb.145:
	s_or_b32 exec_lo, exec_lo, s2
.LBB56_146:
	s_delay_alu instid0(SALU_CYCLE_1)
	s_or_b32 exec_lo, exec_lo, s14
.LBB56_147:
	s_delay_alu instid0(SALU_CYCLE_1) | instskip(SKIP_4) | instid1(VALU_DEP_2)
	s_or_b32 exec_lo, exec_lo, s13
	s_waitcnt vmcnt(9)
	v_bfe_u32 v21, v19, 16, 1
	v_cmp_u_f32_e32 vcc_lo, v19, v19
	s_mov_b32 s13, exec_lo
	v_add3_u32 v21, v19, v21, 0x7fff
	s_delay_alu instid0(VALU_DEP_1) | instskip(NEXT) | instid1(VALU_DEP_1)
	v_and_b32_e32 v21, 0xffff0000, v21
	v_cndmask_b32_e64 v19, v21, 0x7fc00000, vcc_lo
	v_and_b32_e32 v21, 0x7fffffff, v21
	s_delay_alu instid0(VALU_DEP_2) | instskip(NEXT) | instid1(VALU_DEP_2)
	v_trunc_f32_e32 v19, v19
	v_cmp_nlg_f32_e64 s2, 0x7f800000, v21
	s_delay_alu instid0(VALU_DEP_2) | instskip(NEXT) | instid1(VALU_DEP_2)
	v_mul_f32_e64 v22, 0x2f800000, |v19|
	s_or_b32 s2, vcc_lo, s2
	s_delay_alu instid0(VALU_DEP_1) | instskip(NEXT) | instid1(VALU_DEP_1)
	v_floor_f32_e32 v22, v22
	v_fma_f32 v24, 0xcf800000, v22, |v19|
	v_ashrrev_i32_e32 v19, 31, v19
	v_cvt_u32_f32_e32 v22, v22
	s_delay_alu instid0(VALU_DEP_3) | instskip(NEXT) | instid1(VALU_DEP_2)
	v_cvt_u32_f32_e32 v24, v24
	v_xor_b32_e32 v22, v22, v19
	s_delay_alu instid0(VALU_DEP_2) | instskip(NEXT) | instid1(VALU_DEP_1)
	v_xor_b32_e32 v24, v24, v19
	v_sub_co_u32 v21, s3, v24, v19
	v_mov_b32_e32 v24, 0
	s_delay_alu instid0(VALU_DEP_4) | instskip(NEXT) | instid1(VALU_DEP_3)
	v_sub_co_ci_u32_e64 v19, s3, v22, v19, s3
	v_cndmask_b32_e64 v21, v21, -1, s2
	s_delay_alu instid0(VALU_DEP_2) | instskip(NEXT) | instid1(VALU_DEP_1)
	v_cndmask_b32_e64 v22, v19, -1, s2
	v_cmpx_lt_i64_e32 -1, v[21:22]
	s_cbranch_execz .LBB56_159
; %bb.148:
	v_mov_b32_e32 v24, 1.0
	s_mov_b32 s14, exec_lo
	v_cmpx_lt_i64_e32 0, v[21:22]
	s_cbranch_execz .LBB56_158
; %bb.149:
	v_lshlrev_b32_e32 v19, 16, v53
                                        ; implicit-def: $vgpr24
	s_mov_b32 s2, exec_lo
	v_cmpx_ne_u64_e32 1, v[21:22]
	s_xor_b32 s16, exec_lo, s2
	s_cbranch_execz .LBB56_155
; %bb.150:
	v_mov_b32_e32 v24, 0x7fc00000
	s_mov_b32 s17, exec_lo
	v_cmpx_gt_u64_e32 0x81, v[21:22]
	s_cbranch_execz .LBB56_154
; %bb.151:
	v_dual_add_f32 v19, v19, v19 :: v_dual_mov_b32 v54, 1.0
	v_lshlrev_b64 v[21:22], 1, v[21:22]
	s_mov_b64 s[2:3], 2
	s_mov_b32 s18, 0
	s_delay_alu instid0(VALU_DEP_2)
	v_mov_b32_e32 v24, v19
	.p2align	6
.LBB56_152:                             ; =>This Inner Loop Header: Depth=1
	s_clz_i32_u32 s19, s3
	s_delay_alu instid0(SALU_CYCLE_1) | instskip(NEXT) | instid1(SALU_CYCLE_1)
	s_min_u32 s19, s19, 32
	s_lshl_b64 s[20:21], s[2:3], s19
	s_sub_i32 s19, 32, s19
	s_min_u32 s20, s20, 1
	s_delay_alu instid0(SALU_CYCLE_1) | instskip(SKIP_3) | instid1(SALU_CYCLE_1)
	s_or_b32 s20, s21, s20
	s_add_u32 s2, s2, 2
	v_cvt_f32_u32_e32 v55, s20
	s_addc_u32 s3, s3, 0
	v_cmp_ge_u64_e32 vcc_lo, s[2:3], v[21:22]
	s_delay_alu instid0(VALU_DEP_2) | instskip(SKIP_1) | instid1(VALU_DEP_1)
	v_ldexp_f32 v55, v55, s19
	s_or_b32 s18, vcc_lo, s18
	v_dual_mul_f32 v55, v54, v55 :: v_dual_mov_b32 v54, v24
	s_delay_alu instid0(VALU_DEP_1)
	v_fma_f32 v24, v19, v24, -v55
	s_and_not1_b32 exec_lo, exec_lo, s18
	s_cbranch_execnz .LBB56_152
; %bb.153:
	s_or_b32 exec_lo, exec_lo, s18
.LBB56_154:
	s_delay_alu instid0(SALU_CYCLE_1)
	s_or_b32 exec_lo, exec_lo, s17
                                        ; implicit-def: $vgpr19
.LBB56_155:
	s_and_not1_saveexec_b32 s2, s16
; %bb.156:
	v_add_f32_e32 v24, v19, v19
; %bb.157:
	s_or_b32 exec_lo, exec_lo, s2
.LBB56_158:
	s_delay_alu instid0(SALU_CYCLE_1)
	s_or_b32 exec_lo, exec_lo, s14
.LBB56_159:
	s_delay_alu instid0(SALU_CYCLE_1) | instskip(SKIP_3) | instid1(VALU_DEP_2)
	s_or_b32 exec_lo, exec_lo, s13
	v_bfe_u32 v19, v20, 16, 1
	v_cmp_u_f32_e32 vcc_lo, v20, v20
	s_mov_b32 s13, exec_lo
	v_add3_u32 v19, v20, v19, 0x7fff
	s_delay_alu instid0(VALU_DEP_1) | instskip(NEXT) | instid1(VALU_DEP_1)
	v_and_b32_e32 v19, 0xffff0000, v19
	v_cndmask_b32_e64 v20, v19, 0x7fc00000, vcc_lo
	v_and_b32_e32 v19, 0x7fffffff, v19
	s_delay_alu instid0(VALU_DEP_2) | instskip(NEXT) | instid1(VALU_DEP_2)
	v_trunc_f32_e32 v20, v20
	v_cmp_nlg_f32_e64 s2, 0x7f800000, v19
	s_delay_alu instid0(VALU_DEP_2) | instskip(NEXT) | instid1(VALU_DEP_2)
	v_mul_f32_e64 v21, 0x2f800000, |v20|
	s_or_b32 s2, vcc_lo, s2
	s_delay_alu instid0(VALU_DEP_1) | instskip(NEXT) | instid1(VALU_DEP_1)
	v_floor_f32_e32 v21, v21
	v_fma_f32 v22, 0xcf800000, v21, |v20|
	v_ashrrev_i32_e32 v20, 31, v20
	v_cvt_u32_f32_e32 v21, v21
	s_delay_alu instid0(VALU_DEP_3) | instskip(NEXT) | instid1(VALU_DEP_2)
	v_cvt_u32_f32_e32 v22, v22
	v_xor_b32_e32 v21, v21, v20
	s_delay_alu instid0(VALU_DEP_2) | instskip(NEXT) | instid1(VALU_DEP_1)
	v_xor_b32_e32 v22, v22, v20
	v_sub_co_u32 v19, s3, v22, v20
	s_delay_alu instid0(VALU_DEP_1) | instskip(SKIP_1) | instid1(VALU_DEP_3)
	v_sub_co_ci_u32_e64 v20, s3, v21, v20, s3
	v_mov_b32_e32 v21, 0
	v_cndmask_b32_e64 v19, v19, -1, s2
	s_delay_alu instid0(VALU_DEP_3) | instskip(NEXT) | instid1(VALU_DEP_1)
	v_cndmask_b32_e64 v20, v20, -1, s2
	v_cmpx_lt_i64_e32 -1, v[19:20]
	s_cbranch_execz .LBB56_171
; %bb.160:
	v_mov_b32_e32 v21, 1.0
	s_mov_b32 s14, exec_lo
	v_cmpx_lt_i64_e32 0, v[19:20]
	s_cbranch_execz .LBB56_170
; %bb.161:
	v_and_b32_e32 v22, 0xffff0000, v53
                                        ; implicit-def: $vgpr21
	s_mov_b32 s2, exec_lo
	v_cmpx_ne_u64_e32 1, v[19:20]
	s_xor_b32 s16, exec_lo, s2
	s_cbranch_execz .LBB56_167
; %bb.162:
	v_mov_b32_e32 v21, 0x7fc00000
	s_mov_b32 s17, exec_lo
	v_cmpx_gt_u64_e32 0x81, v[19:20]
	s_cbranch_execz .LBB56_166
; %bb.163:
	v_dual_add_f32 v22, v22, v22 :: v_dual_mov_b32 v53, 1.0
	v_lshlrev_b64 v[19:20], 1, v[19:20]
	s_mov_b64 s[2:3], 2
	s_mov_b32 s18, 0
	s_delay_alu instid0(VALU_DEP_2)
	v_mov_b32_e32 v21, v22
	.p2align	6
.LBB56_164:                             ; =>This Inner Loop Header: Depth=1
	s_clz_i32_u32 s19, s3
	s_delay_alu instid0(SALU_CYCLE_1) | instskip(NEXT) | instid1(SALU_CYCLE_1)
	s_min_u32 s19, s19, 32
	s_lshl_b64 s[20:21], s[2:3], s19
	s_sub_i32 s19, 32, s19
	s_min_u32 s20, s20, 1
	s_delay_alu instid0(SALU_CYCLE_1) | instskip(SKIP_3) | instid1(SALU_CYCLE_1)
	s_or_b32 s20, s21, s20
	s_add_u32 s2, s2, 2
	v_cvt_f32_u32_e32 v54, s20
	s_addc_u32 s3, s3, 0
	v_cmp_ge_u64_e32 vcc_lo, s[2:3], v[19:20]
	s_delay_alu instid0(VALU_DEP_2) | instskip(SKIP_1) | instid1(VALU_DEP_1)
	v_ldexp_f32 v54, v54, s19
	s_or_b32 s18, vcc_lo, s18
	v_mul_f32_e32 v54, v53, v54
	v_mov_b32_e32 v53, v21
	s_delay_alu instid0(VALU_DEP_2)
	v_fma_f32 v21, v22, v21, -v54
	s_and_not1_b32 exec_lo, exec_lo, s18
	s_cbranch_execnz .LBB56_164
; %bb.165:
	s_or_b32 exec_lo, exec_lo, s18
.LBB56_166:
	s_delay_alu instid0(SALU_CYCLE_1)
	s_or_b32 exec_lo, exec_lo, s17
                                        ; implicit-def: $vgpr22
.LBB56_167:
	s_and_not1_saveexec_b32 s2, s16
; %bb.168:
	v_add_f32_e32 v21, v22, v22
; %bb.169:
	s_or_b32 exec_lo, exec_lo, s2
.LBB56_170:
	s_delay_alu instid0(SALU_CYCLE_1)
	s_or_b32 exec_lo, exec_lo, s14
.LBB56_171:
	s_delay_alu instid0(SALU_CYCLE_1) | instskip(SKIP_4) | instid1(VALU_DEP_2)
	s_or_b32 exec_lo, exec_lo, s13
	s_waitcnt vmcnt(8)
	v_bfe_u32 v19, v17, 16, 1
	v_cmp_u_f32_e32 vcc_lo, v17, v17
	s_mov_b32 s13, exec_lo
	v_add3_u32 v19, v17, v19, 0x7fff
	s_delay_alu instid0(VALU_DEP_1) | instskip(NEXT) | instid1(VALU_DEP_1)
	v_and_b32_e32 v19, 0xffff0000, v19
	v_cndmask_b32_e64 v17, v19, 0x7fc00000, vcc_lo
	v_and_b32_e32 v19, 0x7fffffff, v19
	s_delay_alu instid0(VALU_DEP_2) | instskip(NEXT) | instid1(VALU_DEP_2)
	v_trunc_f32_e32 v17, v17
	v_cmp_nlg_f32_e64 s2, 0x7f800000, v19
	s_delay_alu instid0(VALU_DEP_2) | instskip(NEXT) | instid1(VALU_DEP_2)
	v_mul_f32_e64 v20, 0x2f800000, |v17|
	s_or_b32 s2, vcc_lo, s2
	s_delay_alu instid0(VALU_DEP_1) | instskip(NEXT) | instid1(VALU_DEP_1)
	v_floor_f32_e32 v20, v20
	v_fma_f32 v22, 0xcf800000, v20, |v17|
	v_ashrrev_i32_e32 v17, 31, v17
	v_cvt_u32_f32_e32 v20, v20
	s_delay_alu instid0(VALU_DEP_3) | instskip(NEXT) | instid1(VALU_DEP_2)
	v_cvt_u32_f32_e32 v22, v22
	v_xor_b32_e32 v20, v20, v17
	s_delay_alu instid0(VALU_DEP_2) | instskip(NEXT) | instid1(VALU_DEP_1)
	v_xor_b32_e32 v22, v22, v17
	v_sub_co_u32 v19, s3, v22, v17
	v_mov_b32_e32 v22, 0
	s_delay_alu instid0(VALU_DEP_4) | instskip(NEXT) | instid1(VALU_DEP_3)
	v_sub_co_ci_u32_e64 v17, s3, v20, v17, s3
	v_cndmask_b32_e64 v19, v19, -1, s2
	s_delay_alu instid0(VALU_DEP_2) | instskip(NEXT) | instid1(VALU_DEP_1)
	v_cndmask_b32_e64 v20, v17, -1, s2
	v_cmpx_lt_i64_e32 -1, v[19:20]
	s_cbranch_execz .LBB56_183
; %bb.172:
	v_mov_b32_e32 v22, 1.0
	s_mov_b32 s14, exec_lo
	v_cmpx_lt_i64_e32 0, v[19:20]
	s_cbranch_execz .LBB56_182
; %bb.173:
	v_lshlrev_b32_e32 v17, 16, v52
                                        ; implicit-def: $vgpr22
	s_mov_b32 s2, exec_lo
	v_cmpx_ne_u64_e32 1, v[19:20]
	s_xor_b32 s16, exec_lo, s2
	s_cbranch_execz .LBB56_179
; %bb.174:
	v_mov_b32_e32 v22, 0x7fc00000
	s_mov_b32 s17, exec_lo
	v_cmpx_gt_u64_e32 0x81, v[19:20]
	s_cbranch_execz .LBB56_178
; %bb.175:
	v_add_f32_e32 v17, v17, v17
	v_lshlrev_b64 v[19:20], 1, v[19:20]
	v_mov_b32_e32 v53, 1.0
	s_mov_b64 s[2:3], 2
	s_mov_b32 s18, 0
	v_mov_b32_e32 v22, v17
	.p2align	6
.LBB56_176:                             ; =>This Inner Loop Header: Depth=1
	s_clz_i32_u32 s19, s3
	s_delay_alu instid0(SALU_CYCLE_1) | instskip(NEXT) | instid1(SALU_CYCLE_1)
	s_min_u32 s19, s19, 32
	s_lshl_b64 s[20:21], s[2:3], s19
	s_sub_i32 s19, 32, s19
	s_min_u32 s20, s20, 1
	s_delay_alu instid0(SALU_CYCLE_1) | instskip(SKIP_3) | instid1(SALU_CYCLE_1)
	s_or_b32 s20, s21, s20
	s_add_u32 s2, s2, 2
	v_cvt_f32_u32_e32 v54, s20
	s_addc_u32 s3, s3, 0
	v_cmp_ge_u64_e32 vcc_lo, s[2:3], v[19:20]
	s_delay_alu instid0(VALU_DEP_2) | instskip(SKIP_1) | instid1(VALU_DEP_1)
	v_ldexp_f32 v54, v54, s19
	s_or_b32 s18, vcc_lo, s18
	v_dual_mul_f32 v54, v53, v54 :: v_dual_mov_b32 v53, v22
	s_delay_alu instid0(VALU_DEP_1)
	v_fma_f32 v22, v17, v22, -v54
	s_and_not1_b32 exec_lo, exec_lo, s18
	s_cbranch_execnz .LBB56_176
; %bb.177:
	s_or_b32 exec_lo, exec_lo, s18
.LBB56_178:
	s_delay_alu instid0(SALU_CYCLE_1)
	s_or_b32 exec_lo, exec_lo, s17
                                        ; implicit-def: $vgpr17
.LBB56_179:
	s_and_not1_saveexec_b32 s2, s16
; %bb.180:
	v_add_f32_e32 v22, v17, v17
; %bb.181:
	s_or_b32 exec_lo, exec_lo, s2
.LBB56_182:
	s_delay_alu instid0(SALU_CYCLE_1)
	s_or_b32 exec_lo, exec_lo, s14
.LBB56_183:
	s_delay_alu instid0(SALU_CYCLE_1) | instskip(SKIP_3) | instid1(VALU_DEP_2)
	s_or_b32 exec_lo, exec_lo, s13
	v_bfe_u32 v17, v18, 16, 1
	v_cmp_u_f32_e32 vcc_lo, v18, v18
	s_mov_b32 s13, exec_lo
	v_add3_u32 v17, v18, v17, 0x7fff
	s_delay_alu instid0(VALU_DEP_1) | instskip(NEXT) | instid1(VALU_DEP_1)
	v_and_b32_e32 v17, 0xffff0000, v17
	v_cndmask_b32_e64 v18, v17, 0x7fc00000, vcc_lo
	v_and_b32_e32 v17, 0x7fffffff, v17
	s_delay_alu instid0(VALU_DEP_2) | instskip(NEXT) | instid1(VALU_DEP_2)
	v_trunc_f32_e32 v18, v18
	v_cmp_nlg_f32_e64 s2, 0x7f800000, v17
	s_delay_alu instid0(VALU_DEP_2) | instskip(NEXT) | instid1(VALU_DEP_2)
	v_mul_f32_e64 v19, 0x2f800000, |v18|
	s_or_b32 s2, vcc_lo, s2
	s_delay_alu instid0(VALU_DEP_1) | instskip(NEXT) | instid1(VALU_DEP_1)
	v_floor_f32_e32 v19, v19
	v_fma_f32 v20, 0xcf800000, v19, |v18|
	v_ashrrev_i32_e32 v18, 31, v18
	v_cvt_u32_f32_e32 v19, v19
	s_delay_alu instid0(VALU_DEP_3) | instskip(NEXT) | instid1(VALU_DEP_2)
	v_cvt_u32_f32_e32 v20, v20
	v_xor_b32_e32 v19, v19, v18
	s_delay_alu instid0(VALU_DEP_2) | instskip(NEXT) | instid1(VALU_DEP_1)
	v_xor_b32_e32 v20, v20, v18
	v_sub_co_u32 v17, s3, v20, v18
	s_delay_alu instid0(VALU_DEP_1) | instskip(SKIP_1) | instid1(VALU_DEP_3)
	v_sub_co_ci_u32_e64 v18, s3, v19, v18, s3
	v_mov_b32_e32 v19, 0
	v_cndmask_b32_e64 v17, v17, -1, s2
	s_delay_alu instid0(VALU_DEP_3) | instskip(NEXT) | instid1(VALU_DEP_1)
	v_cndmask_b32_e64 v18, v18, -1, s2
	v_cmpx_lt_i64_e32 -1, v[17:18]
	s_cbranch_execz .LBB56_195
; %bb.184:
	v_mov_b32_e32 v19, 1.0
	s_mov_b32 s14, exec_lo
	v_cmpx_lt_i64_e32 0, v[17:18]
	s_cbranch_execz .LBB56_194
; %bb.185:
	v_and_b32_e32 v20, 0xffff0000, v52
                                        ; implicit-def: $vgpr19
	s_mov_b32 s2, exec_lo
	v_cmpx_ne_u64_e32 1, v[17:18]
	s_xor_b32 s16, exec_lo, s2
	s_cbranch_execz .LBB56_191
; %bb.186:
	v_mov_b32_e32 v19, 0x7fc00000
	s_mov_b32 s17, exec_lo
	v_cmpx_gt_u64_e32 0x81, v[17:18]
	s_cbranch_execz .LBB56_190
; %bb.187:
	v_add_f32_e32 v20, v20, v20
	v_lshlrev_b64 v[17:18], 1, v[17:18]
	v_mov_b32_e32 v52, 1.0
	s_mov_b64 s[2:3], 2
	s_mov_b32 s18, 0
	v_mov_b32_e32 v19, v20
	.p2align	6
.LBB56_188:                             ; =>This Inner Loop Header: Depth=1
	s_clz_i32_u32 s19, s3
	s_delay_alu instid0(SALU_CYCLE_1) | instskip(NEXT) | instid1(SALU_CYCLE_1)
	s_min_u32 s19, s19, 32
	s_lshl_b64 s[20:21], s[2:3], s19
	s_sub_i32 s19, 32, s19
	s_min_u32 s20, s20, 1
	s_delay_alu instid0(SALU_CYCLE_1) | instskip(SKIP_3) | instid1(SALU_CYCLE_1)
	s_or_b32 s20, s21, s20
	s_add_u32 s2, s2, 2
	v_cvt_f32_u32_e32 v53, s20
	s_addc_u32 s3, s3, 0
	v_cmp_ge_u64_e32 vcc_lo, s[2:3], v[17:18]
	s_delay_alu instid0(VALU_DEP_2) | instskip(SKIP_1) | instid1(VALU_DEP_1)
	v_ldexp_f32 v53, v53, s19
	s_or_b32 s18, vcc_lo, s18
	v_dual_mul_f32 v53, v52, v53 :: v_dual_mov_b32 v52, v19
	s_delay_alu instid0(VALU_DEP_1)
	v_fma_f32 v19, v20, v19, -v53
	s_and_not1_b32 exec_lo, exec_lo, s18
	s_cbranch_execnz .LBB56_188
; %bb.189:
	s_or_b32 exec_lo, exec_lo, s18
.LBB56_190:
	s_delay_alu instid0(SALU_CYCLE_1)
	s_or_b32 exec_lo, exec_lo, s17
                                        ; implicit-def: $vgpr20
.LBB56_191:
	s_and_not1_saveexec_b32 s2, s16
; %bb.192:
	v_add_f32_e32 v19, v20, v20
; %bb.193:
	s_or_b32 exec_lo, exec_lo, s2
.LBB56_194:
	s_delay_alu instid0(SALU_CYCLE_1)
	s_or_b32 exec_lo, exec_lo, s14
.LBB56_195:
	s_delay_alu instid0(SALU_CYCLE_1) | instskip(SKIP_4) | instid1(VALU_DEP_2)
	s_or_b32 exec_lo, exec_lo, s13
	s_waitcnt vmcnt(7)
	v_bfe_u32 v17, v15, 16, 1
	v_cmp_u_f32_e32 vcc_lo, v15, v15
	s_mov_b32 s13, exec_lo
	v_add3_u32 v17, v15, v17, 0x7fff
	s_delay_alu instid0(VALU_DEP_1) | instskip(NEXT) | instid1(VALU_DEP_1)
	v_and_b32_e32 v17, 0xffff0000, v17
	v_cndmask_b32_e64 v15, v17, 0x7fc00000, vcc_lo
	v_and_b32_e32 v17, 0x7fffffff, v17
	s_delay_alu instid0(VALU_DEP_2) | instskip(NEXT) | instid1(VALU_DEP_2)
	v_trunc_f32_e32 v15, v15
	v_cmp_nlg_f32_e64 s2, 0x7f800000, v17
	s_delay_alu instid0(VALU_DEP_2) | instskip(NEXT) | instid1(VALU_DEP_2)
	v_mul_f32_e64 v18, 0x2f800000, |v15|
	s_or_b32 s2, vcc_lo, s2
	s_delay_alu instid0(VALU_DEP_1) | instskip(NEXT) | instid1(VALU_DEP_1)
	v_floor_f32_e32 v18, v18
	v_fma_f32 v20, 0xcf800000, v18, |v15|
	v_ashrrev_i32_e32 v15, 31, v15
	v_cvt_u32_f32_e32 v18, v18
	s_delay_alu instid0(VALU_DEP_3) | instskip(NEXT) | instid1(VALU_DEP_2)
	v_cvt_u32_f32_e32 v20, v20
	v_xor_b32_e32 v18, v18, v15
	s_delay_alu instid0(VALU_DEP_2) | instskip(NEXT) | instid1(VALU_DEP_1)
	v_xor_b32_e32 v20, v20, v15
	v_sub_co_u32 v17, s3, v20, v15
	v_mov_b32_e32 v20, 0
	s_delay_alu instid0(VALU_DEP_4) | instskip(NEXT) | instid1(VALU_DEP_3)
	v_sub_co_ci_u32_e64 v15, s3, v18, v15, s3
	v_cndmask_b32_e64 v17, v17, -1, s2
	s_delay_alu instid0(VALU_DEP_2) | instskip(NEXT) | instid1(VALU_DEP_1)
	v_cndmask_b32_e64 v18, v15, -1, s2
	v_cmpx_lt_i64_e32 -1, v[17:18]
	s_cbranch_execz .LBB56_207
; %bb.196:
	v_mov_b32_e32 v20, 1.0
	s_mov_b32 s14, exec_lo
	v_cmpx_lt_i64_e32 0, v[17:18]
	s_cbranch_execz .LBB56_206
; %bb.197:
	v_lshlrev_b32_e32 v15, 16, v51
                                        ; implicit-def: $vgpr20
	s_mov_b32 s2, exec_lo
	v_cmpx_ne_u64_e32 1, v[17:18]
	s_xor_b32 s16, exec_lo, s2
	s_cbranch_execz .LBB56_203
; %bb.198:
	v_mov_b32_e32 v20, 0x7fc00000
	s_mov_b32 s17, exec_lo
	v_cmpx_gt_u64_e32 0x81, v[17:18]
	s_cbranch_execz .LBB56_202
; %bb.199:
	v_dual_add_f32 v15, v15, v15 :: v_dual_mov_b32 v52, 1.0
	v_lshlrev_b64 v[17:18], 1, v[17:18]
	s_mov_b64 s[2:3], 2
	s_mov_b32 s18, 0
	s_delay_alu instid0(VALU_DEP_2)
	v_mov_b32_e32 v20, v15
	.p2align	6
.LBB56_200:                             ; =>This Inner Loop Header: Depth=1
	s_clz_i32_u32 s19, s3
	s_delay_alu instid0(SALU_CYCLE_1) | instskip(NEXT) | instid1(SALU_CYCLE_1)
	s_min_u32 s19, s19, 32
	s_lshl_b64 s[20:21], s[2:3], s19
	s_sub_i32 s19, 32, s19
	s_min_u32 s20, s20, 1
	s_delay_alu instid0(SALU_CYCLE_1) | instskip(SKIP_3) | instid1(SALU_CYCLE_1)
	s_or_b32 s20, s21, s20
	s_add_u32 s2, s2, 2
	v_cvt_f32_u32_e32 v53, s20
	s_addc_u32 s3, s3, 0
	v_cmp_ge_u64_e32 vcc_lo, s[2:3], v[17:18]
	s_delay_alu instid0(VALU_DEP_2) | instskip(SKIP_1) | instid1(VALU_DEP_1)
	v_ldexp_f32 v53, v53, s19
	s_or_b32 s18, vcc_lo, s18
	v_mul_f32_e32 v53, v52, v53
	v_mov_b32_e32 v52, v20
	s_delay_alu instid0(VALU_DEP_2)
	v_fma_f32 v20, v15, v20, -v53
	s_and_not1_b32 exec_lo, exec_lo, s18
	s_cbranch_execnz .LBB56_200
; %bb.201:
	s_or_b32 exec_lo, exec_lo, s18
.LBB56_202:
	s_delay_alu instid0(SALU_CYCLE_1)
	s_or_b32 exec_lo, exec_lo, s17
                                        ; implicit-def: $vgpr15
.LBB56_203:
	s_and_not1_saveexec_b32 s2, s16
; %bb.204:
	v_add_f32_e32 v20, v15, v15
; %bb.205:
	s_or_b32 exec_lo, exec_lo, s2
.LBB56_206:
	s_delay_alu instid0(SALU_CYCLE_1)
	s_or_b32 exec_lo, exec_lo, s14
.LBB56_207:
	s_delay_alu instid0(SALU_CYCLE_1) | instskip(SKIP_3) | instid1(VALU_DEP_2)
	s_or_b32 exec_lo, exec_lo, s13
	v_bfe_u32 v15, v16, 16, 1
	v_cmp_u_f32_e32 vcc_lo, v16, v16
	s_mov_b32 s13, exec_lo
	v_add3_u32 v15, v16, v15, 0x7fff
	s_delay_alu instid0(VALU_DEP_1) | instskip(NEXT) | instid1(VALU_DEP_1)
	v_and_b32_e32 v15, 0xffff0000, v15
	v_cndmask_b32_e64 v16, v15, 0x7fc00000, vcc_lo
	v_and_b32_e32 v15, 0x7fffffff, v15
	s_delay_alu instid0(VALU_DEP_2) | instskip(NEXT) | instid1(VALU_DEP_2)
	v_trunc_f32_e32 v16, v16
	v_cmp_nlg_f32_e64 s2, 0x7f800000, v15
	s_delay_alu instid0(VALU_DEP_2) | instskip(NEXT) | instid1(VALU_DEP_2)
	v_mul_f32_e64 v17, 0x2f800000, |v16|
	s_or_b32 s2, vcc_lo, s2
	s_delay_alu instid0(VALU_DEP_1) | instskip(NEXT) | instid1(VALU_DEP_1)
	v_floor_f32_e32 v17, v17
	v_fma_f32 v18, 0xcf800000, v17, |v16|
	v_ashrrev_i32_e32 v16, 31, v16
	v_cvt_u32_f32_e32 v17, v17
	s_delay_alu instid0(VALU_DEP_3) | instskip(NEXT) | instid1(VALU_DEP_2)
	v_cvt_u32_f32_e32 v18, v18
	v_xor_b32_e32 v17, v17, v16
	s_delay_alu instid0(VALU_DEP_2) | instskip(NEXT) | instid1(VALU_DEP_1)
	v_xor_b32_e32 v18, v18, v16
	v_sub_co_u32 v15, s3, v18, v16
	s_delay_alu instid0(VALU_DEP_1) | instskip(SKIP_1) | instid1(VALU_DEP_3)
	v_sub_co_ci_u32_e64 v16, s3, v17, v16, s3
	v_mov_b32_e32 v17, 0
	v_cndmask_b32_e64 v15, v15, -1, s2
	s_delay_alu instid0(VALU_DEP_3) | instskip(NEXT) | instid1(VALU_DEP_1)
	v_cndmask_b32_e64 v16, v16, -1, s2
	v_cmpx_lt_i64_e32 -1, v[15:16]
	s_cbranch_execz .LBB56_219
; %bb.208:
	v_mov_b32_e32 v17, 1.0
	s_mov_b32 s14, exec_lo
	v_cmpx_lt_i64_e32 0, v[15:16]
	s_cbranch_execz .LBB56_218
; %bb.209:
	v_and_b32_e32 v18, 0xffff0000, v51
                                        ; implicit-def: $vgpr17
	s_mov_b32 s2, exec_lo
	v_cmpx_ne_u64_e32 1, v[15:16]
	s_xor_b32 s16, exec_lo, s2
	s_cbranch_execz .LBB56_215
; %bb.210:
	v_mov_b32_e32 v17, 0x7fc00000
	s_mov_b32 s17, exec_lo
	v_cmpx_gt_u64_e32 0x81, v[15:16]
	s_cbranch_execz .LBB56_214
; %bb.211:
	v_dual_add_f32 v18, v18, v18 :: v_dual_mov_b32 v51, 1.0
	v_lshlrev_b64 v[15:16], 1, v[15:16]
	s_mov_b64 s[2:3], 2
	s_mov_b32 s18, 0
	s_delay_alu instid0(VALU_DEP_2)
	v_mov_b32_e32 v17, v18
	.p2align	6
.LBB56_212:                             ; =>This Inner Loop Header: Depth=1
	s_clz_i32_u32 s19, s3
	s_delay_alu instid0(SALU_CYCLE_1) | instskip(NEXT) | instid1(SALU_CYCLE_1)
	s_min_u32 s19, s19, 32
	s_lshl_b64 s[20:21], s[2:3], s19
	s_sub_i32 s19, 32, s19
	s_min_u32 s20, s20, 1
	s_delay_alu instid0(SALU_CYCLE_1) | instskip(SKIP_3) | instid1(SALU_CYCLE_1)
	s_or_b32 s20, s21, s20
	s_add_u32 s2, s2, 2
	v_cvt_f32_u32_e32 v52, s20
	s_addc_u32 s3, s3, 0
	v_cmp_ge_u64_e32 vcc_lo, s[2:3], v[15:16]
	s_delay_alu instid0(VALU_DEP_2) | instskip(SKIP_1) | instid1(VALU_DEP_1)
	v_ldexp_f32 v52, v52, s19
	s_or_b32 s18, vcc_lo, s18
	v_dual_mul_f32 v52, v51, v52 :: v_dual_mov_b32 v51, v17
	s_delay_alu instid0(VALU_DEP_1)
	v_fma_f32 v17, v18, v17, -v52
	s_and_not1_b32 exec_lo, exec_lo, s18
	s_cbranch_execnz .LBB56_212
; %bb.213:
	s_or_b32 exec_lo, exec_lo, s18
.LBB56_214:
	s_delay_alu instid0(SALU_CYCLE_1)
	s_or_b32 exec_lo, exec_lo, s17
                                        ; implicit-def: $vgpr18
.LBB56_215:
	s_and_not1_saveexec_b32 s2, s16
; %bb.216:
	v_add_f32_e32 v17, v18, v18
; %bb.217:
	s_or_b32 exec_lo, exec_lo, s2
.LBB56_218:
	s_delay_alu instid0(SALU_CYCLE_1)
	s_or_b32 exec_lo, exec_lo, s14
.LBB56_219:
	s_delay_alu instid0(SALU_CYCLE_1) | instskip(SKIP_4) | instid1(VALU_DEP_2)
	s_or_b32 exec_lo, exec_lo, s13
	s_waitcnt vmcnt(6)
	v_bfe_u32 v15, v13, 16, 1
	v_cmp_u_f32_e32 vcc_lo, v13, v13
	s_mov_b32 s13, exec_lo
	v_add3_u32 v15, v13, v15, 0x7fff
	s_delay_alu instid0(VALU_DEP_1) | instskip(NEXT) | instid1(VALU_DEP_1)
	v_and_b32_e32 v15, 0xffff0000, v15
	v_cndmask_b32_e64 v13, v15, 0x7fc00000, vcc_lo
	v_and_b32_e32 v15, 0x7fffffff, v15
	s_delay_alu instid0(VALU_DEP_2) | instskip(NEXT) | instid1(VALU_DEP_2)
	v_trunc_f32_e32 v13, v13
	v_cmp_nlg_f32_e64 s2, 0x7f800000, v15
	s_delay_alu instid0(VALU_DEP_2) | instskip(NEXT) | instid1(VALU_DEP_2)
	v_mul_f32_e64 v16, 0x2f800000, |v13|
	s_or_b32 s2, vcc_lo, s2
	s_delay_alu instid0(VALU_DEP_1) | instskip(NEXT) | instid1(VALU_DEP_1)
	v_floor_f32_e32 v16, v16
	v_fma_f32 v18, 0xcf800000, v16, |v13|
	v_ashrrev_i32_e32 v13, 31, v13
	v_cvt_u32_f32_e32 v16, v16
	s_delay_alu instid0(VALU_DEP_3) | instskip(NEXT) | instid1(VALU_DEP_2)
	v_cvt_u32_f32_e32 v18, v18
	v_xor_b32_e32 v16, v16, v13
	s_delay_alu instid0(VALU_DEP_2) | instskip(NEXT) | instid1(VALU_DEP_1)
	v_xor_b32_e32 v18, v18, v13
	v_sub_co_u32 v15, s3, v18, v13
	v_mov_b32_e32 v18, 0
	s_delay_alu instid0(VALU_DEP_4) | instskip(NEXT) | instid1(VALU_DEP_3)
	v_sub_co_ci_u32_e64 v13, s3, v16, v13, s3
	v_cndmask_b32_e64 v15, v15, -1, s2
	s_delay_alu instid0(VALU_DEP_2) | instskip(NEXT) | instid1(VALU_DEP_1)
	v_cndmask_b32_e64 v16, v13, -1, s2
	v_cmpx_lt_i64_e32 -1, v[15:16]
	s_cbranch_execz .LBB56_231
; %bb.220:
	v_mov_b32_e32 v18, 1.0
	s_mov_b32 s14, exec_lo
	v_cmpx_lt_i64_e32 0, v[15:16]
	s_cbranch_execz .LBB56_230
; %bb.221:
	v_lshlrev_b32_e32 v13, 16, v50
                                        ; implicit-def: $vgpr18
	s_mov_b32 s2, exec_lo
	v_cmpx_ne_u64_e32 1, v[15:16]
	s_xor_b32 s16, exec_lo, s2
	s_cbranch_execz .LBB56_227
; %bb.222:
	v_mov_b32_e32 v18, 0x7fc00000
	s_mov_b32 s17, exec_lo
	v_cmpx_gt_u64_e32 0x81, v[15:16]
	s_cbranch_execz .LBB56_226
; %bb.223:
	v_add_f32_e32 v13, v13, v13
	v_lshlrev_b64 v[15:16], 1, v[15:16]
	v_mov_b32_e32 v51, 1.0
	s_mov_b64 s[2:3], 2
	s_mov_b32 s18, 0
	v_mov_b32_e32 v18, v13
	.p2align	6
.LBB56_224:                             ; =>This Inner Loop Header: Depth=1
	s_clz_i32_u32 s19, s3
	s_delay_alu instid0(SALU_CYCLE_1) | instskip(NEXT) | instid1(SALU_CYCLE_1)
	s_min_u32 s19, s19, 32
	s_lshl_b64 s[20:21], s[2:3], s19
	s_sub_i32 s19, 32, s19
	s_min_u32 s20, s20, 1
	s_delay_alu instid0(SALU_CYCLE_1) | instskip(SKIP_3) | instid1(SALU_CYCLE_1)
	s_or_b32 s20, s21, s20
	s_add_u32 s2, s2, 2
	v_cvt_f32_u32_e32 v52, s20
	s_addc_u32 s3, s3, 0
	v_cmp_ge_u64_e32 vcc_lo, s[2:3], v[15:16]
	s_delay_alu instid0(VALU_DEP_2) | instskip(SKIP_1) | instid1(VALU_DEP_1)
	v_ldexp_f32 v52, v52, s19
	s_or_b32 s18, vcc_lo, s18
	v_dual_mul_f32 v52, v51, v52 :: v_dual_mov_b32 v51, v18
	s_delay_alu instid0(VALU_DEP_1)
	v_fma_f32 v18, v13, v18, -v52
	s_and_not1_b32 exec_lo, exec_lo, s18
	s_cbranch_execnz .LBB56_224
; %bb.225:
	s_or_b32 exec_lo, exec_lo, s18
.LBB56_226:
	s_delay_alu instid0(SALU_CYCLE_1)
	s_or_b32 exec_lo, exec_lo, s17
                                        ; implicit-def: $vgpr13
.LBB56_227:
	s_and_not1_saveexec_b32 s2, s16
; %bb.228:
	v_add_f32_e32 v18, v13, v13
; %bb.229:
	s_or_b32 exec_lo, exec_lo, s2
.LBB56_230:
	s_delay_alu instid0(SALU_CYCLE_1)
	s_or_b32 exec_lo, exec_lo, s14
.LBB56_231:
	s_delay_alu instid0(SALU_CYCLE_1) | instskip(SKIP_3) | instid1(VALU_DEP_2)
	s_or_b32 exec_lo, exec_lo, s13
	v_bfe_u32 v13, v14, 16, 1
	v_cmp_u_f32_e32 vcc_lo, v14, v14
	s_mov_b32 s13, exec_lo
	v_add3_u32 v13, v14, v13, 0x7fff
	s_delay_alu instid0(VALU_DEP_1) | instskip(NEXT) | instid1(VALU_DEP_1)
	v_and_b32_e32 v13, 0xffff0000, v13
	v_cndmask_b32_e64 v14, v13, 0x7fc00000, vcc_lo
	v_and_b32_e32 v13, 0x7fffffff, v13
	s_delay_alu instid0(VALU_DEP_2) | instskip(NEXT) | instid1(VALU_DEP_2)
	v_trunc_f32_e32 v14, v14
	v_cmp_nlg_f32_e64 s2, 0x7f800000, v13
	s_delay_alu instid0(VALU_DEP_2) | instskip(NEXT) | instid1(VALU_DEP_2)
	v_mul_f32_e64 v15, 0x2f800000, |v14|
	s_or_b32 s2, vcc_lo, s2
	s_delay_alu instid0(VALU_DEP_1) | instskip(NEXT) | instid1(VALU_DEP_1)
	v_floor_f32_e32 v15, v15
	v_fma_f32 v16, 0xcf800000, v15, |v14|
	v_ashrrev_i32_e32 v14, 31, v14
	v_cvt_u32_f32_e32 v15, v15
	s_delay_alu instid0(VALU_DEP_3) | instskip(NEXT) | instid1(VALU_DEP_2)
	v_cvt_u32_f32_e32 v16, v16
	v_xor_b32_e32 v15, v15, v14
	s_delay_alu instid0(VALU_DEP_2) | instskip(NEXT) | instid1(VALU_DEP_1)
	v_xor_b32_e32 v16, v16, v14
	v_sub_co_u32 v13, s3, v16, v14
	s_delay_alu instid0(VALU_DEP_1) | instskip(SKIP_1) | instid1(VALU_DEP_3)
	v_sub_co_ci_u32_e64 v14, s3, v15, v14, s3
	v_mov_b32_e32 v15, 0
	v_cndmask_b32_e64 v13, v13, -1, s2
	s_delay_alu instid0(VALU_DEP_3) | instskip(NEXT) | instid1(VALU_DEP_1)
	v_cndmask_b32_e64 v14, v14, -1, s2
	v_cmpx_lt_i64_e32 -1, v[13:14]
	s_cbranch_execz .LBB56_243
; %bb.232:
	v_mov_b32_e32 v15, 1.0
	s_mov_b32 s14, exec_lo
	v_cmpx_lt_i64_e32 0, v[13:14]
	s_cbranch_execz .LBB56_242
; %bb.233:
	v_and_b32_e32 v16, 0xffff0000, v50
                                        ; implicit-def: $vgpr15
	s_mov_b32 s2, exec_lo
	v_cmpx_ne_u64_e32 1, v[13:14]
	s_xor_b32 s16, exec_lo, s2
	s_cbranch_execz .LBB56_239
; %bb.234:
	v_mov_b32_e32 v15, 0x7fc00000
	s_mov_b32 s17, exec_lo
	v_cmpx_gt_u64_e32 0x81, v[13:14]
	s_cbranch_execz .LBB56_238
; %bb.235:
	v_add_f32_e32 v16, v16, v16
	v_lshlrev_b64 v[13:14], 1, v[13:14]
	v_mov_b32_e32 v50, 1.0
	s_mov_b64 s[2:3], 2
	s_mov_b32 s18, 0
	v_mov_b32_e32 v15, v16
	.p2align	6
.LBB56_236:                             ; =>This Inner Loop Header: Depth=1
	s_clz_i32_u32 s19, s3
	s_delay_alu instid0(SALU_CYCLE_1) | instskip(NEXT) | instid1(SALU_CYCLE_1)
	s_min_u32 s19, s19, 32
	s_lshl_b64 s[20:21], s[2:3], s19
	s_sub_i32 s19, 32, s19
	s_min_u32 s20, s20, 1
	s_delay_alu instid0(SALU_CYCLE_1) | instskip(SKIP_3) | instid1(SALU_CYCLE_1)
	s_or_b32 s20, s21, s20
	s_add_u32 s2, s2, 2
	v_cvt_f32_u32_e32 v51, s20
	s_addc_u32 s3, s3, 0
	v_cmp_ge_u64_e32 vcc_lo, s[2:3], v[13:14]
	s_delay_alu instid0(VALU_DEP_2) | instskip(SKIP_1) | instid1(VALU_DEP_1)
	v_ldexp_f32 v51, v51, s19
	s_or_b32 s18, vcc_lo, s18
	v_dual_mul_f32 v51, v50, v51 :: v_dual_mov_b32 v50, v15
	s_delay_alu instid0(VALU_DEP_1)
	v_fma_f32 v15, v16, v15, -v51
	s_and_not1_b32 exec_lo, exec_lo, s18
	s_cbranch_execnz .LBB56_236
; %bb.237:
	s_or_b32 exec_lo, exec_lo, s18
.LBB56_238:
	s_delay_alu instid0(SALU_CYCLE_1)
	s_or_b32 exec_lo, exec_lo, s17
                                        ; implicit-def: $vgpr16
.LBB56_239:
	s_and_not1_saveexec_b32 s2, s16
; %bb.240:
	v_add_f32_e32 v15, v16, v16
; %bb.241:
	s_or_b32 exec_lo, exec_lo, s2
.LBB56_242:
	s_delay_alu instid0(SALU_CYCLE_1)
	s_or_b32 exec_lo, exec_lo, s14
.LBB56_243:
	s_delay_alu instid0(SALU_CYCLE_1) | instskip(SKIP_4) | instid1(VALU_DEP_2)
	s_or_b32 exec_lo, exec_lo, s13
	s_waitcnt vmcnt(5)
	v_bfe_u32 v13, v11, 16, 1
	v_cmp_u_f32_e32 vcc_lo, v11, v11
	s_mov_b32 s13, exec_lo
	v_add3_u32 v13, v11, v13, 0x7fff
	s_delay_alu instid0(VALU_DEP_1) | instskip(NEXT) | instid1(VALU_DEP_1)
	v_and_b32_e32 v13, 0xffff0000, v13
	v_cndmask_b32_e64 v11, v13, 0x7fc00000, vcc_lo
	v_and_b32_e32 v13, 0x7fffffff, v13
	s_delay_alu instid0(VALU_DEP_2) | instskip(NEXT) | instid1(VALU_DEP_2)
	v_trunc_f32_e32 v11, v11
	v_cmp_nlg_f32_e64 s2, 0x7f800000, v13
	s_delay_alu instid0(VALU_DEP_2) | instskip(NEXT) | instid1(VALU_DEP_2)
	v_mul_f32_e64 v14, 0x2f800000, |v11|
	s_or_b32 s2, vcc_lo, s2
	s_delay_alu instid0(VALU_DEP_1) | instskip(NEXT) | instid1(VALU_DEP_1)
	v_floor_f32_e32 v14, v14
	v_fma_f32 v16, 0xcf800000, v14, |v11|
	v_ashrrev_i32_e32 v11, 31, v11
	v_cvt_u32_f32_e32 v14, v14
	s_delay_alu instid0(VALU_DEP_3) | instskip(NEXT) | instid1(VALU_DEP_2)
	v_cvt_u32_f32_e32 v16, v16
	v_xor_b32_e32 v14, v14, v11
	s_delay_alu instid0(VALU_DEP_2) | instskip(NEXT) | instid1(VALU_DEP_1)
	v_xor_b32_e32 v16, v16, v11
	v_sub_co_u32 v13, s3, v16, v11
	v_mov_b32_e32 v16, 0
	s_delay_alu instid0(VALU_DEP_4) | instskip(NEXT) | instid1(VALU_DEP_3)
	v_sub_co_ci_u32_e64 v11, s3, v14, v11, s3
	v_cndmask_b32_e64 v13, v13, -1, s2
	s_delay_alu instid0(VALU_DEP_2) | instskip(NEXT) | instid1(VALU_DEP_1)
	v_cndmask_b32_e64 v14, v11, -1, s2
	v_cmpx_lt_i64_e32 -1, v[13:14]
	s_cbranch_execz .LBB56_255
; %bb.244:
	v_mov_b32_e32 v16, 1.0
	s_mov_b32 s14, exec_lo
	v_cmpx_lt_i64_e32 0, v[13:14]
	s_cbranch_execz .LBB56_254
; %bb.245:
	v_lshlrev_b32_e32 v11, 16, v49
                                        ; implicit-def: $vgpr16
	s_mov_b32 s2, exec_lo
	v_cmpx_ne_u64_e32 1, v[13:14]
	s_xor_b32 s16, exec_lo, s2
	s_cbranch_execz .LBB56_251
; %bb.246:
	v_mov_b32_e32 v16, 0x7fc00000
	s_mov_b32 s17, exec_lo
	v_cmpx_gt_u64_e32 0x81, v[13:14]
	s_cbranch_execz .LBB56_250
; %bb.247:
	v_dual_add_f32 v11, v11, v11 :: v_dual_mov_b32 v50, 1.0
	v_lshlrev_b64 v[13:14], 1, v[13:14]
	s_mov_b64 s[2:3], 2
	s_mov_b32 s18, 0
	s_delay_alu instid0(VALU_DEP_2)
	v_mov_b32_e32 v16, v11
	.p2align	6
.LBB56_248:                             ; =>This Inner Loop Header: Depth=1
	s_clz_i32_u32 s19, s3
	s_delay_alu instid0(SALU_CYCLE_1) | instskip(NEXT) | instid1(SALU_CYCLE_1)
	s_min_u32 s19, s19, 32
	s_lshl_b64 s[20:21], s[2:3], s19
	s_sub_i32 s19, 32, s19
	s_min_u32 s20, s20, 1
	s_delay_alu instid0(SALU_CYCLE_1) | instskip(SKIP_3) | instid1(SALU_CYCLE_1)
	s_or_b32 s20, s21, s20
	s_add_u32 s2, s2, 2
	v_cvt_f32_u32_e32 v51, s20
	s_addc_u32 s3, s3, 0
	v_cmp_ge_u64_e32 vcc_lo, s[2:3], v[13:14]
	s_delay_alu instid0(VALU_DEP_2) | instskip(SKIP_1) | instid1(VALU_DEP_1)
	v_ldexp_f32 v51, v51, s19
	s_or_b32 s18, vcc_lo, s18
	v_dual_mul_f32 v51, v50, v51 :: v_dual_mov_b32 v50, v16
	s_delay_alu instid0(VALU_DEP_1)
	v_fma_f32 v16, v11, v16, -v51
	s_and_not1_b32 exec_lo, exec_lo, s18
	s_cbranch_execnz .LBB56_248
; %bb.249:
	s_or_b32 exec_lo, exec_lo, s18
.LBB56_250:
	s_delay_alu instid0(SALU_CYCLE_1)
	s_or_b32 exec_lo, exec_lo, s17
                                        ; implicit-def: $vgpr11
.LBB56_251:
	s_and_not1_saveexec_b32 s2, s16
; %bb.252:
	v_add_f32_e32 v16, v11, v11
; %bb.253:
	s_or_b32 exec_lo, exec_lo, s2
.LBB56_254:
	s_delay_alu instid0(SALU_CYCLE_1)
	s_or_b32 exec_lo, exec_lo, s14
.LBB56_255:
	s_delay_alu instid0(SALU_CYCLE_1) | instskip(SKIP_3) | instid1(VALU_DEP_2)
	s_or_b32 exec_lo, exec_lo, s13
	v_bfe_u32 v11, v12, 16, 1
	v_cmp_u_f32_e32 vcc_lo, v12, v12
	s_mov_b32 s13, exec_lo
	v_add3_u32 v11, v12, v11, 0x7fff
	s_delay_alu instid0(VALU_DEP_1) | instskip(NEXT) | instid1(VALU_DEP_1)
	v_and_b32_e32 v11, 0xffff0000, v11
	v_cndmask_b32_e64 v12, v11, 0x7fc00000, vcc_lo
	v_and_b32_e32 v11, 0x7fffffff, v11
	s_delay_alu instid0(VALU_DEP_2) | instskip(NEXT) | instid1(VALU_DEP_2)
	v_trunc_f32_e32 v12, v12
	v_cmp_nlg_f32_e64 s2, 0x7f800000, v11
	s_delay_alu instid0(VALU_DEP_2) | instskip(NEXT) | instid1(VALU_DEP_2)
	v_mul_f32_e64 v13, 0x2f800000, |v12|
	s_or_b32 s2, vcc_lo, s2
	s_delay_alu instid0(VALU_DEP_1) | instskip(NEXT) | instid1(VALU_DEP_1)
	v_floor_f32_e32 v13, v13
	v_fma_f32 v14, 0xcf800000, v13, |v12|
	v_ashrrev_i32_e32 v12, 31, v12
	v_cvt_u32_f32_e32 v13, v13
	s_delay_alu instid0(VALU_DEP_3) | instskip(NEXT) | instid1(VALU_DEP_2)
	v_cvt_u32_f32_e32 v14, v14
	v_xor_b32_e32 v13, v13, v12
	s_delay_alu instid0(VALU_DEP_2) | instskip(NEXT) | instid1(VALU_DEP_1)
	v_xor_b32_e32 v14, v14, v12
	v_sub_co_u32 v11, s3, v14, v12
	s_delay_alu instid0(VALU_DEP_1) | instskip(SKIP_1) | instid1(VALU_DEP_3)
	v_sub_co_ci_u32_e64 v12, s3, v13, v12, s3
	v_mov_b32_e32 v13, 0
	v_cndmask_b32_e64 v11, v11, -1, s2
	s_delay_alu instid0(VALU_DEP_3) | instskip(NEXT) | instid1(VALU_DEP_1)
	v_cndmask_b32_e64 v12, v12, -1, s2
	v_cmpx_lt_i64_e32 -1, v[11:12]
	s_cbranch_execz .LBB56_267
; %bb.256:
	v_mov_b32_e32 v13, 1.0
	s_mov_b32 s14, exec_lo
	v_cmpx_lt_i64_e32 0, v[11:12]
	s_cbranch_execz .LBB56_266
; %bb.257:
	v_and_b32_e32 v14, 0xffff0000, v49
                                        ; implicit-def: $vgpr13
	s_mov_b32 s2, exec_lo
	v_cmpx_ne_u64_e32 1, v[11:12]
	s_xor_b32 s16, exec_lo, s2
	s_cbranch_execz .LBB56_263
; %bb.258:
	v_mov_b32_e32 v13, 0x7fc00000
	s_mov_b32 s17, exec_lo
	v_cmpx_gt_u64_e32 0x81, v[11:12]
	s_cbranch_execz .LBB56_262
; %bb.259:
	v_dual_add_f32 v14, v14, v14 :: v_dual_mov_b32 v49, 1.0
	v_lshlrev_b64 v[11:12], 1, v[11:12]
	s_mov_b64 s[2:3], 2
	s_mov_b32 s18, 0
	s_delay_alu instid0(VALU_DEP_2)
	v_mov_b32_e32 v13, v14
	.p2align	6
.LBB56_260:                             ; =>This Inner Loop Header: Depth=1
	s_clz_i32_u32 s19, s3
	s_delay_alu instid0(SALU_CYCLE_1) | instskip(NEXT) | instid1(SALU_CYCLE_1)
	s_min_u32 s19, s19, 32
	s_lshl_b64 s[20:21], s[2:3], s19
	s_sub_i32 s19, 32, s19
	s_min_u32 s20, s20, 1
	s_delay_alu instid0(SALU_CYCLE_1) | instskip(SKIP_3) | instid1(SALU_CYCLE_1)
	s_or_b32 s20, s21, s20
	s_add_u32 s2, s2, 2
	v_cvt_f32_u32_e32 v50, s20
	s_addc_u32 s3, s3, 0
	v_cmp_ge_u64_e32 vcc_lo, s[2:3], v[11:12]
	s_delay_alu instid0(VALU_DEP_2) | instskip(SKIP_1) | instid1(VALU_DEP_1)
	v_ldexp_f32 v50, v50, s19
	s_or_b32 s18, vcc_lo, s18
	v_mul_f32_e32 v50, v49, v50
	v_mov_b32_e32 v49, v13
	s_delay_alu instid0(VALU_DEP_2)
	v_fma_f32 v13, v14, v13, -v50
	s_and_not1_b32 exec_lo, exec_lo, s18
	s_cbranch_execnz .LBB56_260
; %bb.261:
	s_or_b32 exec_lo, exec_lo, s18
.LBB56_262:
	s_delay_alu instid0(SALU_CYCLE_1)
	s_or_b32 exec_lo, exec_lo, s17
                                        ; implicit-def: $vgpr14
.LBB56_263:
	s_and_not1_saveexec_b32 s2, s16
; %bb.264:
	v_add_f32_e32 v13, v14, v14
; %bb.265:
	s_or_b32 exec_lo, exec_lo, s2
.LBB56_266:
	s_delay_alu instid0(SALU_CYCLE_1)
	s_or_b32 exec_lo, exec_lo, s14
.LBB56_267:
	s_delay_alu instid0(SALU_CYCLE_1) | instskip(SKIP_4) | instid1(VALU_DEP_2)
	s_or_b32 exec_lo, exec_lo, s13
	s_waitcnt vmcnt(4)
	v_bfe_u32 v11, v9, 16, 1
	v_cmp_u_f32_e32 vcc_lo, v9, v9
	s_mov_b32 s13, exec_lo
	v_add3_u32 v11, v9, v11, 0x7fff
	s_delay_alu instid0(VALU_DEP_1) | instskip(NEXT) | instid1(VALU_DEP_1)
	v_and_b32_e32 v11, 0xffff0000, v11
	v_cndmask_b32_e64 v9, v11, 0x7fc00000, vcc_lo
	v_and_b32_e32 v11, 0x7fffffff, v11
	s_delay_alu instid0(VALU_DEP_2) | instskip(NEXT) | instid1(VALU_DEP_2)
	v_trunc_f32_e32 v9, v9
	v_cmp_nlg_f32_e64 s2, 0x7f800000, v11
	s_delay_alu instid0(VALU_DEP_2) | instskip(NEXT) | instid1(VALU_DEP_2)
	v_mul_f32_e64 v12, 0x2f800000, |v9|
	s_or_b32 s2, vcc_lo, s2
	s_delay_alu instid0(VALU_DEP_1) | instskip(NEXT) | instid1(VALU_DEP_1)
	v_floor_f32_e32 v12, v12
	v_fma_f32 v14, 0xcf800000, v12, |v9|
	v_ashrrev_i32_e32 v9, 31, v9
	v_cvt_u32_f32_e32 v12, v12
	s_delay_alu instid0(VALU_DEP_3) | instskip(NEXT) | instid1(VALU_DEP_2)
	v_cvt_u32_f32_e32 v14, v14
	v_xor_b32_e32 v12, v12, v9
	s_delay_alu instid0(VALU_DEP_2) | instskip(NEXT) | instid1(VALU_DEP_1)
	v_xor_b32_e32 v14, v14, v9
	v_sub_co_u32 v11, s3, v14, v9
	v_mov_b32_e32 v14, 0
	s_delay_alu instid0(VALU_DEP_4) | instskip(NEXT) | instid1(VALU_DEP_3)
	v_sub_co_ci_u32_e64 v9, s3, v12, v9, s3
	v_cndmask_b32_e64 v11, v11, -1, s2
	s_delay_alu instid0(VALU_DEP_2) | instskip(NEXT) | instid1(VALU_DEP_1)
	v_cndmask_b32_e64 v12, v9, -1, s2
	v_cmpx_lt_i64_e32 -1, v[11:12]
	s_cbranch_execz .LBB56_279
; %bb.268:
	v_mov_b32_e32 v14, 1.0
	s_mov_b32 s14, exec_lo
	v_cmpx_lt_i64_e32 0, v[11:12]
	s_cbranch_execz .LBB56_278
; %bb.269:
	v_lshlrev_b32_e32 v9, 16, v48
                                        ; implicit-def: $vgpr14
	s_mov_b32 s2, exec_lo
	v_cmpx_ne_u64_e32 1, v[11:12]
	s_xor_b32 s16, exec_lo, s2
	s_cbranch_execz .LBB56_275
; %bb.270:
	v_mov_b32_e32 v14, 0x7fc00000
	s_mov_b32 s17, exec_lo
	v_cmpx_gt_u64_e32 0x81, v[11:12]
	s_cbranch_execz .LBB56_274
; %bb.271:
	v_add_f32_e32 v9, v9, v9
	v_lshlrev_b64 v[11:12], 1, v[11:12]
	v_mov_b32_e32 v49, 1.0
	s_mov_b64 s[2:3], 2
	s_mov_b32 s18, 0
	v_mov_b32_e32 v14, v9
	.p2align	6
.LBB56_272:                             ; =>This Inner Loop Header: Depth=1
	s_clz_i32_u32 s19, s3
	s_delay_alu instid0(SALU_CYCLE_1) | instskip(NEXT) | instid1(SALU_CYCLE_1)
	s_min_u32 s19, s19, 32
	s_lshl_b64 s[20:21], s[2:3], s19
	s_sub_i32 s19, 32, s19
	s_min_u32 s20, s20, 1
	s_delay_alu instid0(SALU_CYCLE_1) | instskip(SKIP_3) | instid1(SALU_CYCLE_1)
	s_or_b32 s20, s21, s20
	s_add_u32 s2, s2, 2
	v_cvt_f32_u32_e32 v50, s20
	s_addc_u32 s3, s3, 0
	v_cmp_ge_u64_e32 vcc_lo, s[2:3], v[11:12]
	s_delay_alu instid0(VALU_DEP_2) | instskip(SKIP_1) | instid1(VALU_DEP_1)
	v_ldexp_f32 v50, v50, s19
	s_or_b32 s18, vcc_lo, s18
	v_dual_mul_f32 v50, v49, v50 :: v_dual_mov_b32 v49, v14
	s_delay_alu instid0(VALU_DEP_1)
	v_fma_f32 v14, v9, v14, -v50
	s_and_not1_b32 exec_lo, exec_lo, s18
	s_cbranch_execnz .LBB56_272
; %bb.273:
	s_or_b32 exec_lo, exec_lo, s18
.LBB56_274:
	s_delay_alu instid0(SALU_CYCLE_1)
	s_or_b32 exec_lo, exec_lo, s17
                                        ; implicit-def: $vgpr9
.LBB56_275:
	s_and_not1_saveexec_b32 s2, s16
; %bb.276:
	v_add_f32_e32 v14, v9, v9
; %bb.277:
	s_or_b32 exec_lo, exec_lo, s2
.LBB56_278:
	s_delay_alu instid0(SALU_CYCLE_1)
	s_or_b32 exec_lo, exec_lo, s14
.LBB56_279:
	s_delay_alu instid0(SALU_CYCLE_1) | instskip(SKIP_3) | instid1(VALU_DEP_2)
	s_or_b32 exec_lo, exec_lo, s13
	v_bfe_u32 v9, v10, 16, 1
	v_cmp_u_f32_e32 vcc_lo, v10, v10
	s_mov_b32 s13, exec_lo
	v_add3_u32 v9, v10, v9, 0x7fff
	s_delay_alu instid0(VALU_DEP_1) | instskip(NEXT) | instid1(VALU_DEP_1)
	v_and_b32_e32 v9, 0xffff0000, v9
	v_cndmask_b32_e64 v10, v9, 0x7fc00000, vcc_lo
	v_and_b32_e32 v9, 0x7fffffff, v9
	s_delay_alu instid0(VALU_DEP_2) | instskip(NEXT) | instid1(VALU_DEP_2)
	v_trunc_f32_e32 v10, v10
	v_cmp_nlg_f32_e64 s2, 0x7f800000, v9
	s_delay_alu instid0(VALU_DEP_2) | instskip(NEXT) | instid1(VALU_DEP_2)
	v_mul_f32_e64 v11, 0x2f800000, |v10|
	s_or_b32 s2, vcc_lo, s2
	s_delay_alu instid0(VALU_DEP_1) | instskip(NEXT) | instid1(VALU_DEP_1)
	v_floor_f32_e32 v11, v11
	v_fma_f32 v12, 0xcf800000, v11, |v10|
	v_ashrrev_i32_e32 v10, 31, v10
	v_cvt_u32_f32_e32 v11, v11
	s_delay_alu instid0(VALU_DEP_3) | instskip(NEXT) | instid1(VALU_DEP_2)
	v_cvt_u32_f32_e32 v12, v12
	v_xor_b32_e32 v11, v11, v10
	s_delay_alu instid0(VALU_DEP_2) | instskip(NEXT) | instid1(VALU_DEP_1)
	v_xor_b32_e32 v12, v12, v10
	v_sub_co_u32 v9, s3, v12, v10
	s_delay_alu instid0(VALU_DEP_1) | instskip(SKIP_1) | instid1(VALU_DEP_3)
	v_sub_co_ci_u32_e64 v10, s3, v11, v10, s3
	v_mov_b32_e32 v11, 0
	v_cndmask_b32_e64 v9, v9, -1, s2
	s_delay_alu instid0(VALU_DEP_3) | instskip(NEXT) | instid1(VALU_DEP_1)
	v_cndmask_b32_e64 v10, v10, -1, s2
	v_cmpx_lt_i64_e32 -1, v[9:10]
	s_cbranch_execz .LBB56_291
; %bb.280:
	v_mov_b32_e32 v11, 1.0
	s_mov_b32 s14, exec_lo
	v_cmpx_lt_i64_e32 0, v[9:10]
	s_cbranch_execz .LBB56_290
; %bb.281:
	v_and_b32_e32 v12, 0xffff0000, v48
                                        ; implicit-def: $vgpr11
	s_mov_b32 s2, exec_lo
	v_cmpx_ne_u64_e32 1, v[9:10]
	s_xor_b32 s16, exec_lo, s2
	s_cbranch_execz .LBB56_287
; %bb.282:
	v_mov_b32_e32 v11, 0x7fc00000
	s_mov_b32 s17, exec_lo
	v_cmpx_gt_u64_e32 0x81, v[9:10]
	s_cbranch_execz .LBB56_286
; %bb.283:
	v_add_f32_e32 v12, v12, v12
	v_lshlrev_b64 v[9:10], 1, v[9:10]
	v_mov_b32_e32 v48, 1.0
	s_mov_b64 s[2:3], 2
	s_mov_b32 s18, 0
	v_mov_b32_e32 v11, v12
	.p2align	6
.LBB56_284:                             ; =>This Inner Loop Header: Depth=1
	s_clz_i32_u32 s19, s3
	s_delay_alu instid0(SALU_CYCLE_1) | instskip(NEXT) | instid1(SALU_CYCLE_1)
	s_min_u32 s19, s19, 32
	s_lshl_b64 s[20:21], s[2:3], s19
	s_sub_i32 s19, 32, s19
	s_min_u32 s20, s20, 1
	s_delay_alu instid0(SALU_CYCLE_1) | instskip(SKIP_3) | instid1(SALU_CYCLE_1)
	s_or_b32 s20, s21, s20
	s_add_u32 s2, s2, 2
	v_cvt_f32_u32_e32 v49, s20
	s_addc_u32 s3, s3, 0
	v_cmp_ge_u64_e32 vcc_lo, s[2:3], v[9:10]
	s_delay_alu instid0(VALU_DEP_2) | instskip(SKIP_1) | instid1(VALU_DEP_1)
	v_ldexp_f32 v49, v49, s19
	s_or_b32 s18, vcc_lo, s18
	v_dual_mul_f32 v49, v48, v49 :: v_dual_mov_b32 v48, v11
	s_delay_alu instid0(VALU_DEP_1)
	v_fma_f32 v11, v12, v11, -v49
	s_and_not1_b32 exec_lo, exec_lo, s18
	s_cbranch_execnz .LBB56_284
; %bb.285:
	s_or_b32 exec_lo, exec_lo, s18
.LBB56_286:
	s_delay_alu instid0(SALU_CYCLE_1)
	s_or_b32 exec_lo, exec_lo, s17
                                        ; implicit-def: $vgpr12
.LBB56_287:
	s_and_not1_saveexec_b32 s2, s16
; %bb.288:
	v_add_f32_e32 v11, v12, v12
; %bb.289:
	s_or_b32 exec_lo, exec_lo, s2
.LBB56_290:
	s_delay_alu instid0(SALU_CYCLE_1)
	s_or_b32 exec_lo, exec_lo, s14
.LBB56_291:
	s_delay_alu instid0(SALU_CYCLE_1) | instskip(SKIP_4) | instid1(VALU_DEP_2)
	s_or_b32 exec_lo, exec_lo, s13
	s_waitcnt vmcnt(3)
	v_bfe_u32 v9, v7, 16, 1
	v_cmp_u_f32_e32 vcc_lo, v7, v7
	s_mov_b32 s13, exec_lo
	v_add3_u32 v9, v7, v9, 0x7fff
	s_delay_alu instid0(VALU_DEP_1) | instskip(NEXT) | instid1(VALU_DEP_1)
	v_and_b32_e32 v9, 0xffff0000, v9
	v_cndmask_b32_e64 v7, v9, 0x7fc00000, vcc_lo
	v_and_b32_e32 v9, 0x7fffffff, v9
	s_delay_alu instid0(VALU_DEP_2) | instskip(NEXT) | instid1(VALU_DEP_2)
	v_trunc_f32_e32 v7, v7
	v_cmp_nlg_f32_e64 s2, 0x7f800000, v9
	s_delay_alu instid0(VALU_DEP_2) | instskip(NEXT) | instid1(VALU_DEP_2)
	v_mul_f32_e64 v10, 0x2f800000, |v7|
	s_or_b32 s2, vcc_lo, s2
	s_delay_alu instid0(VALU_DEP_1) | instskip(NEXT) | instid1(VALU_DEP_1)
	v_floor_f32_e32 v10, v10
	v_fma_f32 v12, 0xcf800000, v10, |v7|
	v_ashrrev_i32_e32 v7, 31, v7
	v_cvt_u32_f32_e32 v10, v10
	s_delay_alu instid0(VALU_DEP_3) | instskip(NEXT) | instid1(VALU_DEP_2)
	v_cvt_u32_f32_e32 v12, v12
	v_xor_b32_e32 v10, v10, v7
	s_delay_alu instid0(VALU_DEP_2) | instskip(NEXT) | instid1(VALU_DEP_1)
	v_xor_b32_e32 v12, v12, v7
	v_sub_co_u32 v9, s3, v12, v7
	v_mov_b32_e32 v12, 0
	s_delay_alu instid0(VALU_DEP_4) | instskip(NEXT) | instid1(VALU_DEP_3)
	v_sub_co_ci_u32_e64 v7, s3, v10, v7, s3
	v_cndmask_b32_e64 v9, v9, -1, s2
	s_delay_alu instid0(VALU_DEP_2) | instskip(NEXT) | instid1(VALU_DEP_1)
	v_cndmask_b32_e64 v10, v7, -1, s2
	v_cmpx_lt_i64_e32 -1, v[9:10]
	s_cbranch_execz .LBB56_303
; %bb.292:
	v_mov_b32_e32 v12, 1.0
	s_mov_b32 s14, exec_lo
	v_cmpx_lt_i64_e32 0, v[9:10]
	s_cbranch_execz .LBB56_302
; %bb.293:
	v_lshlrev_b32_e32 v7, 16, v47
                                        ; implicit-def: $vgpr12
	s_mov_b32 s2, exec_lo
	v_cmpx_ne_u64_e32 1, v[9:10]
	s_xor_b32 s16, exec_lo, s2
	s_cbranch_execz .LBB56_299
; %bb.294:
	v_mov_b32_e32 v12, 0x7fc00000
	s_mov_b32 s17, exec_lo
	v_cmpx_gt_u64_e32 0x81, v[9:10]
	s_cbranch_execz .LBB56_298
; %bb.295:
	v_dual_add_f32 v7, v7, v7 :: v_dual_mov_b32 v48, 1.0
	v_lshlrev_b64 v[9:10], 1, v[9:10]
	s_mov_b64 s[2:3], 2
	s_mov_b32 s18, 0
	s_delay_alu instid0(VALU_DEP_2)
	v_mov_b32_e32 v12, v7
	.p2align	6
.LBB56_296:                             ; =>This Inner Loop Header: Depth=1
	s_clz_i32_u32 s19, s3
	s_delay_alu instid0(SALU_CYCLE_1) | instskip(NEXT) | instid1(SALU_CYCLE_1)
	s_min_u32 s19, s19, 32
	s_lshl_b64 s[20:21], s[2:3], s19
	s_sub_i32 s19, 32, s19
	s_min_u32 s20, s20, 1
	s_delay_alu instid0(SALU_CYCLE_1) | instskip(SKIP_3) | instid1(SALU_CYCLE_1)
	s_or_b32 s20, s21, s20
	s_add_u32 s2, s2, 2
	v_cvt_f32_u32_e32 v49, s20
	s_addc_u32 s3, s3, 0
	v_cmp_ge_u64_e32 vcc_lo, s[2:3], v[9:10]
	s_delay_alu instid0(VALU_DEP_2) | instskip(SKIP_1) | instid1(VALU_DEP_1)
	v_ldexp_f32 v49, v49, s19
	s_or_b32 s18, vcc_lo, s18
	v_mul_f32_e32 v49, v48, v49
	v_mov_b32_e32 v48, v12
	s_delay_alu instid0(VALU_DEP_2)
	v_fma_f32 v12, v7, v12, -v49
	s_and_not1_b32 exec_lo, exec_lo, s18
	s_cbranch_execnz .LBB56_296
; %bb.297:
	s_or_b32 exec_lo, exec_lo, s18
.LBB56_298:
	s_delay_alu instid0(SALU_CYCLE_1)
	s_or_b32 exec_lo, exec_lo, s17
                                        ; implicit-def: $vgpr7
.LBB56_299:
	s_and_not1_saveexec_b32 s2, s16
; %bb.300:
	v_add_f32_e32 v12, v7, v7
; %bb.301:
	s_or_b32 exec_lo, exec_lo, s2
.LBB56_302:
	s_delay_alu instid0(SALU_CYCLE_1)
	s_or_b32 exec_lo, exec_lo, s14
.LBB56_303:
	s_delay_alu instid0(SALU_CYCLE_1) | instskip(SKIP_3) | instid1(VALU_DEP_2)
	s_or_b32 exec_lo, exec_lo, s13
	v_bfe_u32 v7, v8, 16, 1
	v_cmp_u_f32_e32 vcc_lo, v8, v8
	s_mov_b32 s13, exec_lo
	v_add3_u32 v7, v8, v7, 0x7fff
	s_delay_alu instid0(VALU_DEP_1) | instskip(NEXT) | instid1(VALU_DEP_1)
	v_and_b32_e32 v7, 0xffff0000, v7
	v_cndmask_b32_e64 v8, v7, 0x7fc00000, vcc_lo
	v_and_b32_e32 v7, 0x7fffffff, v7
	s_delay_alu instid0(VALU_DEP_2) | instskip(NEXT) | instid1(VALU_DEP_2)
	v_trunc_f32_e32 v8, v8
	v_cmp_nlg_f32_e64 s2, 0x7f800000, v7
	s_delay_alu instid0(VALU_DEP_2) | instskip(NEXT) | instid1(VALU_DEP_2)
	v_mul_f32_e64 v9, 0x2f800000, |v8|
	s_or_b32 s2, vcc_lo, s2
	s_delay_alu instid0(VALU_DEP_1) | instskip(NEXT) | instid1(VALU_DEP_1)
	v_floor_f32_e32 v9, v9
	v_fma_f32 v10, 0xcf800000, v9, |v8|
	v_ashrrev_i32_e32 v8, 31, v8
	v_cvt_u32_f32_e32 v9, v9
	s_delay_alu instid0(VALU_DEP_3) | instskip(NEXT) | instid1(VALU_DEP_2)
	v_cvt_u32_f32_e32 v10, v10
	v_xor_b32_e32 v9, v9, v8
	s_delay_alu instid0(VALU_DEP_2) | instskip(NEXT) | instid1(VALU_DEP_1)
	v_xor_b32_e32 v10, v10, v8
	v_sub_co_u32 v7, s3, v10, v8
	s_delay_alu instid0(VALU_DEP_1) | instskip(SKIP_1) | instid1(VALU_DEP_3)
	v_sub_co_ci_u32_e64 v8, s3, v9, v8, s3
	v_mov_b32_e32 v9, 0
	v_cndmask_b32_e64 v7, v7, -1, s2
	s_delay_alu instid0(VALU_DEP_3) | instskip(NEXT) | instid1(VALU_DEP_1)
	v_cndmask_b32_e64 v8, v8, -1, s2
	v_cmpx_lt_i64_e32 -1, v[7:8]
	s_cbranch_execz .LBB56_315
; %bb.304:
	v_mov_b32_e32 v9, 1.0
	s_mov_b32 s14, exec_lo
	v_cmpx_lt_i64_e32 0, v[7:8]
	s_cbranch_execz .LBB56_314
; %bb.305:
	v_and_b32_e32 v10, 0xffff0000, v47
                                        ; implicit-def: $vgpr9
	s_mov_b32 s2, exec_lo
	v_cmpx_ne_u64_e32 1, v[7:8]
	s_xor_b32 s16, exec_lo, s2
	s_cbranch_execz .LBB56_311
; %bb.306:
	v_mov_b32_e32 v9, 0x7fc00000
	s_mov_b32 s17, exec_lo
	v_cmpx_gt_u64_e32 0x81, v[7:8]
	s_cbranch_execz .LBB56_310
; %bb.307:
	v_dual_add_f32 v10, v10, v10 :: v_dual_mov_b32 v47, 1.0
	v_lshlrev_b64 v[7:8], 1, v[7:8]
	s_mov_b64 s[2:3], 2
	s_mov_b32 s18, 0
	s_delay_alu instid0(VALU_DEP_2)
	v_mov_b32_e32 v9, v10
	.p2align	6
.LBB56_308:                             ; =>This Inner Loop Header: Depth=1
	s_clz_i32_u32 s19, s3
	s_delay_alu instid0(SALU_CYCLE_1) | instskip(NEXT) | instid1(SALU_CYCLE_1)
	s_min_u32 s19, s19, 32
	s_lshl_b64 s[20:21], s[2:3], s19
	s_sub_i32 s19, 32, s19
	s_min_u32 s20, s20, 1
	s_delay_alu instid0(SALU_CYCLE_1) | instskip(SKIP_3) | instid1(SALU_CYCLE_1)
	s_or_b32 s20, s21, s20
	s_add_u32 s2, s2, 2
	v_cvt_f32_u32_e32 v48, s20
	s_addc_u32 s3, s3, 0
	v_cmp_ge_u64_e32 vcc_lo, s[2:3], v[7:8]
	s_delay_alu instid0(VALU_DEP_2) | instskip(SKIP_1) | instid1(VALU_DEP_1)
	v_ldexp_f32 v48, v48, s19
	s_or_b32 s18, vcc_lo, s18
	v_dual_mul_f32 v48, v47, v48 :: v_dual_mov_b32 v47, v9
	s_delay_alu instid0(VALU_DEP_1)
	v_fma_f32 v9, v10, v9, -v48
	s_and_not1_b32 exec_lo, exec_lo, s18
	s_cbranch_execnz .LBB56_308
; %bb.309:
	s_or_b32 exec_lo, exec_lo, s18
.LBB56_310:
	s_delay_alu instid0(SALU_CYCLE_1)
	s_or_b32 exec_lo, exec_lo, s17
                                        ; implicit-def: $vgpr10
.LBB56_311:
	s_and_not1_saveexec_b32 s2, s16
; %bb.312:
	v_add_f32_e32 v9, v10, v10
; %bb.313:
	s_or_b32 exec_lo, exec_lo, s2
.LBB56_314:
	s_delay_alu instid0(SALU_CYCLE_1)
	s_or_b32 exec_lo, exec_lo, s14
.LBB56_315:
	s_delay_alu instid0(SALU_CYCLE_1) | instskip(SKIP_4) | instid1(VALU_DEP_2)
	s_or_b32 exec_lo, exec_lo, s13
	s_waitcnt vmcnt(2)
	v_bfe_u32 v7, v5, 16, 1
	v_cmp_u_f32_e32 vcc_lo, v5, v5
	s_mov_b32 s13, exec_lo
	v_add3_u32 v7, v5, v7, 0x7fff
	s_delay_alu instid0(VALU_DEP_1) | instskip(NEXT) | instid1(VALU_DEP_1)
	v_and_b32_e32 v7, 0xffff0000, v7
	v_cndmask_b32_e64 v5, v7, 0x7fc00000, vcc_lo
	v_and_b32_e32 v7, 0x7fffffff, v7
	s_delay_alu instid0(VALU_DEP_2) | instskip(NEXT) | instid1(VALU_DEP_2)
	v_trunc_f32_e32 v5, v5
	v_cmp_nlg_f32_e64 s2, 0x7f800000, v7
	s_delay_alu instid0(VALU_DEP_2) | instskip(NEXT) | instid1(VALU_DEP_2)
	v_mul_f32_e64 v8, 0x2f800000, |v5|
	s_or_b32 s2, vcc_lo, s2
	s_delay_alu instid0(VALU_DEP_1) | instskip(NEXT) | instid1(VALU_DEP_1)
	v_floor_f32_e32 v8, v8
	v_fma_f32 v10, 0xcf800000, v8, |v5|
	v_ashrrev_i32_e32 v5, 31, v5
	v_cvt_u32_f32_e32 v8, v8
	s_delay_alu instid0(VALU_DEP_3) | instskip(NEXT) | instid1(VALU_DEP_2)
	v_cvt_u32_f32_e32 v10, v10
	v_xor_b32_e32 v8, v8, v5
	s_delay_alu instid0(VALU_DEP_2) | instskip(NEXT) | instid1(VALU_DEP_1)
	v_xor_b32_e32 v10, v10, v5
	v_sub_co_u32 v7, s3, v10, v5
	v_mov_b32_e32 v10, 0
	s_delay_alu instid0(VALU_DEP_4) | instskip(NEXT) | instid1(VALU_DEP_3)
	v_sub_co_ci_u32_e64 v5, s3, v8, v5, s3
	v_cndmask_b32_e64 v7, v7, -1, s2
	s_delay_alu instid0(VALU_DEP_2) | instskip(NEXT) | instid1(VALU_DEP_1)
	v_cndmask_b32_e64 v8, v5, -1, s2
	v_cmpx_lt_i64_e32 -1, v[7:8]
	s_cbranch_execz .LBB56_327
; %bb.316:
	v_mov_b32_e32 v10, 1.0
	s_mov_b32 s14, exec_lo
	v_cmpx_lt_i64_e32 0, v[7:8]
	s_cbranch_execz .LBB56_326
; %bb.317:
	v_lshlrev_b32_e32 v5, 16, v46
                                        ; implicit-def: $vgpr10
	s_mov_b32 s2, exec_lo
	v_cmpx_ne_u64_e32 1, v[7:8]
	s_xor_b32 s16, exec_lo, s2
	s_cbranch_execz .LBB56_323
; %bb.318:
	v_mov_b32_e32 v10, 0x7fc00000
	s_mov_b32 s17, exec_lo
	v_cmpx_gt_u64_e32 0x81, v[7:8]
	s_cbranch_execz .LBB56_322
; %bb.319:
	v_add_f32_e32 v5, v5, v5
	v_lshlrev_b64 v[7:8], 1, v[7:8]
	v_mov_b32_e32 v47, 1.0
	s_mov_b64 s[2:3], 2
	s_mov_b32 s18, 0
	v_mov_b32_e32 v10, v5
	.p2align	6
.LBB56_320:                             ; =>This Inner Loop Header: Depth=1
	s_clz_i32_u32 s19, s3
	s_delay_alu instid0(SALU_CYCLE_1) | instskip(NEXT) | instid1(SALU_CYCLE_1)
	s_min_u32 s19, s19, 32
	s_lshl_b64 s[20:21], s[2:3], s19
	s_sub_i32 s19, 32, s19
	s_min_u32 s20, s20, 1
	s_delay_alu instid0(SALU_CYCLE_1) | instskip(SKIP_3) | instid1(SALU_CYCLE_1)
	s_or_b32 s20, s21, s20
	s_add_u32 s2, s2, 2
	v_cvt_f32_u32_e32 v48, s20
	s_addc_u32 s3, s3, 0
	v_cmp_ge_u64_e32 vcc_lo, s[2:3], v[7:8]
	s_delay_alu instid0(VALU_DEP_2) | instskip(SKIP_1) | instid1(VALU_DEP_1)
	v_ldexp_f32 v48, v48, s19
	s_or_b32 s18, vcc_lo, s18
	v_dual_mul_f32 v48, v47, v48 :: v_dual_mov_b32 v47, v10
	s_delay_alu instid0(VALU_DEP_1)
	v_fma_f32 v10, v5, v10, -v48
	s_and_not1_b32 exec_lo, exec_lo, s18
	s_cbranch_execnz .LBB56_320
; %bb.321:
	s_or_b32 exec_lo, exec_lo, s18
.LBB56_322:
	s_delay_alu instid0(SALU_CYCLE_1)
	s_or_b32 exec_lo, exec_lo, s17
                                        ; implicit-def: $vgpr5
.LBB56_323:
	s_and_not1_saveexec_b32 s2, s16
; %bb.324:
	v_add_f32_e32 v10, v5, v5
; %bb.325:
	s_or_b32 exec_lo, exec_lo, s2
.LBB56_326:
	s_delay_alu instid0(SALU_CYCLE_1)
	s_or_b32 exec_lo, exec_lo, s14
.LBB56_327:
	s_delay_alu instid0(SALU_CYCLE_1) | instskip(SKIP_3) | instid1(VALU_DEP_2)
	s_or_b32 exec_lo, exec_lo, s13
	v_bfe_u32 v5, v6, 16, 1
	v_cmp_u_f32_e32 vcc_lo, v6, v6
	s_mov_b32 s13, exec_lo
	v_add3_u32 v5, v6, v5, 0x7fff
	s_delay_alu instid0(VALU_DEP_1) | instskip(NEXT) | instid1(VALU_DEP_1)
	v_and_b32_e32 v5, 0xffff0000, v5
	v_cndmask_b32_e64 v6, v5, 0x7fc00000, vcc_lo
	v_and_b32_e32 v5, 0x7fffffff, v5
	s_delay_alu instid0(VALU_DEP_2) | instskip(NEXT) | instid1(VALU_DEP_2)
	v_trunc_f32_e32 v6, v6
	v_cmp_nlg_f32_e64 s2, 0x7f800000, v5
	s_delay_alu instid0(VALU_DEP_2) | instskip(NEXT) | instid1(VALU_DEP_2)
	v_mul_f32_e64 v7, 0x2f800000, |v6|
	s_or_b32 s2, vcc_lo, s2
	s_delay_alu instid0(VALU_DEP_1) | instskip(NEXT) | instid1(VALU_DEP_1)
	v_floor_f32_e32 v7, v7
	v_fma_f32 v8, 0xcf800000, v7, |v6|
	v_ashrrev_i32_e32 v6, 31, v6
	v_cvt_u32_f32_e32 v7, v7
	s_delay_alu instid0(VALU_DEP_3) | instskip(NEXT) | instid1(VALU_DEP_2)
	v_cvt_u32_f32_e32 v8, v8
	v_xor_b32_e32 v7, v7, v6
	s_delay_alu instid0(VALU_DEP_2) | instskip(NEXT) | instid1(VALU_DEP_1)
	v_xor_b32_e32 v8, v8, v6
	v_sub_co_u32 v5, s3, v8, v6
	s_delay_alu instid0(VALU_DEP_1) | instskip(SKIP_1) | instid1(VALU_DEP_3)
	v_sub_co_ci_u32_e64 v6, s3, v7, v6, s3
	v_mov_b32_e32 v7, 0
	v_cndmask_b32_e64 v5, v5, -1, s2
	s_delay_alu instid0(VALU_DEP_3) | instskip(NEXT) | instid1(VALU_DEP_1)
	v_cndmask_b32_e64 v6, v6, -1, s2
	v_cmpx_lt_i64_e32 -1, v[5:6]
	s_cbranch_execz .LBB56_339
; %bb.328:
	v_mov_b32_e32 v7, 1.0
	s_mov_b32 s14, exec_lo
	v_cmpx_lt_i64_e32 0, v[5:6]
	s_cbranch_execz .LBB56_338
; %bb.329:
	v_and_b32_e32 v8, 0xffff0000, v46
                                        ; implicit-def: $vgpr7
	s_mov_b32 s2, exec_lo
	v_cmpx_ne_u64_e32 1, v[5:6]
	s_xor_b32 s16, exec_lo, s2
	s_cbranch_execz .LBB56_335
; %bb.330:
	v_mov_b32_e32 v7, 0x7fc00000
	s_mov_b32 s17, exec_lo
	v_cmpx_gt_u64_e32 0x81, v[5:6]
	s_cbranch_execz .LBB56_334
; %bb.331:
	v_add_f32_e32 v8, v8, v8
	v_lshlrev_b64 v[5:6], 1, v[5:6]
	v_mov_b32_e32 v46, 1.0
	s_mov_b64 s[2:3], 2
	s_mov_b32 s18, 0
	v_mov_b32_e32 v7, v8
	.p2align	6
.LBB56_332:                             ; =>This Inner Loop Header: Depth=1
	s_clz_i32_u32 s19, s3
	s_delay_alu instid0(SALU_CYCLE_1) | instskip(NEXT) | instid1(SALU_CYCLE_1)
	s_min_u32 s19, s19, 32
	s_lshl_b64 s[20:21], s[2:3], s19
	s_sub_i32 s19, 32, s19
	s_min_u32 s20, s20, 1
	s_delay_alu instid0(SALU_CYCLE_1) | instskip(SKIP_3) | instid1(SALU_CYCLE_1)
	s_or_b32 s20, s21, s20
	s_add_u32 s2, s2, 2
	v_cvt_f32_u32_e32 v47, s20
	s_addc_u32 s3, s3, 0
	v_cmp_ge_u64_e32 vcc_lo, s[2:3], v[5:6]
	s_delay_alu instid0(VALU_DEP_2) | instskip(SKIP_1) | instid1(VALU_DEP_1)
	v_ldexp_f32 v47, v47, s19
	s_or_b32 s18, vcc_lo, s18
	v_dual_mul_f32 v47, v46, v47 :: v_dual_mov_b32 v46, v7
	s_delay_alu instid0(VALU_DEP_1)
	v_fma_f32 v7, v8, v7, -v47
	s_and_not1_b32 exec_lo, exec_lo, s18
	s_cbranch_execnz .LBB56_332
; %bb.333:
	s_or_b32 exec_lo, exec_lo, s18
.LBB56_334:
	s_delay_alu instid0(SALU_CYCLE_1)
	s_or_b32 exec_lo, exec_lo, s17
                                        ; implicit-def: $vgpr8
.LBB56_335:
	s_and_not1_saveexec_b32 s2, s16
; %bb.336:
	v_add_f32_e32 v7, v8, v8
; %bb.337:
	s_or_b32 exec_lo, exec_lo, s2
.LBB56_338:
	s_delay_alu instid0(SALU_CYCLE_1)
	s_or_b32 exec_lo, exec_lo, s14
.LBB56_339:
	s_delay_alu instid0(SALU_CYCLE_1) | instskip(SKIP_4) | instid1(VALU_DEP_2)
	s_or_b32 exec_lo, exec_lo, s13
	s_waitcnt vmcnt(1)
	v_bfe_u32 v5, v3, 16, 1
	v_cmp_u_f32_e32 vcc_lo, v3, v3
	s_mov_b32 s13, exec_lo
	v_add3_u32 v5, v3, v5, 0x7fff
	s_delay_alu instid0(VALU_DEP_1) | instskip(NEXT) | instid1(VALU_DEP_1)
	v_and_b32_e32 v5, 0xffff0000, v5
	v_cndmask_b32_e64 v3, v5, 0x7fc00000, vcc_lo
	v_and_b32_e32 v5, 0x7fffffff, v5
	s_delay_alu instid0(VALU_DEP_2) | instskip(NEXT) | instid1(VALU_DEP_2)
	v_trunc_f32_e32 v3, v3
	v_cmp_nlg_f32_e64 s2, 0x7f800000, v5
	s_delay_alu instid0(VALU_DEP_2) | instskip(NEXT) | instid1(VALU_DEP_2)
	v_mul_f32_e64 v6, 0x2f800000, |v3|
	s_or_b32 s2, vcc_lo, s2
	s_delay_alu instid0(VALU_DEP_1) | instskip(NEXT) | instid1(VALU_DEP_1)
	v_floor_f32_e32 v6, v6
	v_fma_f32 v8, 0xcf800000, v6, |v3|
	v_ashrrev_i32_e32 v3, 31, v3
	v_cvt_u32_f32_e32 v6, v6
	s_delay_alu instid0(VALU_DEP_3) | instskip(NEXT) | instid1(VALU_DEP_2)
	v_cvt_u32_f32_e32 v8, v8
	v_xor_b32_e32 v6, v6, v3
	s_delay_alu instid0(VALU_DEP_2) | instskip(NEXT) | instid1(VALU_DEP_1)
	v_xor_b32_e32 v8, v8, v3
	v_sub_co_u32 v5, s3, v8, v3
	v_mov_b32_e32 v8, 0
	s_delay_alu instid0(VALU_DEP_4) | instskip(NEXT) | instid1(VALU_DEP_3)
	v_sub_co_ci_u32_e64 v3, s3, v6, v3, s3
	v_cndmask_b32_e64 v5, v5, -1, s2
	s_delay_alu instid0(VALU_DEP_2) | instskip(NEXT) | instid1(VALU_DEP_1)
	v_cndmask_b32_e64 v6, v3, -1, s2
	v_cmpx_lt_i64_e32 -1, v[5:6]
	s_cbranch_execz .LBB56_351
; %bb.340:
	v_mov_b32_e32 v8, 1.0
	s_mov_b32 s14, exec_lo
	v_cmpx_lt_i64_e32 0, v[5:6]
	s_cbranch_execz .LBB56_350
; %bb.341:
	v_lshlrev_b32_e32 v3, 16, v45
                                        ; implicit-def: $vgpr8
	s_mov_b32 s2, exec_lo
	v_cmpx_ne_u64_e32 1, v[5:6]
	s_xor_b32 s16, exec_lo, s2
	s_cbranch_execz .LBB56_347
; %bb.342:
	v_mov_b32_e32 v8, 0x7fc00000
	s_mov_b32 s17, exec_lo
	v_cmpx_gt_u64_e32 0x81, v[5:6]
	s_cbranch_execz .LBB56_346
; %bb.343:
	v_dual_add_f32 v3, v3, v3 :: v_dual_mov_b32 v46, 1.0
	v_lshlrev_b64 v[5:6], 1, v[5:6]
	s_mov_b64 s[2:3], 2
	s_mov_b32 s18, 0
	s_delay_alu instid0(VALU_DEP_2)
	v_mov_b32_e32 v8, v3
	.p2align	6
.LBB56_344:                             ; =>This Inner Loop Header: Depth=1
	s_clz_i32_u32 s19, s3
	s_delay_alu instid0(SALU_CYCLE_1) | instskip(NEXT) | instid1(SALU_CYCLE_1)
	s_min_u32 s19, s19, 32
	s_lshl_b64 s[20:21], s[2:3], s19
	s_sub_i32 s19, 32, s19
	s_min_u32 s20, s20, 1
	s_delay_alu instid0(SALU_CYCLE_1) | instskip(SKIP_3) | instid1(SALU_CYCLE_1)
	s_or_b32 s20, s21, s20
	s_add_u32 s2, s2, 2
	v_cvt_f32_u32_e32 v47, s20
	s_addc_u32 s3, s3, 0
	v_cmp_ge_u64_e32 vcc_lo, s[2:3], v[5:6]
	s_delay_alu instid0(VALU_DEP_2) | instskip(SKIP_1) | instid1(VALU_DEP_1)
	v_ldexp_f32 v47, v47, s19
	s_or_b32 s18, vcc_lo, s18
	v_dual_mul_f32 v47, v46, v47 :: v_dual_mov_b32 v46, v8
	s_delay_alu instid0(VALU_DEP_1)
	v_fma_f32 v8, v3, v8, -v47
	s_and_not1_b32 exec_lo, exec_lo, s18
	s_cbranch_execnz .LBB56_344
; %bb.345:
	s_or_b32 exec_lo, exec_lo, s18
.LBB56_346:
	s_delay_alu instid0(SALU_CYCLE_1)
	s_or_b32 exec_lo, exec_lo, s17
                                        ; implicit-def: $vgpr3
.LBB56_347:
	s_and_not1_saveexec_b32 s2, s16
; %bb.348:
	v_add_f32_e32 v8, v3, v3
; %bb.349:
	s_or_b32 exec_lo, exec_lo, s2
.LBB56_350:
	s_delay_alu instid0(SALU_CYCLE_1)
	s_or_b32 exec_lo, exec_lo, s14
.LBB56_351:
	s_delay_alu instid0(SALU_CYCLE_1) | instskip(SKIP_3) | instid1(VALU_DEP_2)
	s_or_b32 exec_lo, exec_lo, s13
	v_bfe_u32 v3, v4, 16, 1
	v_cmp_u_f32_e32 vcc_lo, v4, v4
	s_mov_b32 s13, exec_lo
	v_add3_u32 v3, v4, v3, 0x7fff
	s_delay_alu instid0(VALU_DEP_1) | instskip(NEXT) | instid1(VALU_DEP_1)
	v_and_b32_e32 v3, 0xffff0000, v3
	v_cndmask_b32_e64 v4, v3, 0x7fc00000, vcc_lo
	v_and_b32_e32 v3, 0x7fffffff, v3
	s_delay_alu instid0(VALU_DEP_2) | instskip(NEXT) | instid1(VALU_DEP_2)
	v_trunc_f32_e32 v4, v4
	v_cmp_nlg_f32_e64 s2, 0x7f800000, v3
	s_delay_alu instid0(VALU_DEP_2) | instskip(NEXT) | instid1(VALU_DEP_2)
	v_mul_f32_e64 v5, 0x2f800000, |v4|
	s_or_b32 s2, vcc_lo, s2
	s_delay_alu instid0(VALU_DEP_1) | instskip(NEXT) | instid1(VALU_DEP_1)
	v_floor_f32_e32 v5, v5
	v_fma_f32 v6, 0xcf800000, v5, |v4|
	v_ashrrev_i32_e32 v4, 31, v4
	v_cvt_u32_f32_e32 v5, v5
	s_delay_alu instid0(VALU_DEP_3) | instskip(NEXT) | instid1(VALU_DEP_2)
	v_cvt_u32_f32_e32 v6, v6
	v_xor_b32_e32 v5, v5, v4
	s_delay_alu instid0(VALU_DEP_2) | instskip(NEXT) | instid1(VALU_DEP_1)
	v_xor_b32_e32 v6, v6, v4
	v_sub_co_u32 v3, s3, v6, v4
	s_delay_alu instid0(VALU_DEP_1) | instskip(SKIP_1) | instid1(VALU_DEP_3)
	v_sub_co_ci_u32_e64 v4, s3, v5, v4, s3
	v_mov_b32_e32 v5, 0
	v_cndmask_b32_e64 v3, v3, -1, s2
	s_delay_alu instid0(VALU_DEP_3) | instskip(NEXT) | instid1(VALU_DEP_1)
	v_cndmask_b32_e64 v4, v4, -1, s2
	v_cmpx_lt_i64_e32 -1, v[3:4]
	s_cbranch_execz .LBB56_363
; %bb.352:
	v_mov_b32_e32 v5, 1.0
	s_mov_b32 s14, exec_lo
	v_cmpx_lt_i64_e32 0, v[3:4]
	s_cbranch_execz .LBB56_362
; %bb.353:
	v_and_b32_e32 v6, 0xffff0000, v45
                                        ; implicit-def: $vgpr5
	s_mov_b32 s2, exec_lo
	v_cmpx_ne_u64_e32 1, v[3:4]
	s_xor_b32 s16, exec_lo, s2
	s_cbranch_execz .LBB56_359
; %bb.354:
	v_mov_b32_e32 v5, 0x7fc00000
	s_mov_b32 s17, exec_lo
	v_cmpx_gt_u64_e32 0x81, v[3:4]
	s_cbranch_execz .LBB56_358
; %bb.355:
	v_dual_add_f32 v6, v6, v6 :: v_dual_mov_b32 v45, 1.0
	v_lshlrev_b64 v[3:4], 1, v[3:4]
	s_mov_b64 s[2:3], 2
	s_mov_b32 s18, 0
	s_delay_alu instid0(VALU_DEP_2)
	v_mov_b32_e32 v5, v6
	.p2align	6
.LBB56_356:                             ; =>This Inner Loop Header: Depth=1
	s_clz_i32_u32 s19, s3
	s_delay_alu instid0(SALU_CYCLE_1) | instskip(NEXT) | instid1(SALU_CYCLE_1)
	s_min_u32 s19, s19, 32
	s_lshl_b64 s[20:21], s[2:3], s19
	s_sub_i32 s19, 32, s19
	s_min_u32 s20, s20, 1
	s_delay_alu instid0(SALU_CYCLE_1) | instskip(SKIP_3) | instid1(SALU_CYCLE_1)
	s_or_b32 s20, s21, s20
	s_add_u32 s2, s2, 2
	v_cvt_f32_u32_e32 v46, s20
	s_addc_u32 s3, s3, 0
	v_cmp_ge_u64_e32 vcc_lo, s[2:3], v[3:4]
	s_delay_alu instid0(VALU_DEP_2) | instskip(SKIP_1) | instid1(VALU_DEP_1)
	v_ldexp_f32 v46, v46, s19
	s_or_b32 s18, vcc_lo, s18
	v_mul_f32_e32 v46, v45, v46
	v_mov_b32_e32 v45, v5
	s_delay_alu instid0(VALU_DEP_2)
	v_fma_f32 v5, v6, v5, -v46
	s_and_not1_b32 exec_lo, exec_lo, s18
	s_cbranch_execnz .LBB56_356
; %bb.357:
	s_or_b32 exec_lo, exec_lo, s18
.LBB56_358:
	s_delay_alu instid0(SALU_CYCLE_1)
	s_or_b32 exec_lo, exec_lo, s17
                                        ; implicit-def: $vgpr6
.LBB56_359:
	s_and_not1_saveexec_b32 s2, s16
; %bb.360:
	v_add_f32_e32 v5, v6, v6
; %bb.361:
	s_or_b32 exec_lo, exec_lo, s2
.LBB56_362:
	s_delay_alu instid0(SALU_CYCLE_1)
	s_or_b32 exec_lo, exec_lo, s14
.LBB56_363:
	s_delay_alu instid0(SALU_CYCLE_1) | instskip(SKIP_4) | instid1(VALU_DEP_2)
	s_or_b32 exec_lo, exec_lo, s13
	s_waitcnt vmcnt(0)
	v_bfe_u32 v3, v1, 16, 1
	v_cmp_u_f32_e32 vcc_lo, v1, v1
	s_mov_b32 s13, exec_lo
	v_add3_u32 v3, v1, v3, 0x7fff
	s_delay_alu instid0(VALU_DEP_1) | instskip(NEXT) | instid1(VALU_DEP_1)
	v_and_b32_e32 v3, 0xffff0000, v3
	v_cndmask_b32_e64 v1, v3, 0x7fc00000, vcc_lo
	v_and_b32_e32 v3, 0x7fffffff, v3
	s_delay_alu instid0(VALU_DEP_2) | instskip(NEXT) | instid1(VALU_DEP_2)
	v_trunc_f32_e32 v1, v1
	v_cmp_nlg_f32_e64 s2, 0x7f800000, v3
	s_delay_alu instid0(VALU_DEP_2) | instskip(NEXT) | instid1(VALU_DEP_2)
	v_mul_f32_e64 v4, 0x2f800000, |v1|
	s_or_b32 s2, vcc_lo, s2
	s_delay_alu instid0(VALU_DEP_1) | instskip(NEXT) | instid1(VALU_DEP_1)
	v_floor_f32_e32 v4, v4
	v_fma_f32 v6, 0xcf800000, v4, |v1|
	v_ashrrev_i32_e32 v1, 31, v1
	v_cvt_u32_f32_e32 v4, v4
	s_delay_alu instid0(VALU_DEP_3) | instskip(NEXT) | instid1(VALU_DEP_2)
	v_cvt_u32_f32_e32 v6, v6
	v_xor_b32_e32 v4, v4, v1
	s_delay_alu instid0(VALU_DEP_2) | instskip(NEXT) | instid1(VALU_DEP_1)
	v_xor_b32_e32 v6, v6, v1
	v_sub_co_u32 v3, s3, v6, v1
	v_mov_b32_e32 v6, 0
	s_delay_alu instid0(VALU_DEP_4) | instskip(NEXT) | instid1(VALU_DEP_3)
	v_sub_co_ci_u32_e64 v1, s3, v4, v1, s3
	v_cndmask_b32_e64 v3, v3, -1, s2
	s_delay_alu instid0(VALU_DEP_2) | instskip(NEXT) | instid1(VALU_DEP_1)
	v_cndmask_b32_e64 v4, v1, -1, s2
	v_cmpx_lt_i64_e32 -1, v[3:4]
	s_cbranch_execz .LBB56_375
; %bb.364:
	v_mov_b32_e32 v6, 1.0
	s_mov_b32 s14, exec_lo
	v_cmpx_lt_i64_e32 0, v[3:4]
	s_cbranch_execz .LBB56_374
; %bb.365:
	v_lshlrev_b32_e32 v1, 16, v43
                                        ; implicit-def: $vgpr6
	s_mov_b32 s2, exec_lo
	v_cmpx_ne_u64_e32 1, v[3:4]
	s_xor_b32 s16, exec_lo, s2
	s_cbranch_execz .LBB56_371
; %bb.366:
	v_mov_b32_e32 v6, 0x7fc00000
	s_mov_b32 s17, exec_lo
	v_cmpx_gt_u64_e32 0x81, v[3:4]
	s_cbranch_execz .LBB56_370
; %bb.367:
	v_add_f32_e32 v1, v1, v1
	v_lshlrev_b64 v[3:4], 1, v[3:4]
	v_mov_b32_e32 v45, 1.0
	s_mov_b64 s[2:3], 2
	s_mov_b32 s18, 0
	v_mov_b32_e32 v6, v1
	.p2align	6
.LBB56_368:                             ; =>This Inner Loop Header: Depth=1
	s_clz_i32_u32 s19, s3
	s_delay_alu instid0(SALU_CYCLE_1) | instskip(NEXT) | instid1(SALU_CYCLE_1)
	s_min_u32 s19, s19, 32
	s_lshl_b64 s[20:21], s[2:3], s19
	s_sub_i32 s19, 32, s19
	s_min_u32 s20, s20, 1
	s_delay_alu instid0(SALU_CYCLE_1) | instskip(SKIP_3) | instid1(SALU_CYCLE_1)
	s_or_b32 s20, s21, s20
	s_add_u32 s2, s2, 2
	v_cvt_f32_u32_e32 v46, s20
	s_addc_u32 s3, s3, 0
	v_cmp_ge_u64_e32 vcc_lo, s[2:3], v[3:4]
	s_delay_alu instid0(VALU_DEP_2) | instskip(SKIP_1) | instid1(VALU_DEP_1)
	v_ldexp_f32 v46, v46, s19
	s_or_b32 s18, vcc_lo, s18
	v_dual_mul_f32 v46, v45, v46 :: v_dual_mov_b32 v45, v6
	s_delay_alu instid0(VALU_DEP_1)
	v_fma_f32 v6, v1, v6, -v46
	s_and_not1_b32 exec_lo, exec_lo, s18
	s_cbranch_execnz .LBB56_368
; %bb.369:
	s_or_b32 exec_lo, exec_lo, s18
.LBB56_370:
	s_delay_alu instid0(SALU_CYCLE_1)
	s_or_b32 exec_lo, exec_lo, s17
                                        ; implicit-def: $vgpr1
.LBB56_371:
	s_and_not1_saveexec_b32 s2, s16
; %bb.372:
	v_add_f32_e32 v6, v1, v1
; %bb.373:
	s_or_b32 exec_lo, exec_lo, s2
.LBB56_374:
	s_delay_alu instid0(SALU_CYCLE_1)
	s_or_b32 exec_lo, exec_lo, s14
.LBB56_375:
	s_delay_alu instid0(SALU_CYCLE_1) | instskip(SKIP_3) | instid1(VALU_DEP_2)
	s_or_b32 exec_lo, exec_lo, s13
	v_bfe_u32 v1, v2, 16, 1
	v_cmp_u_f32_e32 vcc_lo, v2, v2
	s_mov_b32 s13, exec_lo
	v_add3_u32 v1, v2, v1, 0x7fff
	s_delay_alu instid0(VALU_DEP_1) | instskip(NEXT) | instid1(VALU_DEP_1)
	v_and_b32_e32 v1, 0xffff0000, v1
	v_cndmask_b32_e64 v2, v1, 0x7fc00000, vcc_lo
	v_and_b32_e32 v1, 0x7fffffff, v1
	s_delay_alu instid0(VALU_DEP_2) | instskip(NEXT) | instid1(VALU_DEP_2)
	v_trunc_f32_e32 v2, v2
	v_cmp_nlg_f32_e64 s2, 0x7f800000, v1
	s_delay_alu instid0(VALU_DEP_2) | instskip(NEXT) | instid1(VALU_DEP_2)
	v_mul_f32_e64 v3, 0x2f800000, |v2|
	s_or_b32 s2, vcc_lo, s2
	s_delay_alu instid0(VALU_DEP_1) | instskip(NEXT) | instid1(VALU_DEP_1)
	v_floor_f32_e32 v3, v3
	v_fma_f32 v4, 0xcf800000, v3, |v2|
	v_ashrrev_i32_e32 v2, 31, v2
	v_cvt_u32_f32_e32 v3, v3
	s_delay_alu instid0(VALU_DEP_3) | instskip(NEXT) | instid1(VALU_DEP_2)
	v_cvt_u32_f32_e32 v4, v4
	v_xor_b32_e32 v3, v3, v2
	s_delay_alu instid0(VALU_DEP_2) | instskip(NEXT) | instid1(VALU_DEP_1)
	v_xor_b32_e32 v4, v4, v2
	v_sub_co_u32 v1, s3, v4, v2
	s_delay_alu instid0(VALU_DEP_1) | instskip(SKIP_1) | instid1(VALU_DEP_3)
	v_sub_co_ci_u32_e64 v2, s3, v3, v2, s3
	v_mov_b32_e32 v3, 0
	v_cndmask_b32_e64 v1, v1, -1, s2
	s_delay_alu instid0(VALU_DEP_3) | instskip(NEXT) | instid1(VALU_DEP_1)
	v_cndmask_b32_e64 v2, v2, -1, s2
	v_cmpx_lt_i64_e32 -1, v[1:2]
	s_cbranch_execz .LBB56_387
; %bb.376:
	v_mov_b32_e32 v3, 1.0
	s_mov_b32 s14, exec_lo
	v_cmpx_lt_i64_e32 0, v[1:2]
	s_cbranch_execz .LBB56_386
; %bb.377:
	v_and_b32_e32 v4, 0xffff0000, v43
                                        ; implicit-def: $vgpr3
	s_mov_b32 s2, exec_lo
	v_cmpx_ne_u64_e32 1, v[1:2]
	s_xor_b32 s16, exec_lo, s2
	s_cbranch_execz .LBB56_383
; %bb.378:
	v_mov_b32_e32 v3, 0x7fc00000
	s_mov_b32 s17, exec_lo
	v_cmpx_gt_u64_e32 0x81, v[1:2]
	s_cbranch_execz .LBB56_382
; %bb.379:
	v_dual_add_f32 v4, v4, v4 :: v_dual_mov_b32 v43, 1.0
	v_lshlrev_b64 v[1:2], 1, v[1:2]
	s_mov_b64 s[2:3], 2
	s_mov_b32 s18, 0
	s_delay_alu instid0(VALU_DEP_2)
	v_mov_b32_e32 v3, v4
	.p2align	6
.LBB56_380:                             ; =>This Inner Loop Header: Depth=1
	s_clz_i32_u32 s19, s3
	s_delay_alu instid0(SALU_CYCLE_1) | instskip(NEXT) | instid1(SALU_CYCLE_1)
	s_min_u32 s19, s19, 32
	s_lshl_b64 s[20:21], s[2:3], s19
	s_sub_i32 s19, 32, s19
	s_min_u32 s20, s20, 1
	s_delay_alu instid0(SALU_CYCLE_1) | instskip(SKIP_3) | instid1(SALU_CYCLE_1)
	s_or_b32 s20, s21, s20
	s_add_u32 s2, s2, 2
	v_cvt_f32_u32_e32 v45, s20
	s_addc_u32 s3, s3, 0
	v_cmp_ge_u64_e32 vcc_lo, s[2:3], v[1:2]
	s_delay_alu instid0(VALU_DEP_2) | instskip(SKIP_1) | instid1(VALU_DEP_1)
	v_ldexp_f32 v45, v45, s19
	s_or_b32 s18, vcc_lo, s18
	v_mul_f32_e32 v45, v43, v45
	v_mov_b32_e32 v43, v3
	s_delay_alu instid0(VALU_DEP_2)
	v_fma_f32 v3, v4, v3, -v45
	s_and_not1_b32 exec_lo, exec_lo, s18
	s_cbranch_execnz .LBB56_380
; %bb.381:
	s_or_b32 exec_lo, exec_lo, s18
.LBB56_382:
	s_delay_alu instid0(SALU_CYCLE_1)
	s_or_b32 exec_lo, exec_lo, s17
                                        ; implicit-def: $vgpr4
.LBB56_383:
	s_and_not1_saveexec_b32 s2, s16
; %bb.384:
	v_add_f32_e32 v3, v4, v4
; %bb.385:
	s_or_b32 exec_lo, exec_lo, s2
.LBB56_386:
	s_delay_alu instid0(SALU_CYCLE_1)
	s_or_b32 exec_lo, exec_lo, s14
.LBB56_387:
	s_delay_alu instid0(SALU_CYCLE_1)
	s_or_b32 exec_lo, exec_lo, s13
	v_bfe_u32 v1, v33, 16, 1
	v_bfe_u32 v2, v44, 16, 1
	v_cmp_o_f32_e32 vcc_lo, v33, v33
	v_bfe_u32 v4, v31, 16, 1
	v_bfe_u32 v43, v34, 16, 1
	v_add3_u32 v1, v33, v1, 0x7fff
	v_add3_u32 v2, v44, v2, 0x7fff
	v_bfe_u32 v46, v27, 16, 1
	v_add3_u32 v4, v31, v4, 0x7fff
	v_add3_u32 v43, v34, v43, 0x7fff
	v_and_b32_e32 v1, 0xffff0000, v1
	v_lshrrev_b32_e32 v2, 16, v2
	s_add_u32 s2, s4, s8
	s_addc_u32 s3, s5, s9
	v_lshrrev_b32_e32 v43, 16, v43
	v_cndmask_b32_e32 v1, 0x7fc00000, v1, vcc_lo
	v_cmp_o_f32_e32 vcc_lo, v44, v44
	v_add_co_u32 v33, s9, s2, v35
	s_delay_alu instid0(VALU_DEP_1) | instskip(SKIP_3) | instid1(VALU_DEP_3)
	v_add_co_ci_u32_e64 v44, null, s3, 0, s9
	v_cndmask_b32_e32 v2, 0x7fc0, v2, vcc_lo
	v_cmp_o_f32_e32 vcc_lo, v31, v31
	v_bfe_u32 v31, v30, 16, 1
	v_or_b32_e32 v45, v1, v2
	v_and_b32_e32 v1, 0xffff0000, v4
	v_bfe_u32 v4, v29, 16, 1
	v_bfe_u32 v2, v32, 16, 1
	v_add3_u32 v31, v30, v31, 0x7fff
	s_delay_alu instid0(VALU_DEP_4) | instskip(NEXT) | instid1(VALU_DEP_4)
	v_cndmask_b32_e32 v1, 0x7fc00000, v1, vcc_lo
	v_add3_u32 v4, v29, v4, 0x7fff
	v_cmp_o_f32_e32 vcc_lo, v34, v34
	v_add3_u32 v2, v32, v2, 0x7fff
	v_lshrrev_b32_e32 v31, 16, v31
	s_delay_alu instid0(VALU_DEP_4)
	v_and_b32_e32 v4, 0xffff0000, v4
	v_cndmask_b32_e32 v34, 0x7fc0, v43, vcc_lo
	v_cmp_o_f32_e32 vcc_lo, v29, v29
	v_lshrrev_b32_e32 v2, 16, v2
	v_add3_u32 v43, v27, v46, 0x7fff
	v_cndmask_b32_e32 v4, 0x7fc00000, v4, vcc_lo
	v_cmp_o_f32_e32 vcc_lo, v32, v32
	s_delay_alu instid0(VALU_DEP_3) | instskip(SKIP_4) | instid1(VALU_DEP_2)
	v_and_b32_e32 v29, 0xffff0000, v43
	v_bfe_u32 v43, v25, 16, 1
	v_bfe_u32 v32, v28, 16, 1
	v_cndmask_b32_e32 v2, 0x7fc0, v2, vcc_lo
	v_cmp_o_f32_e32 vcc_lo, v27, v27
	v_or_b32_e32 v4, v4, v2
	v_cndmask_b32_e32 v27, 0x7fc00000, v29, vcc_lo
	v_cmp_o_f32_e32 vcc_lo, v30, v30
	v_add3_u32 v30, v25, v43, 0x7fff
	v_cndmask_b32_e32 v29, 0x7fc0, v31, vcc_lo
	v_add3_u32 v31, v28, v32, 0x7fff
	v_or_b32_e32 v32, v1, v34
	s_delay_alu instid0(VALU_DEP_4)
	v_and_b32_e32 v1, 0xffff0000, v30
	v_cmp_o_f32_e32 vcc_lo, v25, v25
	v_bfe_u32 v30, v23, 16, 1
	v_lshrrev_b32_e32 v2, 16, v31
	v_or_b32_e32 v27, v27, v29
	v_bfe_u32 v29, v26, 16, 1
	v_cndmask_b32_e32 v25, 0x7fc00000, v1, vcc_lo
	v_cmp_o_f32_e32 vcc_lo, v28, v28
	v_add3_u32 v30, v23, v30, 0x7fff
	v_bfe_u32 v31, v21, 16, 1
	v_add3_u32 v29, v26, v29, 0x7fff
	v_bfe_u32 v34, v7, 16, 1
	v_cndmask_b32_e32 v28, 0x7fc0, v2, vcc_lo
	v_add_co_u32 v1, vcc_lo, 0x1000, v33
	v_add_co_ci_u32_e32 v2, vcc_lo, 0, v44, vcc_lo
	s_delay_alu instid0(VALU_DEP_3) | instskip(SKIP_4) | instid1(VALU_DEP_4)
	v_or_b32_e32 v25, v25, v28
	v_and_b32_e32 v28, 0xffff0000, v30
	v_cmp_o_f32_e32 vcc_lo, v23, v23
	v_lshrrev_b32_e32 v29, 16, v29
	v_bfe_u32 v30, v24, 16, 1
	v_cndmask_b32_e32 v23, 0x7fc00000, v28, vcc_lo
	v_cmp_o_f32_e32 vcc_lo, v26, v26
	v_add3_u32 v28, v21, v31, 0x7fff
	v_bfe_u32 v31, v19, 16, 1
	v_cndmask_b32_e32 v26, 0x7fc0, v29, vcc_lo
	v_add3_u32 v29, v24, v30, 0x7fff
	v_bfe_u32 v30, v22, 16, 1
	v_cmp_o_f32_e32 vcc_lo, v21, v21
	s_delay_alu instid0(VALU_DEP_4)
	v_or_b32_e32 v23, v23, v26
	v_and_b32_e32 v26, 0xffff0000, v28
	v_lshrrev_b32_e32 v28, 16, v29
	v_add3_u32 v29, v22, v30, 0x7fff
	v_add3_u32 v30, v19, v31, 0x7fff
	v_bfe_u32 v31, v14, 16, 1
	v_cndmask_b32_e32 v26, 0x7fc00000, v26, vcc_lo
	v_cmp_o_f32_e32 vcc_lo, v24, v24
	s_delay_alu instid0(VALU_DEP_4)
	v_and_b32_e32 v21, 0xffff0000, v30
	v_bfe_u32 v30, v17, 16, 1
	v_cndmask_b32_e32 v24, 0x7fc0, v28, vcc_lo
	v_cmp_o_f32_e32 vcc_lo, v19, v19
	v_lshrrev_b32_e32 v28, 16, v29
	v_bfe_u32 v29, v20, 16, 1
	v_add3_u32 v30, v17, v30, 0x7fff
	v_or_b32_e32 v24, v26, v24
	v_cndmask_b32_e32 v19, 0x7fc00000, v21, vcc_lo
	v_cmp_o_f32_e32 vcc_lo, v22, v22
	v_add3_u32 v29, v20, v29, 0x7fff
	v_cndmask_b32_e32 v28, 0x7fc0, v28, vcc_lo
	v_add_co_u32 v21, vcc_lo, 0x2000, v33
	v_add_co_ci_u32_e32 v22, vcc_lo, 0, v44, vcc_lo
	s_delay_alu instid0(VALU_DEP_3)
	v_or_b32_e32 v26, v19, v28
	v_and_b32_e32 v19, 0xffff0000, v30
	v_cmp_o_f32_e32 vcc_lo, v17, v17
	v_bfe_u32 v30, v15, 16, 1
	v_lshrrev_b32_e32 v28, 16, v29
	v_bfe_u32 v29, v18, 16, 1
	v_cndmask_b32_e32 v17, 0x7fc00000, v19, vcc_lo
	v_cmp_o_f32_e32 vcc_lo, v20, v20
	v_add3_u32 v30, v15, v30, 0x7fff
	s_delay_alu instid0(VALU_DEP_4)
	v_add3_u32 v29, v18, v29, 0x7fff
	v_cndmask_b32_e32 v28, 0x7fc0, v28, vcc_lo
	v_add_co_u32 v19, vcc_lo, 0x3000, v33
	v_add_co_ci_u32_e32 v20, vcc_lo, 0, v44, vcc_lo
	v_and_b32_e32 v30, 0xffff0000, v30
	v_cmp_o_f32_e32 vcc_lo, v15, v15
	v_or_b32_e32 v17, v17, v28
	v_lshrrev_b32_e32 v28, 16, v29
	v_bfe_u32 v29, v13, 16, 1
	v_cndmask_b32_e32 v15, 0x7fc00000, v30, vcc_lo
	v_cmp_o_f32_e32 vcc_lo, v18, v18
	v_bfe_u32 v30, v16, 16, 1
	v_cndmask_b32_e32 v18, 0x7fc0, v28, vcc_lo
	v_add3_u32 v28, v13, v29, 0x7fff
	v_bfe_u32 v29, v11, 16, 1
	s_delay_alu instid0(VALU_DEP_4)
	v_add3_u32 v30, v16, v30, 0x7fff
	v_cmp_o_f32_e32 vcc_lo, v13, v13
	v_or_b32_e32 v18, v15, v18
	v_and_b32_e32 v15, 0xffff0000, v28
	v_add3_u32 v28, v11, v29, 0x7fff
	v_lshrrev_b32_e32 v30, 16, v30
	v_add3_u32 v29, v14, v31, 0x7fff
	s_delay_alu instid0(VALU_DEP_4) | instskip(SKIP_2) | instid1(VALU_DEP_4)
	v_cndmask_b32_e32 v15, 0x7fc00000, v15, vcc_lo
	v_cmp_o_f32_e32 vcc_lo, v16, v16
	v_and_b32_e32 v13, 0xffff0000, v28
	v_lshrrev_b32_e32 v28, 16, v29
	v_bfe_u32 v29, v12, 16, 1
	v_cndmask_b32_e32 v16, 0x7fc0, v30, vcc_lo
	v_cmp_o_f32_e32 vcc_lo, v11, v11
	v_bfe_u32 v30, v9, 16, 1
	s_delay_alu instid0(VALU_DEP_3)
	v_or_b32_e32 v31, v15, v16
	v_cndmask_b32_e32 v11, 0x7fc00000, v13, vcc_lo
	v_cmp_o_f32_e32 vcc_lo, v14, v14
	v_cndmask_b32_e32 v28, 0x7fc0, v28, vcc_lo
	v_add_co_u32 v13, vcc_lo, 0x4000, v33
	v_add_co_ci_u32_e32 v14, vcc_lo, 0, v44, vcc_lo
	s_delay_alu instid0(VALU_DEP_3) | instskip(SKIP_4) | instid1(VALU_DEP_3)
	v_or_b32_e32 v11, v11, v28
	v_add3_u32 v28, v12, v29, 0x7fff
	v_add3_u32 v29, v9, v30, 0x7fff
	v_add_co_u32 v15, vcc_lo, 0x5000, v33
	v_add_co_ci_u32_e32 v16, vcc_lo, 0, v44, vcc_lo
	v_and_b32_e32 v29, 0xffff0000, v29
	v_cmp_o_f32_e32 vcc_lo, v9, v9
	v_lshrrev_b32_e32 v28, 16, v28
	v_bfe_u32 v30, v10, 16, 1
	s_delay_alu instid0(VALU_DEP_4) | instskip(SKIP_1) | instid1(VALU_DEP_3)
	v_cndmask_b32_e32 v9, 0x7fc00000, v29, vcc_lo
	v_cmp_o_f32_e32 vcc_lo, v12, v12
	v_add3_u32 v29, v10, v30, 0x7fff
	v_bfe_u32 v30, v8, 16, 1
	v_cndmask_b32_e32 v12, 0x7fc0, v28, vcc_lo
	v_add3_u32 v28, v7, v34, 0x7fff
	v_bfe_u32 v34, v5, 16, 1
	v_cmp_o_f32_e32 vcc_lo, v7, v7
	s_delay_alu instid0(VALU_DEP_4) | instskip(NEXT) | instid1(VALU_DEP_4)
	v_or_b32_e32 v9, v9, v12
	v_and_b32_e32 v12, 0xffff0000, v28
	v_lshrrev_b32_e32 v28, 16, v29
	v_add3_u32 v29, v8, v30, 0x7fff
	v_add3_u32 v30, v5, v34, 0x7fff
	s_clause 0x7
	global_store_b32 v35, v45, s[2:3]
	global_store_b32 v35, v32, s[2:3] offset:2048
	global_store_b32 v36, v4, s[2:3]
	global_store_b32 v37, v25, s[2:3]
	;; [unrolled: 1-line block ×6, first 2 shown]
	v_cndmask_b32_e32 v7, 0x7fc00000, v12, vcc_lo
	v_cmp_o_f32_e32 vcc_lo, v10, v10
	v_and_b32_e32 v12, 0xffff0000, v30
	v_bfe_u32 v30, v3, 16, 1
	v_cndmask_b32_e32 v10, 0x7fc0, v28, vcc_lo
	v_cmp_o_f32_e32 vcc_lo, v5, v5
	v_lshrrev_b32_e32 v28, 16, v29
	v_bfe_u32 v29, v6, 16, 1
	s_delay_alu instid0(VALU_DEP_4) | instskip(SKIP_2) | instid1(VALU_DEP_4)
	v_or_b32_e32 v7, v7, v10
	v_cndmask_b32_e32 v5, 0x7fc00000, v12, vcc_lo
	v_cmp_o_f32_e32 vcc_lo, v8, v8
	v_add3_u32 v12, v6, v29, 0x7fff
	v_cndmask_b32_e32 v8, 0x7fc0, v28, vcc_lo
	v_add3_u32 v28, v3, v30, 0x7fff
	v_cmp_o_f32_e32 vcc_lo, v3, v3
	s_delay_alu instid0(VALU_DEP_4) | instskip(NEXT) | instid1(VALU_DEP_4)
	v_lshrrev_b32_e32 v9, 16, v12
	v_or_b32_e32 v5, v5, v8
	s_delay_alu instid0(VALU_DEP_4)
	v_and_b32_e32 v4, 0xffff0000, v28
	global_store_b32 v42, v5, s[2:3]
	v_cndmask_b32_e32 v8, 0x7fc00000, v4, vcc_lo
	v_cmp_o_f32_e32 vcc_lo, v6, v6
	v_cndmask_b32_e32 v6, 0x7fc0, v9, vcc_lo
	v_add_co_u32 v3, vcc_lo, 0x6000, v33
	v_add_co_ci_u32_e32 v4, vcc_lo, 0, v44, vcc_lo
	v_add_co_u32 v5, vcc_lo, 0x7000, v33
	s_delay_alu instid0(VALU_DEP_4)
	v_or_b32_e32 v8, v8, v6
	v_add_co_ci_u32_e32 v6, vcc_lo, 0, v44, vcc_lo
	s_clause 0x6
	global_store_b32 v[1:2], v27, off offset:2048
	global_store_b32 v[21:22], v23, off offset:2048
	;; [unrolled: 1-line block ×7, first 2 shown]
	s_branch .LBB56_2
.LBB56_388:
	s_clause 0x1
	s_load_b32 s2, s[0:1], 0x24
	s_load_b128 s[16:19], s[0:1], 0x28
	v_dual_mov_b32 v31, v0 :: v_dual_mov_b32 v0, s4
	v_dual_mov_b32 v1, s5 :: v_dual_mov_b32 v2, s6
	;; [unrolled: 1-line block ×4, first 2 shown]
	s_add_u32 s8, s0, 56
	s_addc_u32 s9, s1, 0
	s_mov_b32 s12, s15
	s_getpc_b64 s[0:1]
	s_add_u32 s0, s0, _ZN2at6native25elementwise_kernel_helperILb1ENS0_13BinaryFunctorIfffZZZNS0_12_GLOBAL__N_132hermite_polynomial_h_kernel_cudaERNS_18TensorIteratorBaseEENKUlvE_clEvENKUlvE0_clEvEUlffE_EENS0_6memory8policies11unroll_baseILi512ESt5arrayIPcLm3EE23TrivialOffsetCalculatorILi2EjESG_ILi1EjENSA_12LoadWithCastILi2EEENSA_13StoreWithCastILi1EEELi32ELi1EEEEEvT0_T1_@rel32@lo+4
	s_addc_u32 s1, s1, _ZN2at6native25elementwise_kernel_helperILb1ENS0_13BinaryFunctorIfffZZZNS0_12_GLOBAL__N_132hermite_polynomial_h_kernel_cudaERNS_18TensorIteratorBaseEENKUlvE_clEvENKUlvE0_clEvEUlffE_EENS0_6memory8policies11unroll_baseILi512ESt5arrayIPcLm3EE23TrivialOffsetCalculatorILi2EjESG_ILi1EjENSA_12LoadWithCastILi2EEENSA_13StoreWithCastILi1EEELi32ELi1EEEEEvT0_T1_@rel32@hi+12
	s_waitcnt lgkmcnt(0)
	v_lshrrev_b16 v8, 8, s2
	v_dual_mov_b32 v7, s2 :: v_dual_mov_b32 v10, s17
	v_dual_mov_b32 v9, s16 :: v_dual_mov_b32 v12, s19
	v_mov_b32_e32 v11, s18
	s_swappc_b64 s[30:31], s[0:1]
	s_endpgm
	.section	.rodata,"a",@progbits
	.p2align	6, 0x0
	.amdhsa_kernel _ZN2at6native39vectorized_templated_elementwise_kernelILi2ENS0_13BinaryFunctorIfffZZZNS0_12_GLOBAL__N_132hermite_polynomial_h_kernel_cudaERNS_18TensorIteratorBaseEENKUlvE_clEvENKUlvE0_clEvEUlffE_EESt5arrayIPcLm3EE23TrivialOffsetCalculatorILi2EjESD_ILi1EjENS0_6memory12LoadWithCastILi2EEENSG_13StoreWithCastILi1EEEN3c108BFloat16EJSM_fEEEviT0_T1_T2_T3_T4_T5_
		.amdhsa_group_segment_fixed_size 0
		.amdhsa_private_segment_fixed_size 272
		.amdhsa_kernarg_size 312
		.amdhsa_user_sgpr_count 15
		.amdhsa_user_sgpr_dispatch_ptr 0
		.amdhsa_user_sgpr_queue_ptr 0
		.amdhsa_user_sgpr_kernarg_segment_ptr 1
		.amdhsa_user_sgpr_dispatch_id 0
		.amdhsa_user_sgpr_private_segment_size 0
		.amdhsa_wavefront_size32 1
		.amdhsa_uses_dynamic_stack 0
		.amdhsa_enable_private_segment 1
		.amdhsa_system_sgpr_workgroup_id_x 1
		.amdhsa_system_sgpr_workgroup_id_y 0
		.amdhsa_system_sgpr_workgroup_id_z 0
		.amdhsa_system_sgpr_workgroup_info 0
		.amdhsa_system_vgpr_workitem_id 0
		.amdhsa_next_free_vgpr 68
		.amdhsa_next_free_sgpr 77
		.amdhsa_reserve_vcc 1
		.amdhsa_float_round_mode_32 0
		.amdhsa_float_round_mode_16_64 0
		.amdhsa_float_denorm_mode_32 3
		.amdhsa_float_denorm_mode_16_64 3
		.amdhsa_dx10_clamp 1
		.amdhsa_ieee_mode 1
		.amdhsa_fp16_overflow 0
		.amdhsa_workgroup_processor_mode 1
		.amdhsa_memory_ordered 1
		.amdhsa_forward_progress 0
		.amdhsa_shared_vgpr_count 0
		.amdhsa_exception_fp_ieee_invalid_op 0
		.amdhsa_exception_fp_denorm_src 0
		.amdhsa_exception_fp_ieee_div_zero 0
		.amdhsa_exception_fp_ieee_overflow 0
		.amdhsa_exception_fp_ieee_underflow 0
		.amdhsa_exception_fp_ieee_inexact 0
		.amdhsa_exception_int_div_zero 0
	.end_amdhsa_kernel
	.section	.text._ZN2at6native39vectorized_templated_elementwise_kernelILi2ENS0_13BinaryFunctorIfffZZZNS0_12_GLOBAL__N_132hermite_polynomial_h_kernel_cudaERNS_18TensorIteratorBaseEENKUlvE_clEvENKUlvE0_clEvEUlffE_EESt5arrayIPcLm3EE23TrivialOffsetCalculatorILi2EjESD_ILi1EjENS0_6memory12LoadWithCastILi2EEENSG_13StoreWithCastILi1EEEN3c108BFloat16EJSM_fEEEviT0_T1_T2_T3_T4_T5_,"axG",@progbits,_ZN2at6native39vectorized_templated_elementwise_kernelILi2ENS0_13BinaryFunctorIfffZZZNS0_12_GLOBAL__N_132hermite_polynomial_h_kernel_cudaERNS_18TensorIteratorBaseEENKUlvE_clEvENKUlvE0_clEvEUlffE_EESt5arrayIPcLm3EE23TrivialOffsetCalculatorILi2EjESD_ILi1EjENS0_6memory12LoadWithCastILi2EEENSG_13StoreWithCastILi1EEEN3c108BFloat16EJSM_fEEEviT0_T1_T2_T3_T4_T5_,comdat
.Lfunc_end56:
	.size	_ZN2at6native39vectorized_templated_elementwise_kernelILi2ENS0_13BinaryFunctorIfffZZZNS0_12_GLOBAL__N_132hermite_polynomial_h_kernel_cudaERNS_18TensorIteratorBaseEENKUlvE_clEvENKUlvE0_clEvEUlffE_EESt5arrayIPcLm3EE23TrivialOffsetCalculatorILi2EjESD_ILi1EjENS0_6memory12LoadWithCastILi2EEENSG_13StoreWithCastILi1EEEN3c108BFloat16EJSM_fEEEviT0_T1_T2_T3_T4_T5_, .Lfunc_end56-_ZN2at6native39vectorized_templated_elementwise_kernelILi2ENS0_13BinaryFunctorIfffZZZNS0_12_GLOBAL__N_132hermite_polynomial_h_kernel_cudaERNS_18TensorIteratorBaseEENKUlvE_clEvENKUlvE0_clEvEUlffE_EESt5arrayIPcLm3EE23TrivialOffsetCalculatorILi2EjESD_ILi1EjENS0_6memory12LoadWithCastILi2EEENSG_13StoreWithCastILi1EEEN3c108BFloat16EJSM_fEEEviT0_T1_T2_T3_T4_T5_
                                        ; -- End function
	.section	.AMDGPU.csdata,"",@progbits
; Kernel info:
; codeLenInByte = 16196
; NumSgprs: 79
; NumVgprs: 68
; ScratchSize: 272
; MemoryBound: 0
; FloatMode: 240
; IeeeMode: 1
; LDSByteSize: 0 bytes/workgroup (compile time only)
; SGPRBlocks: 9
; VGPRBlocks: 8
; NumSGPRsForWavesPerEU: 79
; NumVGPRsForWavesPerEU: 68
; Occupancy: 16
; WaveLimiterHint : 0
; COMPUTE_PGM_RSRC2:SCRATCH_EN: 1
; COMPUTE_PGM_RSRC2:USER_SGPR: 15
; COMPUTE_PGM_RSRC2:TRAP_HANDLER: 0
; COMPUTE_PGM_RSRC2:TGID_X_EN: 1
; COMPUTE_PGM_RSRC2:TGID_Y_EN: 0
; COMPUTE_PGM_RSRC2:TGID_Z_EN: 0
; COMPUTE_PGM_RSRC2:TIDIG_COMP_CNT: 0
	.section	.text._ZN2at6native39vectorized_templated_elementwise_kernelILi8ENS0_13BinaryFunctorIfffZZZNS0_12_GLOBAL__N_132hermite_polynomial_h_kernel_cudaERNS_18TensorIteratorBaseEENKUlvE_clEvENKUlvE0_clEvEUlffE_EESt5arrayIPcLm3EE23TrivialOffsetCalculatorILi2EjESD_ILi1EjENS0_6memory12LoadWithCastILi2EEENSG_13StoreWithCastILi1EEEfJfN3c104HalfEEEEviT0_T1_T2_T3_T4_T5_,"axG",@progbits,_ZN2at6native39vectorized_templated_elementwise_kernelILi8ENS0_13BinaryFunctorIfffZZZNS0_12_GLOBAL__N_132hermite_polynomial_h_kernel_cudaERNS_18TensorIteratorBaseEENKUlvE_clEvENKUlvE0_clEvEUlffE_EESt5arrayIPcLm3EE23TrivialOffsetCalculatorILi2EjESD_ILi1EjENS0_6memory12LoadWithCastILi2EEENSG_13StoreWithCastILi1EEEfJfN3c104HalfEEEEviT0_T1_T2_T3_T4_T5_,comdat
	.globl	_ZN2at6native39vectorized_templated_elementwise_kernelILi8ENS0_13BinaryFunctorIfffZZZNS0_12_GLOBAL__N_132hermite_polynomial_h_kernel_cudaERNS_18TensorIteratorBaseEENKUlvE_clEvENKUlvE0_clEvEUlffE_EESt5arrayIPcLm3EE23TrivialOffsetCalculatorILi2EjESD_ILi1EjENS0_6memory12LoadWithCastILi2EEENSG_13StoreWithCastILi1EEEfJfN3c104HalfEEEEviT0_T1_T2_T3_T4_T5_ ; -- Begin function _ZN2at6native39vectorized_templated_elementwise_kernelILi8ENS0_13BinaryFunctorIfffZZZNS0_12_GLOBAL__N_132hermite_polynomial_h_kernel_cudaERNS_18TensorIteratorBaseEENKUlvE_clEvENKUlvE0_clEvEUlffE_EESt5arrayIPcLm3EE23TrivialOffsetCalculatorILi2EjESD_ILi1EjENS0_6memory12LoadWithCastILi2EEENSG_13StoreWithCastILi1EEEfJfN3c104HalfEEEEviT0_T1_T2_T3_T4_T5_
	.p2align	8
	.type	_ZN2at6native39vectorized_templated_elementwise_kernelILi8ENS0_13BinaryFunctorIfffZZZNS0_12_GLOBAL__N_132hermite_polynomial_h_kernel_cudaERNS_18TensorIteratorBaseEENKUlvE_clEvENKUlvE0_clEvEUlffE_EESt5arrayIPcLm3EE23TrivialOffsetCalculatorILi2EjESD_ILi1EjENS0_6memory12LoadWithCastILi2EEENSG_13StoreWithCastILi1EEEfJfN3c104HalfEEEEviT0_T1_T2_T3_T4_T5_,@function
_ZN2at6native39vectorized_templated_elementwise_kernelILi8ENS0_13BinaryFunctorIfffZZZNS0_12_GLOBAL__N_132hermite_polynomial_h_kernel_cudaERNS_18TensorIteratorBaseEENKUlvE_clEvENKUlvE0_clEvEUlffE_EESt5arrayIPcLm3EE23TrivialOffsetCalculatorILi2EjESD_ILi1EjENS0_6memory12LoadWithCastILi2EEENSG_13StoreWithCastILi1EEEfJfN3c104HalfEEEEviT0_T1_T2_T3_T4_T5_: ; @_ZN2at6native39vectorized_templated_elementwise_kernelILi8ENS0_13BinaryFunctorIfffZZZNS0_12_GLOBAL__N_132hermite_polynomial_h_kernel_cudaERNS_18TensorIteratorBaseEENKUlvE_clEvENKUlvE0_clEvEUlffE_EESt5arrayIPcLm3EE23TrivialOffsetCalculatorILi2EjESD_ILi1EjENS0_6memory12LoadWithCastILi2EEENSG_13StoreWithCastILi1EEEfJfN3c104HalfEEEEviT0_T1_T2_T3_T4_T5_
; %bb.0:
	s_clause 0x3
	s_load_b32 s8, s[0:1], 0x38
	s_load_b32 s9, s[0:1], 0x0
	s_load_b64 s[2:3], s[0:1], 0x18
	s_load_b128 s[4:7], s[0:1], 0x8
	s_not_b32 s10, s15
	s_mov_b32 s32, 0
	s_waitcnt lgkmcnt(0)
	s_add_i32 s8, s8, s10
	s_delay_alu instid0(SALU_CYCLE_1) | instskip(SKIP_2) | instid1(SALU_CYCLE_1)
	s_lshl_b32 s10, s8, 14
	s_mov_b32 s8, -1
	s_sub_i32 s12, s9, s10
	s_cmpk_gt_i32 s12, 0x3fff
	s_cbranch_scc1 .LBB57_3
; %bb.1:
	s_and_b32 vcc_lo, exec_lo, s8
	s_cbranch_vccnz .LBB57_388
.LBB57_2:
	s_nop 0
	s_sendmsg sendmsg(MSG_DEALLOC_VGPRS)
	s_endpgm
.LBB57_3:
	s_ashr_i32 s11, s10, 31
	v_lshlrev_b32_e32 v53, 5, v0
	s_lshl_b64 s[8:9], s[10:11], 2
	v_or_b32_e32 v5, 0x400, v0
	s_add_u32 s16, s6, s8
	s_addc_u32 s17, s7, s9
	v_add_co_u32 v3, s13, s16, v53
	s_delay_alu instid0(VALU_DEP_1) | instskip(SKIP_2) | instid1(VALU_DEP_3)
	v_add_co_ci_u32_e64 v4, null, s17, 0, s13
	s_lshl_b64 s[10:11], s[10:11], 1
	v_lshlrev_b32_e32 v6, 4, v0
	v_add_co_u32 v1, vcc_lo, 0x4000, v3
	s_add_u32 s10, s2, s10
	v_add_co_ci_u32_e32 v2, vcc_lo, 0, v4, vcc_lo
	s_addc_u32 s11, s3, s11
	v_lshlrev_b32_e32 v54, 5, v5
	global_load_b128 v[13:16], v6, s[10:11]
	s_clause 0x5
	global_load_b128 v[21:24], v53, s[16:17] offset:16
	global_load_b128 v[49:52], v53, s[16:17]
	global_load_b128 v[45:48], v[1:2], off
	global_load_b128 v[41:44], v[1:2], off offset:16
	global_load_b128 v[25:28], v54, s[16:17] offset:16
	global_load_b128 v[37:40], v54, s[16:17]
	v_add_co_u32 v6, s13, s10, v6
	s_delay_alu instid0(VALU_DEP_1) | instskip(SKIP_2) | instid1(VALU_DEP_4)
	v_add_co_ci_u32_e64 v7, null, s11, 0, s13
	v_add_co_u32 v1, vcc_lo, 0xc000, v3
	v_add_co_ci_u32_e32 v2, vcc_lo, 0, v4, vcc_lo
	v_add_co_u32 v3, vcc_lo, 0x2000, v6
	s_delay_alu instid0(VALU_DEP_4)
	v_add_co_ci_u32_e32 v4, vcc_lo, 0, v7, vcc_lo
	v_add_co_u32 v9, vcc_lo, 0x6000, v6
	v_lshlrev_b32_e32 v11, 4, v5
	v_add_co_ci_u32_e32 v10, vcc_lo, 0, v7, vcc_lo
	s_clause 0x1
	global_load_b128 v[17:20], v[1:2], off
	global_load_b128 v[5:8], v[1:2], off offset:16
	s_clause 0x2
	global_load_b128 v[33:36], v[3:4], off
	global_load_b128 v[29:32], v11, s[10:11]
	global_load_b128 v[9:12], v[9:10], off
	s_mov_b32 s13, exec_lo
	s_waitcnt vmcnt(11)
	v_cvt_f32_f16_e32 v1, v13
	v_cmp_class_f16_e64 vcc_lo, v13, 0x1f8
	s_delay_alu instid0(VALU_DEP_2) | instskip(NEXT) | instid1(VALU_DEP_1)
	v_cvt_i32_f32_e32 v1, v1
	v_ashrrev_i32_e32 v2, 31, v1
	s_delay_alu instid0(VALU_DEP_1) | instskip(SKIP_1) | instid1(VALU_DEP_2)
	v_dual_cndmask_b32 v3, -1, v2 :: v_dual_cndmask_b32 v2, -1, v1
	v_mov_b32_e32 v1, 0
	v_cmpx_lt_i64_e32 -1, v[2:3]
	s_cbranch_execz .LBB57_15
; %bb.4:
	v_mov_b32_e32 v1, 1.0
	s_mov_b32 s14, exec_lo
	v_cmpx_lt_i64_e32 0, v[2:3]
	s_cbranch_execz .LBB57_14
; %bb.5:
                                        ; implicit-def: $vgpr1
	s_mov_b32 s10, exec_lo
	v_cmpx_ne_u64_e32 1, v[2:3]
	s_xor_b32 s16, exec_lo, s10
	s_cbranch_execz .LBB57_11
; %bb.6:
	v_mov_b32_e32 v1, 0x7fc00000
	s_mov_b32 s17, exec_lo
	v_cmpx_gt_u64_e32 0x81, v[2:3]
	s_cbranch_execz .LBB57_10
; %bb.7:
	s_waitcnt vmcnt(9)
	v_dual_add_f32 v4, v49, v49 :: v_dual_mov_b32 v55, 1.0
	v_lshlrev_b64 v[2:3], 1, v[2:3]
	s_mov_b64 s[10:11], 2
	s_mov_b32 s18, 0
	s_delay_alu instid0(VALU_DEP_2)
	v_mov_b32_e32 v1, v4
	.p2align	6
.LBB57_8:                               ; =>This Inner Loop Header: Depth=1
	s_clz_i32_u32 s19, s11
	s_delay_alu instid0(SALU_CYCLE_1) | instskip(NEXT) | instid1(SALU_CYCLE_1)
	s_min_u32 s19, s19, 32
	s_lshl_b64 s[20:21], s[10:11], s19
	s_sub_i32 s19, 32, s19
	s_min_u32 s20, s20, 1
	s_delay_alu instid0(SALU_CYCLE_1) | instskip(SKIP_3) | instid1(SALU_CYCLE_1)
	s_or_b32 s20, s21, s20
	s_add_u32 s10, s10, 2
	v_cvt_f32_u32_e32 v56, s20
	s_addc_u32 s11, s11, 0
	v_cmp_ge_u64_e32 vcc_lo, s[10:11], v[2:3]
	s_delay_alu instid0(VALU_DEP_2) | instskip(SKIP_1) | instid1(VALU_DEP_1)
	v_ldexp_f32 v56, v56, s19
	s_or_b32 s18, vcc_lo, s18
	v_dual_mul_f32 v56, v55, v56 :: v_dual_mov_b32 v55, v1
	s_delay_alu instid0(VALU_DEP_1)
	v_fma_f32 v1, v4, v1, -v56
	s_and_not1_b32 exec_lo, exec_lo, s18
	s_cbranch_execnz .LBB57_8
; %bb.9:
	s_or_b32 exec_lo, exec_lo, s18
.LBB57_10:
	s_delay_alu instid0(SALU_CYCLE_1)
	s_or_b32 exec_lo, exec_lo, s17
.LBB57_11:
	s_and_not1_saveexec_b32 s10, s16
	s_cbranch_execz .LBB57_13
; %bb.12:
	s_waitcnt vmcnt(9)
	v_add_f32_e32 v1, v49, v49
.LBB57_13:
	s_or_b32 exec_lo, exec_lo, s10
.LBB57_14:
	s_delay_alu instid0(SALU_CYCLE_1)
	s_or_b32 exec_lo, exec_lo, s14
.LBB57_15:
	s_delay_alu instid0(SALU_CYCLE_1) | instskip(SKIP_2) | instid1(VALU_DEP_1)
	s_or_b32 exec_lo, exec_lo, s13
	v_lshrrev_b32_e32 v2, 16, v13
	s_mov_b32 s13, exec_lo
	v_cvt_f32_f16_e32 v3, v2
	v_cmp_class_f16_e64 vcc_lo, v2, 0x1f8
	v_mov_b32_e32 v2, 0
	s_delay_alu instid0(VALU_DEP_3) | instskip(NEXT) | instid1(VALU_DEP_1)
	v_cvt_i32_f32_e32 v3, v3
	v_ashrrev_i32_e32 v4, 31, v3
	s_delay_alu instid0(VALU_DEP_1) | instskip(NEXT) | instid1(VALU_DEP_1)
	v_dual_cndmask_b32 v3, -1, v3 :: v_dual_cndmask_b32 v4, -1, v4
	v_cmpx_lt_i64_e32 -1, v[3:4]
	s_cbranch_execz .LBB57_27
; %bb.16:
	v_mov_b32_e32 v2, 1.0
	s_mov_b32 s14, exec_lo
	v_cmpx_lt_i64_e32 0, v[3:4]
	s_cbranch_execz .LBB57_26
; %bb.17:
	s_mov_b32 s10, exec_lo
	v_cmpx_ne_u64_e32 1, v[3:4]
	s_xor_b32 s16, exec_lo, s10
	s_cbranch_execz .LBB57_23
; %bb.18:
	v_mov_b32_e32 v2, 0x7fc00000
	s_mov_b32 s17, exec_lo
	v_cmpx_gt_u64_e32 0x81, v[3:4]
	s_cbranch_execz .LBB57_22
; %bb.19:
	s_waitcnt vmcnt(9)
	v_add_f32_e32 v13, v50, v50
	v_lshlrev_b64 v[3:4], 1, v[3:4]
	v_mov_b32_e32 v49, 1.0
	s_mov_b64 s[10:11], 2
	s_mov_b32 s18, 0
	v_mov_b32_e32 v2, v13
	.p2align	6
.LBB57_20:                              ; =>This Inner Loop Header: Depth=1
	s_clz_i32_u32 s19, s11
	s_delay_alu instid0(SALU_CYCLE_1) | instskip(NEXT) | instid1(SALU_CYCLE_1)
	s_min_u32 s19, s19, 32
	s_lshl_b64 s[20:21], s[10:11], s19
	s_sub_i32 s19, 32, s19
	s_min_u32 s20, s20, 1
	s_delay_alu instid0(SALU_CYCLE_1) | instskip(SKIP_3) | instid1(SALU_CYCLE_1)
	s_or_b32 s20, s21, s20
	s_add_u32 s10, s10, 2
	v_cvt_f32_u32_e32 v55, s20
	s_addc_u32 s11, s11, 0
	v_cmp_ge_u64_e32 vcc_lo, s[10:11], v[3:4]
	s_delay_alu instid0(VALU_DEP_2) | instskip(SKIP_1) | instid1(VALU_DEP_1)
	v_ldexp_f32 v55, v55, s19
	s_or_b32 s18, vcc_lo, s18
	v_mul_f32_e32 v55, v49, v55
	v_mov_b32_e32 v49, v2
	s_delay_alu instid0(VALU_DEP_2)
	v_fma_f32 v2, v13, v2, -v55
	s_and_not1_b32 exec_lo, exec_lo, s18
	s_cbranch_execnz .LBB57_20
; %bb.21:
	s_or_b32 exec_lo, exec_lo, s18
.LBB57_22:
	s_delay_alu instid0(SALU_CYCLE_1)
	s_or_b32 exec_lo, exec_lo, s17
.LBB57_23:
	s_and_not1_saveexec_b32 s10, s16
	s_cbranch_execz .LBB57_25
; %bb.24:
	s_waitcnt vmcnt(9)
	v_add_f32_e32 v2, v50, v50
.LBB57_25:
	s_or_b32 exec_lo, exec_lo, s10
.LBB57_26:
	s_delay_alu instid0(SALU_CYCLE_1)
	s_or_b32 exec_lo, exec_lo, s14
.LBB57_27:
	s_delay_alu instid0(SALU_CYCLE_1) | instskip(SKIP_3) | instid1(VALU_DEP_2)
	s_or_b32 exec_lo, exec_lo, s13
	v_cvt_f32_f16_e32 v3, v14
	v_cmp_class_f16_e64 vcc_lo, v14, 0x1f8
	s_mov_b32 s13, exec_lo
	v_cvt_i32_f32_e32 v3, v3
	s_delay_alu instid0(VALU_DEP_1) | instskip(SKIP_2) | instid1(VALU_DEP_2)
	v_ashrrev_i32_e32 v4, 31, v3
	s_waitcnt vmcnt(9)
	v_cndmask_b32_e32 v49, -1, v3, vcc_lo
	v_dual_mov_b32 v3, 0 :: v_dual_cndmask_b32 v50, -1, v4
	s_delay_alu instid0(VALU_DEP_1)
	v_cmpx_lt_i64_e32 -1, v[49:50]
	s_cbranch_execz .LBB57_39
; %bb.28:
	v_mov_b32_e32 v3, 1.0
	s_mov_b32 s14, exec_lo
	v_cmpx_lt_i64_e32 0, v[49:50]
	s_cbranch_execz .LBB57_38
; %bb.29:
	s_mov_b32 s10, exec_lo
	v_cmpx_ne_u64_e32 1, v[49:50]
	s_xor_b32 s16, exec_lo, s10
	s_cbranch_execz .LBB57_35
; %bb.30:
	v_mov_b32_e32 v3, 0x7fc00000
	s_mov_b32 s17, exec_lo
	v_cmpx_gt_u64_e32 0x81, v[49:50]
	s_cbranch_execz .LBB57_34
; %bb.31:
	v_dual_add_f32 v4, v51, v51 :: v_dual_mov_b32 v13, 1.0
	v_lshlrev_b64 v[49:50], 1, v[49:50]
	s_mov_b64 s[10:11], 2
	s_mov_b32 s18, 0
	s_delay_alu instid0(VALU_DEP_2)
	v_mov_b32_e32 v3, v4
	.p2align	6
.LBB57_32:                              ; =>This Inner Loop Header: Depth=1
	s_clz_i32_u32 s19, s11
	s_delay_alu instid0(SALU_CYCLE_1) | instskip(NEXT) | instid1(SALU_CYCLE_1)
	s_min_u32 s19, s19, 32
	s_lshl_b64 s[20:21], s[10:11], s19
	s_sub_i32 s19, 32, s19
	s_min_u32 s20, s20, 1
	s_delay_alu instid0(SALU_CYCLE_1) | instskip(SKIP_3) | instid1(SALU_CYCLE_1)
	s_or_b32 s20, s21, s20
	s_add_u32 s10, s10, 2
	v_cvt_f32_u32_e32 v55, s20
	s_addc_u32 s11, s11, 0
	v_cmp_ge_u64_e32 vcc_lo, s[10:11], v[49:50]
	s_delay_alu instid0(VALU_DEP_2) | instskip(SKIP_1) | instid1(VALU_DEP_1)
	v_ldexp_f32 v55, v55, s19
	s_or_b32 s18, vcc_lo, s18
	v_mul_f32_e32 v55, v13, v55
	v_mov_b32_e32 v13, v3
	s_delay_alu instid0(VALU_DEP_2)
	v_fma_f32 v3, v4, v3, -v55
	s_and_not1_b32 exec_lo, exec_lo, s18
	s_cbranch_execnz .LBB57_32
; %bb.33:
	s_or_b32 exec_lo, exec_lo, s18
.LBB57_34:
	s_delay_alu instid0(SALU_CYCLE_1)
	s_or_b32 exec_lo, exec_lo, s17
.LBB57_35:
	s_and_not1_saveexec_b32 s10, s16
; %bb.36:
	v_add_f32_e32 v3, v51, v51
; %bb.37:
	s_or_b32 exec_lo, exec_lo, s10
.LBB57_38:
	s_delay_alu instid0(SALU_CYCLE_1)
	s_or_b32 exec_lo, exec_lo, s14
.LBB57_39:
	s_delay_alu instid0(SALU_CYCLE_1) | instskip(SKIP_2) | instid1(VALU_DEP_1)
	s_or_b32 exec_lo, exec_lo, s13
	v_lshrrev_b32_e32 v4, 16, v14
	s_mov_b32 s13, exec_lo
	v_cvt_f32_f16_e32 v13, v4
	v_cmp_class_f16_e64 vcc_lo, v4, 0x1f8
	v_mov_b32_e32 v4, 0
	s_delay_alu instid0(VALU_DEP_3) | instskip(NEXT) | instid1(VALU_DEP_1)
	v_cvt_i32_f32_e32 v13, v13
	v_ashrrev_i32_e32 v14, 31, v13
	s_delay_alu instid0(VALU_DEP_1) | instskip(NEXT) | instid1(VALU_DEP_1)
	v_dual_cndmask_b32 v13, -1, v13 :: v_dual_cndmask_b32 v14, -1, v14
	v_cmpx_lt_i64_e32 -1, v[13:14]
	s_cbranch_execz .LBB57_51
; %bb.40:
	v_mov_b32_e32 v4, 1.0
	s_mov_b32 s14, exec_lo
	v_cmpx_lt_i64_e32 0, v[13:14]
	s_cbranch_execz .LBB57_50
; %bb.41:
	s_mov_b32 s10, exec_lo
	v_cmpx_ne_u64_e32 1, v[13:14]
	s_xor_b32 s16, exec_lo, s10
	s_cbranch_execz .LBB57_47
; %bb.42:
	v_mov_b32_e32 v4, 0x7fc00000
	s_mov_b32 s17, exec_lo
	v_cmpx_gt_u64_e32 0x81, v[13:14]
	s_cbranch_execz .LBB57_46
; %bb.43:
	v_dual_add_f32 v49, v52, v52 :: v_dual_mov_b32 v50, 1.0
	v_lshlrev_b64 v[13:14], 1, v[13:14]
	s_mov_b64 s[10:11], 2
	s_mov_b32 s18, 0
	s_delay_alu instid0(VALU_DEP_2)
	v_mov_b32_e32 v4, v49
	.p2align	6
.LBB57_44:                              ; =>This Inner Loop Header: Depth=1
	s_clz_i32_u32 s19, s11
	s_delay_alu instid0(SALU_CYCLE_1) | instskip(NEXT) | instid1(SALU_CYCLE_1)
	s_min_u32 s19, s19, 32
	s_lshl_b64 s[20:21], s[10:11], s19
	s_sub_i32 s19, 32, s19
	s_min_u32 s20, s20, 1
	s_delay_alu instid0(SALU_CYCLE_1) | instskip(SKIP_3) | instid1(SALU_CYCLE_1)
	s_or_b32 s20, s21, s20
	s_add_u32 s10, s10, 2
	v_cvt_f32_u32_e32 v51, s20
	s_addc_u32 s11, s11, 0
	v_cmp_ge_u64_e32 vcc_lo, s[10:11], v[13:14]
	s_delay_alu instid0(VALU_DEP_2) | instskip(SKIP_1) | instid1(VALU_DEP_1)
	v_ldexp_f32 v51, v51, s19
	s_or_b32 s18, vcc_lo, s18
	v_dual_mul_f32 v51, v50, v51 :: v_dual_mov_b32 v50, v4
	s_delay_alu instid0(VALU_DEP_1)
	v_fma_f32 v4, v49, v4, -v51
	s_and_not1_b32 exec_lo, exec_lo, s18
	s_cbranch_execnz .LBB57_44
; %bb.45:
	s_or_b32 exec_lo, exec_lo, s18
.LBB57_46:
	s_delay_alu instid0(SALU_CYCLE_1)
	s_or_b32 exec_lo, exec_lo, s17
                                        ; implicit-def: $vgpr49_vgpr50_vgpr51_vgpr52
.LBB57_47:
	s_and_not1_saveexec_b32 s10, s16
; %bb.48:
	v_add_f32_e32 v4, v52, v52
; %bb.49:
	s_or_b32 exec_lo, exec_lo, s10
.LBB57_50:
	s_delay_alu instid0(SALU_CYCLE_1)
	s_or_b32 exec_lo, exec_lo, s14
.LBB57_51:
	s_delay_alu instid0(SALU_CYCLE_1) | instskip(SKIP_3) | instid1(VALU_DEP_2)
	s_or_b32 exec_lo, exec_lo, s13
	v_cvt_f32_f16_e32 v13, v15
	v_cmp_class_f16_e64 vcc_lo, v15, 0x1f8
	s_mov_b32 s13, exec_lo
	v_cvt_i32_f32_e32 v13, v13
	s_delay_alu instid0(VALU_DEP_1) | instskip(SKIP_1) | instid1(VALU_DEP_2)
	v_ashrrev_i32_e32 v14, 31, v13
	v_cndmask_b32_e32 v49, -1, v13, vcc_lo
	v_dual_mov_b32 v13, 0 :: v_dual_cndmask_b32 v50, -1, v14
	s_delay_alu instid0(VALU_DEP_1)
	v_cmpx_lt_i64_e32 -1, v[49:50]
	s_cbranch_execz .LBB57_63
; %bb.52:
	v_mov_b32_e32 v13, 1.0
	s_mov_b32 s14, exec_lo
	v_cmpx_lt_i64_e32 0, v[49:50]
	s_cbranch_execz .LBB57_62
; %bb.53:
                                        ; implicit-def: $vgpr13
	s_mov_b32 s10, exec_lo
	v_cmpx_ne_u64_e32 1, v[49:50]
	s_xor_b32 s16, exec_lo, s10
	s_cbranch_execz .LBB57_59
; %bb.54:
	v_mov_b32_e32 v13, 0x7fc00000
	s_mov_b32 s17, exec_lo
	v_cmpx_gt_u64_e32 0x81, v[49:50]
	s_cbranch_execz .LBB57_58
; %bb.55:
	v_dual_add_f32 v14, v21, v21 :: v_dual_mov_b32 v51, 1.0
	v_lshlrev_b64 v[49:50], 1, v[49:50]
	s_mov_b64 s[10:11], 2
	s_mov_b32 s18, 0
	s_delay_alu instid0(VALU_DEP_2)
	v_mov_b32_e32 v13, v14
	.p2align	6
.LBB57_56:                              ; =>This Inner Loop Header: Depth=1
	s_clz_i32_u32 s19, s11
	s_delay_alu instid0(SALU_CYCLE_1) | instskip(NEXT) | instid1(SALU_CYCLE_1)
	s_min_u32 s19, s19, 32
	s_lshl_b64 s[20:21], s[10:11], s19
	s_sub_i32 s19, 32, s19
	s_min_u32 s20, s20, 1
	s_delay_alu instid0(SALU_CYCLE_1) | instskip(SKIP_3) | instid1(SALU_CYCLE_1)
	s_or_b32 s20, s21, s20
	s_add_u32 s10, s10, 2
	v_cvt_f32_u32_e32 v52, s20
	s_addc_u32 s11, s11, 0
	v_cmp_ge_u64_e32 vcc_lo, s[10:11], v[49:50]
	s_delay_alu instid0(VALU_DEP_2) | instskip(SKIP_1) | instid1(VALU_DEP_1)
	v_ldexp_f32 v52, v52, s19
	s_or_b32 s18, vcc_lo, s18
	v_dual_mul_f32 v52, v51, v52 :: v_dual_mov_b32 v51, v13
	s_delay_alu instid0(VALU_DEP_1)
	v_fma_f32 v13, v14, v13, -v52
	s_and_not1_b32 exec_lo, exec_lo, s18
	s_cbranch_execnz .LBB57_56
; %bb.57:
	s_or_b32 exec_lo, exec_lo, s18
.LBB57_58:
	s_delay_alu instid0(SALU_CYCLE_1)
	s_or_b32 exec_lo, exec_lo, s17
.LBB57_59:
	s_and_not1_saveexec_b32 s10, s16
; %bb.60:
	v_add_f32_e32 v13, v21, v21
; %bb.61:
	s_or_b32 exec_lo, exec_lo, s10
.LBB57_62:
	s_delay_alu instid0(SALU_CYCLE_1)
	s_or_b32 exec_lo, exec_lo, s14
.LBB57_63:
	s_delay_alu instid0(SALU_CYCLE_1) | instskip(SKIP_2) | instid1(VALU_DEP_1)
	s_or_b32 exec_lo, exec_lo, s13
	v_lshrrev_b32_e32 v14, 16, v15
	s_mov_b32 s13, exec_lo
	v_cvt_f32_f16_e32 v15, v14
	v_cmp_class_f16_e64 vcc_lo, v14, 0x1f8
	v_mov_b32_e32 v14, 0
	s_delay_alu instid0(VALU_DEP_3) | instskip(NEXT) | instid1(VALU_DEP_1)
	v_cvt_i32_f32_e32 v15, v15
	v_ashrrev_i32_e32 v21, 31, v15
	s_delay_alu instid0(VALU_DEP_1) | instskip(NEXT) | instid1(VALU_DEP_1)
	v_dual_cndmask_b32 v49, -1, v15 :: v_dual_cndmask_b32 v50, -1, v21
	v_cmpx_lt_i64_e32 -1, v[49:50]
	s_cbranch_execz .LBB57_75
; %bb.64:
	v_mov_b32_e32 v14, 1.0
	s_mov_b32 s14, exec_lo
	v_cmpx_lt_i64_e32 0, v[49:50]
	s_cbranch_execz .LBB57_74
; %bb.65:
	s_mov_b32 s10, exec_lo
	v_cmpx_ne_u64_e32 1, v[49:50]
	s_xor_b32 s16, exec_lo, s10
	s_cbranch_execz .LBB57_71
; %bb.66:
	v_mov_b32_e32 v14, 0x7fc00000
	s_mov_b32 s17, exec_lo
	v_cmpx_gt_u64_e32 0x81, v[49:50]
	s_cbranch_execz .LBB57_70
; %bb.67:
	v_add_f32_e32 v15, v22, v22
	v_lshlrev_b64 v[49:50], 1, v[49:50]
	v_mov_b32_e32 v21, 1.0
	s_mov_b64 s[10:11], 2
	s_mov_b32 s18, 0
	v_mov_b32_e32 v14, v15
	.p2align	6
.LBB57_68:                              ; =>This Inner Loop Header: Depth=1
	s_clz_i32_u32 s19, s11
	s_delay_alu instid0(SALU_CYCLE_1) | instskip(NEXT) | instid1(SALU_CYCLE_1)
	s_min_u32 s19, s19, 32
	s_lshl_b64 s[20:21], s[10:11], s19
	s_sub_i32 s19, 32, s19
	s_min_u32 s20, s20, 1
	s_delay_alu instid0(SALU_CYCLE_1) | instskip(SKIP_3) | instid1(SALU_CYCLE_1)
	s_or_b32 s20, s21, s20
	s_add_u32 s10, s10, 2
	v_cvt_f32_u32_e32 v51, s20
	s_addc_u32 s11, s11, 0
	v_cmp_ge_u64_e32 vcc_lo, s[10:11], v[49:50]
	s_delay_alu instid0(VALU_DEP_2) | instskip(SKIP_1) | instid1(VALU_DEP_1)
	v_ldexp_f32 v51, v51, s19
	s_or_b32 s18, vcc_lo, s18
	v_mul_f32_e32 v51, v21, v51
	v_mov_b32_e32 v21, v14
	s_delay_alu instid0(VALU_DEP_2)
	v_fma_f32 v14, v15, v14, -v51
	s_and_not1_b32 exec_lo, exec_lo, s18
	s_cbranch_execnz .LBB57_68
; %bb.69:
	s_or_b32 exec_lo, exec_lo, s18
.LBB57_70:
	s_delay_alu instid0(SALU_CYCLE_1)
	s_or_b32 exec_lo, exec_lo, s17
.LBB57_71:
	s_and_not1_saveexec_b32 s10, s16
; %bb.72:
	v_add_f32_e32 v14, v22, v22
; %bb.73:
	s_or_b32 exec_lo, exec_lo, s10
.LBB57_74:
	s_delay_alu instid0(SALU_CYCLE_1)
	s_or_b32 exec_lo, exec_lo, s14
.LBB57_75:
	s_delay_alu instid0(SALU_CYCLE_1) | instskip(SKIP_3) | instid1(VALU_DEP_2)
	s_or_b32 exec_lo, exec_lo, s13
	v_cvt_f32_f16_e32 v15, v16
	v_cmp_class_f16_e64 vcc_lo, v16, 0x1f8
	s_mov_b32 s13, exec_lo
	v_cvt_i32_f32_e32 v15, v15
	s_delay_alu instid0(VALU_DEP_1) | instskip(NEXT) | instid1(VALU_DEP_1)
	v_ashrrev_i32_e32 v21, 31, v15
	v_dual_cndmask_b32 v22, -1, v21 :: v_dual_cndmask_b32 v21, -1, v15
	v_mov_b32_e32 v15, 0
	s_delay_alu instid0(VALU_DEP_2)
	v_cmpx_lt_i64_e32 -1, v[21:22]
	s_cbranch_execz .LBB57_87
; %bb.76:
	v_mov_b32_e32 v15, 1.0
	s_mov_b32 s14, exec_lo
	v_cmpx_lt_i64_e32 0, v[21:22]
	s_cbranch_execz .LBB57_86
; %bb.77:
	s_mov_b32 s10, exec_lo
	v_cmpx_ne_u64_e32 1, v[21:22]
	s_xor_b32 s16, exec_lo, s10
	s_cbranch_execz .LBB57_83
; %bb.78:
	v_mov_b32_e32 v15, 0x7fc00000
	s_mov_b32 s17, exec_lo
	v_cmpx_gt_u64_e32 0x81, v[21:22]
	s_cbranch_execz .LBB57_82
; %bb.79:
	v_dual_add_f32 v49, v23, v23 :: v_dual_mov_b32 v50, 1.0
	v_lshlrev_b64 v[21:22], 1, v[21:22]
	s_mov_b64 s[10:11], 2
	s_mov_b32 s18, 0
	s_delay_alu instid0(VALU_DEP_2)
	v_mov_b32_e32 v15, v49
	.p2align	6
.LBB57_80:                              ; =>This Inner Loop Header: Depth=1
	s_clz_i32_u32 s19, s11
	s_delay_alu instid0(SALU_CYCLE_1) | instskip(NEXT) | instid1(SALU_CYCLE_1)
	s_min_u32 s19, s19, 32
	s_lshl_b64 s[20:21], s[10:11], s19
	s_sub_i32 s19, 32, s19
	s_min_u32 s20, s20, 1
	s_delay_alu instid0(SALU_CYCLE_1) | instskip(SKIP_3) | instid1(SALU_CYCLE_1)
	s_or_b32 s20, s21, s20
	s_add_u32 s10, s10, 2
	v_cvt_f32_u32_e32 v51, s20
	s_addc_u32 s11, s11, 0
	v_cmp_ge_u64_e32 vcc_lo, s[10:11], v[21:22]
	s_delay_alu instid0(VALU_DEP_2) | instskip(SKIP_1) | instid1(VALU_DEP_1)
	v_ldexp_f32 v51, v51, s19
	s_or_b32 s18, vcc_lo, s18
	v_dual_mul_f32 v51, v50, v51 :: v_dual_mov_b32 v50, v15
	s_delay_alu instid0(VALU_DEP_1)
	v_fma_f32 v15, v49, v15, -v51
	s_and_not1_b32 exec_lo, exec_lo, s18
	s_cbranch_execnz .LBB57_80
; %bb.81:
	s_or_b32 exec_lo, exec_lo, s18
.LBB57_82:
	s_delay_alu instid0(SALU_CYCLE_1)
	s_or_b32 exec_lo, exec_lo, s17
.LBB57_83:
	s_and_not1_saveexec_b32 s10, s16
; %bb.84:
	v_add_f32_e32 v15, v23, v23
; %bb.85:
	s_or_b32 exec_lo, exec_lo, s10
.LBB57_86:
	s_delay_alu instid0(SALU_CYCLE_1)
	s_or_b32 exec_lo, exec_lo, s14
.LBB57_87:
	s_delay_alu instid0(SALU_CYCLE_1) | instskip(SKIP_2) | instid1(VALU_DEP_1)
	s_or_b32 exec_lo, exec_lo, s13
	v_lshrrev_b32_e32 v16, 16, v16
	s_mov_b32 s13, exec_lo
	v_cvt_f32_f16_e32 v21, v16
	v_cmp_class_f16_e64 vcc_lo, v16, 0x1f8
	v_mov_b32_e32 v16, 0
	s_delay_alu instid0(VALU_DEP_3) | instskip(NEXT) | instid1(VALU_DEP_1)
	v_cvt_i32_f32_e32 v21, v21
	v_ashrrev_i32_e32 v22, 31, v21
	s_delay_alu instid0(VALU_DEP_1) | instskip(NEXT) | instid1(VALU_DEP_1)
	v_dual_cndmask_b32 v21, -1, v21 :: v_dual_cndmask_b32 v22, -1, v22
	v_cmpx_lt_i64_e32 -1, v[21:22]
	s_cbranch_execz .LBB57_99
; %bb.88:
	v_mov_b32_e32 v16, 1.0
	s_mov_b32 s14, exec_lo
	v_cmpx_lt_i64_e32 0, v[21:22]
	s_cbranch_execz .LBB57_98
; %bb.89:
	s_mov_b32 s10, exec_lo
	v_cmpx_ne_u64_e32 1, v[21:22]
	s_xor_b32 s16, exec_lo, s10
	s_cbranch_execz .LBB57_95
; %bb.90:
	v_mov_b32_e32 v16, 0x7fc00000
	s_mov_b32 s17, exec_lo
	v_cmpx_gt_u64_e32 0x81, v[21:22]
	s_cbranch_execz .LBB57_94
; %bb.91:
	v_dual_add_f32 v23, v24, v24 :: v_dual_mov_b32 v24, 1.0
	v_lshlrev_b64 v[21:22], 1, v[21:22]
	s_mov_b64 s[10:11], 2
	s_mov_b32 s18, 0
	s_delay_alu instid0(VALU_DEP_2)
	v_mov_b32_e32 v16, v23
	.p2align	6
.LBB57_92:                              ; =>This Inner Loop Header: Depth=1
	s_clz_i32_u32 s19, s11
	s_delay_alu instid0(SALU_CYCLE_1) | instskip(NEXT) | instid1(SALU_CYCLE_1)
	s_min_u32 s19, s19, 32
	s_lshl_b64 s[20:21], s[10:11], s19
	s_sub_i32 s19, 32, s19
	s_min_u32 s20, s20, 1
	s_delay_alu instid0(SALU_CYCLE_1) | instskip(SKIP_3) | instid1(SALU_CYCLE_1)
	s_or_b32 s20, s21, s20
	s_add_u32 s10, s10, 2
	v_cvt_f32_u32_e32 v49, s20
	s_addc_u32 s11, s11, 0
	v_cmp_ge_u64_e32 vcc_lo, s[10:11], v[21:22]
	s_delay_alu instid0(VALU_DEP_2) | instskip(SKIP_1) | instid1(VALU_DEP_1)
	v_ldexp_f32 v49, v49, s19
	s_or_b32 s18, vcc_lo, s18
	v_mul_f32_e32 v49, v24, v49
	v_mov_b32_e32 v24, v16
	s_delay_alu instid0(VALU_DEP_2)
	v_fma_f32 v16, v23, v16, -v49
	s_and_not1_b32 exec_lo, exec_lo, s18
	s_cbranch_execnz .LBB57_92
; %bb.93:
	s_or_b32 exec_lo, exec_lo, s18
.LBB57_94:
	s_delay_alu instid0(SALU_CYCLE_1)
	s_or_b32 exec_lo, exec_lo, s17
                                        ; implicit-def: $vgpr21_vgpr22_vgpr23_vgpr24
.LBB57_95:
	s_and_not1_saveexec_b32 s10, s16
; %bb.96:
	v_add_f32_e32 v16, v24, v24
; %bb.97:
	s_or_b32 exec_lo, exec_lo, s10
.LBB57_98:
	s_delay_alu instid0(SALU_CYCLE_1)
	s_or_b32 exec_lo, exec_lo, s14
.LBB57_99:
	s_delay_alu instid0(SALU_CYCLE_1) | instskip(SKIP_4) | instid1(VALU_DEP_2)
	s_or_b32 exec_lo, exec_lo, s13
	s_waitcnt vmcnt(2)
	v_cvt_f32_f16_e32 v21, v33
	v_cmp_class_f16_e64 vcc_lo, v33, 0x1f8
	s_mov_b32 s13, exec_lo
	v_cvt_i32_f32_e32 v21, v21
	s_delay_alu instid0(VALU_DEP_1) | instskip(NEXT) | instid1(VALU_DEP_1)
	v_ashrrev_i32_e32 v22, 31, v21
	v_dual_cndmask_b32 v23, -1, v22 :: v_dual_cndmask_b32 v22, -1, v21
	v_mov_b32_e32 v21, 0
	s_delay_alu instid0(VALU_DEP_2)
	v_cmpx_lt_i64_e32 -1, v[22:23]
	s_cbranch_execz .LBB57_111
; %bb.100:
	v_mov_b32_e32 v21, 1.0
	s_mov_b32 s14, exec_lo
	v_cmpx_lt_i64_e32 0, v[22:23]
	s_cbranch_execz .LBB57_110
; %bb.101:
                                        ; implicit-def: $vgpr21
	s_mov_b32 s10, exec_lo
	v_cmpx_ne_u64_e32 1, v[22:23]
	s_xor_b32 s16, exec_lo, s10
	s_cbranch_execz .LBB57_107
; %bb.102:
	v_mov_b32_e32 v21, 0x7fc00000
	s_mov_b32 s17, exec_lo
	v_cmpx_gt_u64_e32 0x81, v[22:23]
	s_cbranch_execz .LBB57_106
; %bb.103:
	v_dual_add_f32 v24, v45, v45 :: v_dual_mov_b32 v49, 1.0
	v_lshlrev_b64 v[22:23], 1, v[22:23]
	s_mov_b64 s[10:11], 2
	s_mov_b32 s18, 0
	s_delay_alu instid0(VALU_DEP_2)
	v_mov_b32_e32 v21, v24
	.p2align	6
.LBB57_104:                             ; =>This Inner Loop Header: Depth=1
	s_clz_i32_u32 s19, s11
	s_delay_alu instid0(SALU_CYCLE_1) | instskip(NEXT) | instid1(SALU_CYCLE_1)
	s_min_u32 s19, s19, 32
	s_lshl_b64 s[20:21], s[10:11], s19
	s_sub_i32 s19, 32, s19
	s_min_u32 s20, s20, 1
	s_delay_alu instid0(SALU_CYCLE_1) | instskip(SKIP_3) | instid1(SALU_CYCLE_1)
	s_or_b32 s20, s21, s20
	s_add_u32 s10, s10, 2
	v_cvt_f32_u32_e32 v50, s20
	s_addc_u32 s11, s11, 0
	v_cmp_ge_u64_e32 vcc_lo, s[10:11], v[22:23]
	s_delay_alu instid0(VALU_DEP_2) | instskip(SKIP_1) | instid1(VALU_DEP_1)
	v_ldexp_f32 v50, v50, s19
	s_or_b32 s18, vcc_lo, s18
	v_mul_f32_e32 v50, v49, v50
	v_mov_b32_e32 v49, v21
	s_delay_alu instid0(VALU_DEP_2)
	v_fma_f32 v21, v24, v21, -v50
	s_and_not1_b32 exec_lo, exec_lo, s18
	s_cbranch_execnz .LBB57_104
; %bb.105:
	s_or_b32 exec_lo, exec_lo, s18
.LBB57_106:
	s_delay_alu instid0(SALU_CYCLE_1)
	s_or_b32 exec_lo, exec_lo, s17
.LBB57_107:
	s_and_not1_saveexec_b32 s10, s16
; %bb.108:
	v_add_f32_e32 v21, v45, v45
; %bb.109:
	s_or_b32 exec_lo, exec_lo, s10
.LBB57_110:
	s_delay_alu instid0(SALU_CYCLE_1)
	s_or_b32 exec_lo, exec_lo, s14
.LBB57_111:
	s_delay_alu instid0(SALU_CYCLE_1) | instskip(SKIP_2) | instid1(VALU_DEP_1)
	s_or_b32 exec_lo, exec_lo, s13
	v_lshrrev_b32_e32 v22, 16, v33
	s_mov_b32 s13, exec_lo
	v_cvt_f32_f16_e32 v23, v22
	v_cmp_class_f16_e64 vcc_lo, v22, 0x1f8
	v_mov_b32_e32 v22, 0
	s_delay_alu instid0(VALU_DEP_3) | instskip(NEXT) | instid1(VALU_DEP_1)
	v_cvt_i32_f32_e32 v23, v23
	v_ashrrev_i32_e32 v24, 31, v23
	s_delay_alu instid0(VALU_DEP_1) | instskip(NEXT) | instid1(VALU_DEP_1)
	v_dual_cndmask_b32 v23, -1, v23 :: v_dual_cndmask_b32 v24, -1, v24
	v_cmpx_lt_i64_e32 -1, v[23:24]
	s_cbranch_execz .LBB57_123
; %bb.112:
	v_mov_b32_e32 v22, 1.0
	s_mov_b32 s14, exec_lo
	v_cmpx_lt_i64_e32 0, v[23:24]
	s_cbranch_execz .LBB57_122
; %bb.113:
	s_mov_b32 s10, exec_lo
	v_cmpx_ne_u64_e32 1, v[23:24]
	s_xor_b32 s16, exec_lo, s10
	s_cbranch_execz .LBB57_119
; %bb.114:
	v_mov_b32_e32 v22, 0x7fc00000
	s_mov_b32 s17, exec_lo
	v_cmpx_gt_u64_e32 0x81, v[23:24]
	s_cbranch_execz .LBB57_118
; %bb.115:
	v_add_f32_e32 v33, v46, v46
	v_lshlrev_b64 v[23:24], 1, v[23:24]
	v_mov_b32_e32 v45, 1.0
	s_mov_b64 s[10:11], 2
	s_mov_b32 s18, 0
	v_mov_b32_e32 v22, v33
	.p2align	6
.LBB57_116:                             ; =>This Inner Loop Header: Depth=1
	s_clz_i32_u32 s19, s11
	s_delay_alu instid0(SALU_CYCLE_1) | instskip(NEXT) | instid1(SALU_CYCLE_1)
	s_min_u32 s19, s19, 32
	s_lshl_b64 s[20:21], s[10:11], s19
	s_sub_i32 s19, 32, s19
	s_min_u32 s20, s20, 1
	s_delay_alu instid0(SALU_CYCLE_1) | instskip(SKIP_3) | instid1(SALU_CYCLE_1)
	s_or_b32 s20, s21, s20
	s_add_u32 s10, s10, 2
	v_cvt_f32_u32_e32 v49, s20
	s_addc_u32 s11, s11, 0
	v_cmp_ge_u64_e32 vcc_lo, s[10:11], v[23:24]
	s_delay_alu instid0(VALU_DEP_2) | instskip(SKIP_1) | instid1(VALU_DEP_1)
	v_ldexp_f32 v49, v49, s19
	s_or_b32 s18, vcc_lo, s18
	v_mul_f32_e32 v49, v45, v49
	v_mov_b32_e32 v45, v22
	s_delay_alu instid0(VALU_DEP_2)
	v_fma_f32 v22, v33, v22, -v49
	s_and_not1_b32 exec_lo, exec_lo, s18
	s_cbranch_execnz .LBB57_116
; %bb.117:
	s_or_b32 exec_lo, exec_lo, s18
.LBB57_118:
	s_delay_alu instid0(SALU_CYCLE_1)
	s_or_b32 exec_lo, exec_lo, s17
.LBB57_119:
	s_and_not1_saveexec_b32 s10, s16
; %bb.120:
	v_add_f32_e32 v22, v46, v46
; %bb.121:
	s_or_b32 exec_lo, exec_lo, s10
.LBB57_122:
	s_delay_alu instid0(SALU_CYCLE_1)
	s_or_b32 exec_lo, exec_lo, s14
.LBB57_123:
	s_delay_alu instid0(SALU_CYCLE_1) | instskip(SKIP_3) | instid1(VALU_DEP_2)
	s_or_b32 exec_lo, exec_lo, s13
	v_cvt_f32_f16_e32 v23, v34
	v_cmp_class_f16_e64 vcc_lo, v34, 0x1f8
	s_mov_b32 s13, exec_lo
	v_cvt_i32_f32_e32 v23, v23
	s_delay_alu instid0(VALU_DEP_1) | instskip(SKIP_1) | instid1(VALU_DEP_2)
	v_ashrrev_i32_e32 v24, 31, v23
	v_cndmask_b32_e32 v45, -1, v23, vcc_lo
	v_dual_mov_b32 v23, 0 :: v_dual_cndmask_b32 v46, -1, v24
	s_delay_alu instid0(VALU_DEP_1)
	v_cmpx_lt_i64_e32 -1, v[45:46]
	s_cbranch_execz .LBB57_135
; %bb.124:
	v_mov_b32_e32 v23, 1.0
	s_mov_b32 s14, exec_lo
	v_cmpx_lt_i64_e32 0, v[45:46]
	s_cbranch_execz .LBB57_134
; %bb.125:
	s_mov_b32 s10, exec_lo
	v_cmpx_ne_u64_e32 1, v[45:46]
	s_xor_b32 s16, exec_lo, s10
	s_cbranch_execz .LBB57_131
; %bb.126:
	v_mov_b32_e32 v23, 0x7fc00000
	s_mov_b32 s17, exec_lo
	v_cmpx_gt_u64_e32 0x81, v[45:46]
	s_cbranch_execz .LBB57_130
; %bb.127:
	v_dual_add_f32 v24, v47, v47 :: v_dual_mov_b32 v33, 1.0
	v_lshlrev_b64 v[45:46], 1, v[45:46]
	s_mov_b64 s[10:11], 2
	s_mov_b32 s18, 0
	s_delay_alu instid0(VALU_DEP_2)
	v_mov_b32_e32 v23, v24
	.p2align	6
.LBB57_128:                             ; =>This Inner Loop Header: Depth=1
	s_clz_i32_u32 s19, s11
	s_delay_alu instid0(SALU_CYCLE_1) | instskip(NEXT) | instid1(SALU_CYCLE_1)
	s_min_u32 s19, s19, 32
	s_lshl_b64 s[20:21], s[10:11], s19
	s_sub_i32 s19, 32, s19
	s_min_u32 s20, s20, 1
	s_delay_alu instid0(SALU_CYCLE_1) | instskip(SKIP_3) | instid1(SALU_CYCLE_1)
	s_or_b32 s20, s21, s20
	s_add_u32 s10, s10, 2
	v_cvt_f32_u32_e32 v49, s20
	s_addc_u32 s11, s11, 0
	v_cmp_ge_u64_e32 vcc_lo, s[10:11], v[45:46]
	s_delay_alu instid0(VALU_DEP_2) | instskip(SKIP_1) | instid1(VALU_DEP_1)
	v_ldexp_f32 v49, v49, s19
	s_or_b32 s18, vcc_lo, s18
	v_mul_f32_e32 v49, v33, v49
	v_mov_b32_e32 v33, v23
	s_delay_alu instid0(VALU_DEP_2)
	v_fma_f32 v23, v24, v23, -v49
	s_and_not1_b32 exec_lo, exec_lo, s18
	s_cbranch_execnz .LBB57_128
; %bb.129:
	s_or_b32 exec_lo, exec_lo, s18
.LBB57_130:
	s_delay_alu instid0(SALU_CYCLE_1)
	s_or_b32 exec_lo, exec_lo, s17
.LBB57_131:
	s_and_not1_saveexec_b32 s10, s16
; %bb.132:
	v_add_f32_e32 v23, v47, v47
; %bb.133:
	s_or_b32 exec_lo, exec_lo, s10
.LBB57_134:
	s_delay_alu instid0(SALU_CYCLE_1)
	s_or_b32 exec_lo, exec_lo, s14
.LBB57_135:
	s_delay_alu instid0(SALU_CYCLE_1) | instskip(SKIP_2) | instid1(VALU_DEP_1)
	s_or_b32 exec_lo, exec_lo, s13
	v_lshrrev_b32_e32 v24, 16, v34
	s_mov_b32 s13, exec_lo
	v_cvt_f32_f16_e32 v33, v24
	v_cmp_class_f16_e64 vcc_lo, v24, 0x1f8
	v_mov_b32_e32 v24, 0
	s_delay_alu instid0(VALU_DEP_3) | instskip(NEXT) | instid1(VALU_DEP_1)
	v_cvt_i32_f32_e32 v33, v33
	v_ashrrev_i32_e32 v34, 31, v33
	s_delay_alu instid0(VALU_DEP_1) | instskip(NEXT) | instid1(VALU_DEP_1)
	v_dual_cndmask_b32 v33, -1, v33 :: v_dual_cndmask_b32 v34, -1, v34
	v_cmpx_lt_i64_e32 -1, v[33:34]
	s_cbranch_execz .LBB57_147
; %bb.136:
	v_mov_b32_e32 v24, 1.0
	s_mov_b32 s14, exec_lo
	v_cmpx_lt_i64_e32 0, v[33:34]
	s_cbranch_execz .LBB57_146
; %bb.137:
	s_mov_b32 s10, exec_lo
	v_cmpx_ne_u64_e32 1, v[33:34]
	s_xor_b32 s16, exec_lo, s10
	s_cbranch_execz .LBB57_143
; %bb.138:
	v_mov_b32_e32 v24, 0x7fc00000
	s_mov_b32 s17, exec_lo
	v_cmpx_gt_u64_e32 0x81, v[33:34]
	s_cbranch_execz .LBB57_142
; %bb.139:
	v_dual_add_f32 v45, v48, v48 :: v_dual_mov_b32 v46, 1.0
	v_lshlrev_b64 v[33:34], 1, v[33:34]
	s_mov_b64 s[10:11], 2
	s_mov_b32 s18, 0
	s_delay_alu instid0(VALU_DEP_2)
	v_mov_b32_e32 v24, v45
	.p2align	6
.LBB57_140:                             ; =>This Inner Loop Header: Depth=1
	s_clz_i32_u32 s19, s11
	s_delay_alu instid0(SALU_CYCLE_1) | instskip(NEXT) | instid1(SALU_CYCLE_1)
	s_min_u32 s19, s19, 32
	s_lshl_b64 s[20:21], s[10:11], s19
	s_sub_i32 s19, 32, s19
	s_min_u32 s20, s20, 1
	s_delay_alu instid0(SALU_CYCLE_1) | instskip(SKIP_3) | instid1(SALU_CYCLE_1)
	s_or_b32 s20, s21, s20
	s_add_u32 s10, s10, 2
	v_cvt_f32_u32_e32 v47, s20
	s_addc_u32 s11, s11, 0
	v_cmp_ge_u64_e32 vcc_lo, s[10:11], v[33:34]
	s_delay_alu instid0(VALU_DEP_2) | instskip(SKIP_1) | instid1(VALU_DEP_1)
	v_ldexp_f32 v47, v47, s19
	s_or_b32 s18, vcc_lo, s18
	v_dual_mul_f32 v47, v46, v47 :: v_dual_mov_b32 v46, v24
	s_delay_alu instid0(VALU_DEP_1)
	v_fma_f32 v24, v45, v24, -v47
	s_and_not1_b32 exec_lo, exec_lo, s18
	s_cbranch_execnz .LBB57_140
; %bb.141:
	s_or_b32 exec_lo, exec_lo, s18
.LBB57_142:
	s_delay_alu instid0(SALU_CYCLE_1)
	s_or_b32 exec_lo, exec_lo, s17
                                        ; implicit-def: $vgpr45_vgpr46_vgpr47_vgpr48
.LBB57_143:
	s_and_not1_saveexec_b32 s10, s16
; %bb.144:
	v_add_f32_e32 v24, v48, v48
; %bb.145:
	s_or_b32 exec_lo, exec_lo, s10
.LBB57_146:
	s_delay_alu instid0(SALU_CYCLE_1)
	s_or_b32 exec_lo, exec_lo, s14
.LBB57_147:
	s_delay_alu instid0(SALU_CYCLE_1) | instskip(SKIP_3) | instid1(VALU_DEP_2)
	s_or_b32 exec_lo, exec_lo, s13
	v_cvt_f32_f16_e32 v33, v35
	v_cmp_class_f16_e64 vcc_lo, v35, 0x1f8
	s_mov_b32 s13, exec_lo
	v_cvt_i32_f32_e32 v33, v33
	s_delay_alu instid0(VALU_DEP_1) | instskip(SKIP_1) | instid1(VALU_DEP_2)
	v_ashrrev_i32_e32 v34, 31, v33
	v_cndmask_b32_e32 v45, -1, v33, vcc_lo
	v_dual_mov_b32 v33, 0 :: v_dual_cndmask_b32 v46, -1, v34
	s_delay_alu instid0(VALU_DEP_1)
	v_cmpx_lt_i64_e32 -1, v[45:46]
	s_cbranch_execz .LBB57_159
; %bb.148:
	v_mov_b32_e32 v33, 1.0
	s_mov_b32 s14, exec_lo
	v_cmpx_lt_i64_e32 0, v[45:46]
	s_cbranch_execz .LBB57_158
; %bb.149:
                                        ; implicit-def: $vgpr33
	s_mov_b32 s10, exec_lo
	v_cmpx_ne_u64_e32 1, v[45:46]
	s_xor_b32 s16, exec_lo, s10
	s_cbranch_execz .LBB57_155
; %bb.150:
	v_mov_b32_e32 v33, 0x7fc00000
	s_mov_b32 s17, exec_lo
	v_cmpx_gt_u64_e32 0x81, v[45:46]
	s_cbranch_execz .LBB57_154
; %bb.151:
	v_dual_add_f32 v34, v41, v41 :: v_dual_mov_b32 v47, 1.0
	v_lshlrev_b64 v[45:46], 1, v[45:46]
	s_mov_b64 s[10:11], 2
	s_mov_b32 s18, 0
	s_delay_alu instid0(VALU_DEP_2)
	v_mov_b32_e32 v33, v34
	.p2align	6
.LBB57_152:                             ; =>This Inner Loop Header: Depth=1
	s_clz_i32_u32 s19, s11
	s_delay_alu instid0(SALU_CYCLE_1) | instskip(NEXT) | instid1(SALU_CYCLE_1)
	s_min_u32 s19, s19, 32
	s_lshl_b64 s[20:21], s[10:11], s19
	s_sub_i32 s19, 32, s19
	s_min_u32 s20, s20, 1
	s_delay_alu instid0(SALU_CYCLE_1) | instskip(SKIP_3) | instid1(SALU_CYCLE_1)
	s_or_b32 s20, s21, s20
	s_add_u32 s10, s10, 2
	v_cvt_f32_u32_e32 v48, s20
	s_addc_u32 s11, s11, 0
	v_cmp_ge_u64_e32 vcc_lo, s[10:11], v[45:46]
	s_delay_alu instid0(VALU_DEP_2) | instskip(SKIP_1) | instid1(VALU_DEP_1)
	v_ldexp_f32 v48, v48, s19
	s_or_b32 s18, vcc_lo, s18
	v_dual_mul_f32 v48, v47, v48 :: v_dual_mov_b32 v47, v33
	s_delay_alu instid0(VALU_DEP_1)
	v_fma_f32 v33, v34, v33, -v48
	s_and_not1_b32 exec_lo, exec_lo, s18
	s_cbranch_execnz .LBB57_152
; %bb.153:
	s_or_b32 exec_lo, exec_lo, s18
.LBB57_154:
	s_delay_alu instid0(SALU_CYCLE_1)
	s_or_b32 exec_lo, exec_lo, s17
.LBB57_155:
	s_and_not1_saveexec_b32 s10, s16
; %bb.156:
	v_add_f32_e32 v33, v41, v41
; %bb.157:
	s_or_b32 exec_lo, exec_lo, s10
.LBB57_158:
	s_delay_alu instid0(SALU_CYCLE_1)
	s_or_b32 exec_lo, exec_lo, s14
.LBB57_159:
	s_delay_alu instid0(SALU_CYCLE_1) | instskip(SKIP_2) | instid1(VALU_DEP_1)
	s_or_b32 exec_lo, exec_lo, s13
	v_lshrrev_b32_e32 v34, 16, v35
	s_mov_b32 s13, exec_lo
	v_cvt_f32_f16_e32 v35, v34
	v_cmp_class_f16_e64 vcc_lo, v34, 0x1f8
	v_mov_b32_e32 v34, 0
	s_delay_alu instid0(VALU_DEP_3) | instskip(NEXT) | instid1(VALU_DEP_1)
	v_cvt_i32_f32_e32 v35, v35
	v_ashrrev_i32_e32 v41, 31, v35
	s_delay_alu instid0(VALU_DEP_1) | instskip(NEXT) | instid1(VALU_DEP_1)
	v_dual_cndmask_b32 v45, -1, v35 :: v_dual_cndmask_b32 v46, -1, v41
	v_cmpx_lt_i64_e32 -1, v[45:46]
	s_cbranch_execz .LBB57_171
; %bb.160:
	v_mov_b32_e32 v34, 1.0
	s_mov_b32 s14, exec_lo
	v_cmpx_lt_i64_e32 0, v[45:46]
	s_cbranch_execz .LBB57_170
; %bb.161:
	s_mov_b32 s10, exec_lo
	v_cmpx_ne_u64_e32 1, v[45:46]
	s_xor_b32 s16, exec_lo, s10
	s_cbranch_execz .LBB57_167
; %bb.162:
	v_mov_b32_e32 v34, 0x7fc00000
	s_mov_b32 s17, exec_lo
	v_cmpx_gt_u64_e32 0x81, v[45:46]
	s_cbranch_execz .LBB57_166
; %bb.163:
	v_add_f32_e32 v35, v42, v42
	v_lshlrev_b64 v[45:46], 1, v[45:46]
	v_mov_b32_e32 v41, 1.0
	s_mov_b64 s[10:11], 2
	s_mov_b32 s18, 0
	v_mov_b32_e32 v34, v35
	.p2align	6
.LBB57_164:                             ; =>This Inner Loop Header: Depth=1
	s_clz_i32_u32 s19, s11
	s_delay_alu instid0(SALU_CYCLE_1) | instskip(NEXT) | instid1(SALU_CYCLE_1)
	s_min_u32 s19, s19, 32
	s_lshl_b64 s[20:21], s[10:11], s19
	s_sub_i32 s19, 32, s19
	s_min_u32 s20, s20, 1
	s_delay_alu instid0(SALU_CYCLE_1) | instskip(SKIP_3) | instid1(SALU_CYCLE_1)
	s_or_b32 s20, s21, s20
	s_add_u32 s10, s10, 2
	v_cvt_f32_u32_e32 v47, s20
	s_addc_u32 s11, s11, 0
	v_cmp_ge_u64_e32 vcc_lo, s[10:11], v[45:46]
	s_delay_alu instid0(VALU_DEP_2) | instskip(SKIP_1) | instid1(VALU_DEP_1)
	v_ldexp_f32 v47, v47, s19
	s_or_b32 s18, vcc_lo, s18
	v_mul_f32_e32 v47, v41, v47
	v_mov_b32_e32 v41, v34
	s_delay_alu instid0(VALU_DEP_2)
	v_fma_f32 v34, v35, v34, -v47
	s_and_not1_b32 exec_lo, exec_lo, s18
	s_cbranch_execnz .LBB57_164
; %bb.165:
	s_or_b32 exec_lo, exec_lo, s18
.LBB57_166:
	s_delay_alu instid0(SALU_CYCLE_1)
	s_or_b32 exec_lo, exec_lo, s17
.LBB57_167:
	s_and_not1_saveexec_b32 s10, s16
; %bb.168:
	v_add_f32_e32 v34, v42, v42
; %bb.169:
	s_or_b32 exec_lo, exec_lo, s10
.LBB57_170:
	s_delay_alu instid0(SALU_CYCLE_1)
	s_or_b32 exec_lo, exec_lo, s14
.LBB57_171:
	s_delay_alu instid0(SALU_CYCLE_1) | instskip(SKIP_3) | instid1(VALU_DEP_2)
	s_or_b32 exec_lo, exec_lo, s13
	v_cvt_f32_f16_e32 v35, v36
	v_cmp_class_f16_e64 vcc_lo, v36, 0x1f8
	s_mov_b32 s13, exec_lo
	v_cvt_i32_f32_e32 v35, v35
	s_delay_alu instid0(VALU_DEP_1) | instskip(NEXT) | instid1(VALU_DEP_1)
	v_ashrrev_i32_e32 v41, 31, v35
	v_dual_cndmask_b32 v42, -1, v41 :: v_dual_cndmask_b32 v41, -1, v35
	v_mov_b32_e32 v35, 0
	s_delay_alu instid0(VALU_DEP_2)
	v_cmpx_lt_i64_e32 -1, v[41:42]
	s_cbranch_execz .LBB57_183
; %bb.172:
	v_mov_b32_e32 v35, 1.0
	s_mov_b32 s14, exec_lo
	v_cmpx_lt_i64_e32 0, v[41:42]
	s_cbranch_execz .LBB57_182
; %bb.173:
	s_mov_b32 s10, exec_lo
	v_cmpx_ne_u64_e32 1, v[41:42]
	s_xor_b32 s16, exec_lo, s10
	s_cbranch_execz .LBB57_179
; %bb.174:
	v_mov_b32_e32 v35, 0x7fc00000
	s_mov_b32 s17, exec_lo
	v_cmpx_gt_u64_e32 0x81, v[41:42]
	s_cbranch_execz .LBB57_178
; %bb.175:
	v_dual_add_f32 v45, v43, v43 :: v_dual_mov_b32 v46, 1.0
	v_lshlrev_b64 v[41:42], 1, v[41:42]
	s_mov_b64 s[10:11], 2
	s_mov_b32 s18, 0
	s_delay_alu instid0(VALU_DEP_2)
	v_mov_b32_e32 v35, v45
	.p2align	6
.LBB57_176:                             ; =>This Inner Loop Header: Depth=1
	s_clz_i32_u32 s19, s11
	s_delay_alu instid0(SALU_CYCLE_1) | instskip(NEXT) | instid1(SALU_CYCLE_1)
	s_min_u32 s19, s19, 32
	s_lshl_b64 s[20:21], s[10:11], s19
	s_sub_i32 s19, 32, s19
	s_min_u32 s20, s20, 1
	s_delay_alu instid0(SALU_CYCLE_1) | instskip(SKIP_3) | instid1(SALU_CYCLE_1)
	s_or_b32 s20, s21, s20
	s_add_u32 s10, s10, 2
	v_cvt_f32_u32_e32 v47, s20
	s_addc_u32 s11, s11, 0
	v_cmp_ge_u64_e32 vcc_lo, s[10:11], v[41:42]
	s_delay_alu instid0(VALU_DEP_2) | instskip(SKIP_1) | instid1(VALU_DEP_1)
	v_ldexp_f32 v47, v47, s19
	s_or_b32 s18, vcc_lo, s18
	v_dual_mul_f32 v47, v46, v47 :: v_dual_mov_b32 v46, v35
	s_delay_alu instid0(VALU_DEP_1)
	v_fma_f32 v35, v45, v35, -v47
	s_and_not1_b32 exec_lo, exec_lo, s18
	s_cbranch_execnz .LBB57_176
; %bb.177:
	s_or_b32 exec_lo, exec_lo, s18
.LBB57_178:
	s_delay_alu instid0(SALU_CYCLE_1)
	s_or_b32 exec_lo, exec_lo, s17
.LBB57_179:
	s_and_not1_saveexec_b32 s10, s16
; %bb.180:
	v_add_f32_e32 v35, v43, v43
; %bb.181:
	s_or_b32 exec_lo, exec_lo, s10
.LBB57_182:
	s_delay_alu instid0(SALU_CYCLE_1)
	s_or_b32 exec_lo, exec_lo, s14
.LBB57_183:
	s_delay_alu instid0(SALU_CYCLE_1) | instskip(SKIP_2) | instid1(VALU_DEP_1)
	s_or_b32 exec_lo, exec_lo, s13
	v_lshrrev_b32_e32 v36, 16, v36
	s_mov_b32 s13, exec_lo
	v_cvt_f32_f16_e32 v41, v36
	v_cmp_class_f16_e64 vcc_lo, v36, 0x1f8
	v_mov_b32_e32 v36, 0
	s_delay_alu instid0(VALU_DEP_3) | instskip(NEXT) | instid1(VALU_DEP_1)
	v_cvt_i32_f32_e32 v41, v41
	v_ashrrev_i32_e32 v42, 31, v41
	s_delay_alu instid0(VALU_DEP_1) | instskip(NEXT) | instid1(VALU_DEP_1)
	v_dual_cndmask_b32 v41, -1, v41 :: v_dual_cndmask_b32 v42, -1, v42
	v_cmpx_lt_i64_e32 -1, v[41:42]
	s_cbranch_execz .LBB57_195
; %bb.184:
	v_mov_b32_e32 v36, 1.0
	s_mov_b32 s14, exec_lo
	v_cmpx_lt_i64_e32 0, v[41:42]
	s_cbranch_execz .LBB57_194
; %bb.185:
	s_mov_b32 s10, exec_lo
	v_cmpx_ne_u64_e32 1, v[41:42]
	s_xor_b32 s16, exec_lo, s10
	s_cbranch_execz .LBB57_191
; %bb.186:
	v_mov_b32_e32 v36, 0x7fc00000
	s_mov_b32 s17, exec_lo
	v_cmpx_gt_u64_e32 0x81, v[41:42]
	s_cbranch_execz .LBB57_190
; %bb.187:
	v_dual_add_f32 v43, v44, v44 :: v_dual_mov_b32 v44, 1.0
	v_lshlrev_b64 v[41:42], 1, v[41:42]
	s_mov_b64 s[10:11], 2
	s_mov_b32 s18, 0
	s_delay_alu instid0(VALU_DEP_2)
	v_mov_b32_e32 v36, v43
	.p2align	6
.LBB57_188:                             ; =>This Inner Loop Header: Depth=1
	s_clz_i32_u32 s19, s11
	s_delay_alu instid0(SALU_CYCLE_1) | instskip(NEXT) | instid1(SALU_CYCLE_1)
	s_min_u32 s19, s19, 32
	s_lshl_b64 s[20:21], s[10:11], s19
	s_sub_i32 s19, 32, s19
	s_min_u32 s20, s20, 1
	s_delay_alu instid0(SALU_CYCLE_1) | instskip(SKIP_3) | instid1(SALU_CYCLE_1)
	s_or_b32 s20, s21, s20
	s_add_u32 s10, s10, 2
	v_cvt_f32_u32_e32 v45, s20
	s_addc_u32 s11, s11, 0
	v_cmp_ge_u64_e32 vcc_lo, s[10:11], v[41:42]
	s_delay_alu instid0(VALU_DEP_2) | instskip(SKIP_1) | instid1(VALU_DEP_1)
	v_ldexp_f32 v45, v45, s19
	s_or_b32 s18, vcc_lo, s18
	v_mul_f32_e32 v45, v44, v45
	v_mov_b32_e32 v44, v36
	s_delay_alu instid0(VALU_DEP_2)
	v_fma_f32 v36, v43, v36, -v45
	s_and_not1_b32 exec_lo, exec_lo, s18
	s_cbranch_execnz .LBB57_188
; %bb.189:
	s_or_b32 exec_lo, exec_lo, s18
.LBB57_190:
	s_delay_alu instid0(SALU_CYCLE_1)
	s_or_b32 exec_lo, exec_lo, s17
                                        ; implicit-def: $vgpr41_vgpr42_vgpr43_vgpr44
.LBB57_191:
	s_and_not1_saveexec_b32 s10, s16
; %bb.192:
	v_add_f32_e32 v36, v44, v44
; %bb.193:
	s_or_b32 exec_lo, exec_lo, s10
.LBB57_194:
	s_delay_alu instid0(SALU_CYCLE_1)
	s_or_b32 exec_lo, exec_lo, s14
.LBB57_195:
	s_delay_alu instid0(SALU_CYCLE_1) | instskip(SKIP_4) | instid1(VALU_DEP_2)
	s_or_b32 exec_lo, exec_lo, s13
	s_waitcnt vmcnt(1)
	v_cvt_f32_f16_e32 v41, v29
	v_cmp_class_f16_e64 vcc_lo, v29, 0x1f8
	s_mov_b32 s13, exec_lo
	v_cvt_i32_f32_e32 v41, v41
	s_delay_alu instid0(VALU_DEP_1) | instskip(NEXT) | instid1(VALU_DEP_1)
	v_ashrrev_i32_e32 v42, 31, v41
	v_dual_cndmask_b32 v43, -1, v42 :: v_dual_cndmask_b32 v42, -1, v41
	v_mov_b32_e32 v41, 0
	s_delay_alu instid0(VALU_DEP_2)
	v_cmpx_lt_i64_e32 -1, v[42:43]
	s_cbranch_execz .LBB57_207
; %bb.196:
	v_mov_b32_e32 v41, 1.0
	s_mov_b32 s14, exec_lo
	v_cmpx_lt_i64_e32 0, v[42:43]
	s_cbranch_execz .LBB57_206
; %bb.197:
                                        ; implicit-def: $vgpr41
	s_mov_b32 s10, exec_lo
	v_cmpx_ne_u64_e32 1, v[42:43]
	s_xor_b32 s16, exec_lo, s10
	s_cbranch_execz .LBB57_203
; %bb.198:
	v_mov_b32_e32 v41, 0x7fc00000
	s_mov_b32 s17, exec_lo
	v_cmpx_gt_u64_e32 0x81, v[42:43]
	s_cbranch_execz .LBB57_202
; %bb.199:
	v_dual_add_f32 v44, v37, v37 :: v_dual_mov_b32 v45, 1.0
	v_lshlrev_b64 v[42:43], 1, v[42:43]
	s_mov_b64 s[10:11], 2
	s_mov_b32 s18, 0
	s_delay_alu instid0(VALU_DEP_2)
	v_mov_b32_e32 v41, v44
	.p2align	6
.LBB57_200:                             ; =>This Inner Loop Header: Depth=1
	s_clz_i32_u32 s19, s11
	s_delay_alu instid0(SALU_CYCLE_1) | instskip(NEXT) | instid1(SALU_CYCLE_1)
	s_min_u32 s19, s19, 32
	s_lshl_b64 s[20:21], s[10:11], s19
	s_sub_i32 s19, 32, s19
	s_min_u32 s20, s20, 1
	s_delay_alu instid0(SALU_CYCLE_1) | instskip(SKIP_3) | instid1(SALU_CYCLE_1)
	s_or_b32 s20, s21, s20
	s_add_u32 s10, s10, 2
	v_cvt_f32_u32_e32 v46, s20
	s_addc_u32 s11, s11, 0
	v_cmp_ge_u64_e32 vcc_lo, s[10:11], v[42:43]
	s_delay_alu instid0(VALU_DEP_2) | instskip(SKIP_1) | instid1(VALU_DEP_1)
	v_ldexp_f32 v46, v46, s19
	s_or_b32 s18, vcc_lo, s18
	v_mul_f32_e32 v46, v45, v46
	v_mov_b32_e32 v45, v41
	s_delay_alu instid0(VALU_DEP_2)
	v_fma_f32 v41, v44, v41, -v46
	s_and_not1_b32 exec_lo, exec_lo, s18
	s_cbranch_execnz .LBB57_200
; %bb.201:
	s_or_b32 exec_lo, exec_lo, s18
.LBB57_202:
	s_delay_alu instid0(SALU_CYCLE_1)
	s_or_b32 exec_lo, exec_lo, s17
.LBB57_203:
	s_and_not1_saveexec_b32 s10, s16
; %bb.204:
	v_add_f32_e32 v41, v37, v37
; %bb.205:
	s_or_b32 exec_lo, exec_lo, s10
.LBB57_206:
	s_delay_alu instid0(SALU_CYCLE_1)
	s_or_b32 exec_lo, exec_lo, s14
.LBB57_207:
	s_delay_alu instid0(SALU_CYCLE_1) | instskip(SKIP_2) | instid1(VALU_DEP_1)
	s_or_b32 exec_lo, exec_lo, s13
	v_lshrrev_b32_e32 v29, 16, v29
	s_mov_b32 s13, exec_lo
	v_cvt_f32_f16_e32 v37, v29
	v_cmp_class_f16_e64 vcc_lo, v29, 0x1f8
	s_delay_alu instid0(VALU_DEP_2) | instskip(NEXT) | instid1(VALU_DEP_1)
	v_cvt_i32_f32_e32 v37, v37
	v_ashrrev_i32_e32 v42, 31, v37
	s_delay_alu instid0(VALU_DEP_1) | instskip(SKIP_1) | instid1(VALU_DEP_2)
	v_dual_cndmask_b32 v43, -1, v37 :: v_dual_cndmask_b32 v44, -1, v42
	v_mov_b32_e32 v42, 0
	v_cmpx_lt_i64_e32 -1, v[43:44]
	s_cbranch_execz .LBB57_219
; %bb.208:
	v_mov_b32_e32 v42, 1.0
	s_mov_b32 s14, exec_lo
	v_cmpx_lt_i64_e32 0, v[43:44]
	s_cbranch_execz .LBB57_218
; %bb.209:
	s_mov_b32 s10, exec_lo
	v_cmpx_ne_u64_e32 1, v[43:44]
	s_xor_b32 s16, exec_lo, s10
	s_cbranch_execz .LBB57_215
; %bb.210:
	v_mov_b32_e32 v42, 0x7fc00000
	s_mov_b32 s17, exec_lo
	v_cmpx_gt_u64_e32 0x81, v[43:44]
	s_cbranch_execz .LBB57_214
; %bb.211:
	v_add_f32_e32 v29, v38, v38
	v_lshlrev_b64 v[43:44], 1, v[43:44]
	v_mov_b32_e32 v37, 1.0
	s_mov_b64 s[10:11], 2
	s_mov_b32 s18, 0
	v_mov_b32_e32 v42, v29
	.p2align	6
.LBB57_212:                             ; =>This Inner Loop Header: Depth=1
	s_clz_i32_u32 s19, s11
	s_delay_alu instid0(SALU_CYCLE_1) | instskip(NEXT) | instid1(SALU_CYCLE_1)
	s_min_u32 s19, s19, 32
	s_lshl_b64 s[20:21], s[10:11], s19
	s_sub_i32 s19, 32, s19
	s_min_u32 s20, s20, 1
	s_delay_alu instid0(SALU_CYCLE_1) | instskip(SKIP_3) | instid1(SALU_CYCLE_1)
	s_or_b32 s20, s21, s20
	s_add_u32 s10, s10, 2
	v_cvt_f32_u32_e32 v45, s20
	s_addc_u32 s11, s11, 0
	v_cmp_ge_u64_e32 vcc_lo, s[10:11], v[43:44]
	s_delay_alu instid0(VALU_DEP_2) | instskip(SKIP_1) | instid1(VALU_DEP_1)
	v_ldexp_f32 v45, v45, s19
	s_or_b32 s18, vcc_lo, s18
	v_mul_f32_e32 v45, v37, v45
	v_mov_b32_e32 v37, v42
	s_delay_alu instid0(VALU_DEP_2)
	v_fma_f32 v42, v29, v42, -v45
	s_and_not1_b32 exec_lo, exec_lo, s18
	s_cbranch_execnz .LBB57_212
; %bb.213:
	s_or_b32 exec_lo, exec_lo, s18
.LBB57_214:
	s_delay_alu instid0(SALU_CYCLE_1)
	s_or_b32 exec_lo, exec_lo, s17
.LBB57_215:
	s_and_not1_saveexec_b32 s10, s16
; %bb.216:
	v_add_f32_e32 v42, v38, v38
; %bb.217:
	s_or_b32 exec_lo, exec_lo, s10
.LBB57_218:
	s_delay_alu instid0(SALU_CYCLE_1)
	s_or_b32 exec_lo, exec_lo, s14
.LBB57_219:
	s_delay_alu instid0(SALU_CYCLE_1) | instskip(SKIP_4) | instid1(VALU_DEP_3)
	s_or_b32 exec_lo, exec_lo, s13
	v_cvt_f32_f16_e32 v29, v30
	v_cmp_class_f16_e64 vcc_lo, v30, 0x1f8
	s_mov_b32 s13, exec_lo
	v_mov_b32_e32 v43, 0
	v_cvt_i32_f32_e32 v29, v29
	s_delay_alu instid0(VALU_DEP_1) | instskip(NEXT) | instid1(VALU_DEP_1)
	v_ashrrev_i32_e32 v37, 31, v29
	v_cndmask_b32_e32 v38, -1, v37, vcc_lo
	v_cndmask_b32_e32 v37, -1, v29, vcc_lo
	s_delay_alu instid0(VALU_DEP_1)
	v_cmpx_lt_i64_e32 -1, v[37:38]
	s_cbranch_execz .LBB57_231
; %bb.220:
	v_mov_b32_e32 v43, 1.0
	s_mov_b32 s14, exec_lo
	v_cmpx_lt_i64_e32 0, v[37:38]
	s_cbranch_execz .LBB57_230
; %bb.221:
	s_mov_b32 s10, exec_lo
	v_cmpx_ne_u64_e32 1, v[37:38]
	s_xor_b32 s16, exec_lo, s10
	s_cbranch_execz .LBB57_227
; %bb.222:
	v_mov_b32_e32 v43, 0x7fc00000
	s_mov_b32 s17, exec_lo
	v_cmpx_gt_u64_e32 0x81, v[37:38]
	s_cbranch_execz .LBB57_226
; %bb.223:
	v_dual_add_f32 v29, v39, v39 :: v_dual_mov_b32 v44, 1.0
	v_lshlrev_b64 v[37:38], 1, v[37:38]
	s_mov_b64 s[10:11], 2
	s_mov_b32 s18, 0
	s_delay_alu instid0(VALU_DEP_2)
	v_mov_b32_e32 v43, v29
	.p2align	6
.LBB57_224:                             ; =>This Inner Loop Header: Depth=1
	s_clz_i32_u32 s19, s11
	s_delay_alu instid0(SALU_CYCLE_1) | instskip(NEXT) | instid1(SALU_CYCLE_1)
	s_min_u32 s19, s19, 32
	s_lshl_b64 s[20:21], s[10:11], s19
	s_sub_i32 s19, 32, s19
	s_min_u32 s20, s20, 1
	s_delay_alu instid0(SALU_CYCLE_1) | instskip(SKIP_3) | instid1(SALU_CYCLE_1)
	s_or_b32 s20, s21, s20
	s_add_u32 s10, s10, 2
	v_cvt_f32_u32_e32 v45, s20
	s_addc_u32 s11, s11, 0
	v_cmp_ge_u64_e32 vcc_lo, s[10:11], v[37:38]
	s_delay_alu instid0(VALU_DEP_2) | instskip(SKIP_1) | instid1(VALU_DEP_1)
	v_ldexp_f32 v45, v45, s19
	s_or_b32 s18, vcc_lo, s18
	v_dual_mul_f32 v45, v44, v45 :: v_dual_mov_b32 v44, v43
	s_delay_alu instid0(VALU_DEP_1)
	v_fma_f32 v43, v29, v43, -v45
	s_and_not1_b32 exec_lo, exec_lo, s18
	s_cbranch_execnz .LBB57_224
; %bb.225:
	s_or_b32 exec_lo, exec_lo, s18
.LBB57_226:
	s_delay_alu instid0(SALU_CYCLE_1)
	s_or_b32 exec_lo, exec_lo, s17
.LBB57_227:
	s_and_not1_saveexec_b32 s10, s16
; %bb.228:
	v_add_f32_e32 v43, v39, v39
; %bb.229:
	s_or_b32 exec_lo, exec_lo, s10
.LBB57_230:
	s_delay_alu instid0(SALU_CYCLE_1)
	s_or_b32 exec_lo, exec_lo, s14
.LBB57_231:
	s_delay_alu instid0(SALU_CYCLE_1) | instskip(SKIP_3) | instid1(VALU_DEP_2)
	s_or_b32 exec_lo, exec_lo, s13
	v_lshrrev_b32_e32 v29, 16, v30
	v_mov_b32_e32 v44, 0
	s_mov_b32 s13, exec_lo
	v_cvt_f32_f16_e32 v30, v29
	v_cmp_class_f16_e64 vcc_lo, v29, 0x1f8
	s_delay_alu instid0(VALU_DEP_2) | instskip(NEXT) | instid1(VALU_DEP_1)
	v_cvt_i32_f32_e32 v37, v30
	v_ashrrev_i32_e32 v30, 31, v37
	s_delay_alu instid0(VALU_DEP_1) | instskip(NEXT) | instid1(VALU_DEP_1)
	v_dual_cndmask_b32 v29, -1, v37 :: v_dual_cndmask_b32 v30, -1, v30
	v_cmpx_lt_i64_e32 -1, v[29:30]
	s_cbranch_execz .LBB57_243
; %bb.232:
	v_mov_b32_e32 v44, 1.0
	s_mov_b32 s14, exec_lo
	v_cmpx_lt_i64_e32 0, v[29:30]
	s_cbranch_execz .LBB57_242
; %bb.233:
	s_mov_b32 s10, exec_lo
	v_cmpx_ne_u64_e32 1, v[29:30]
	s_xor_b32 s16, exec_lo, s10
	s_cbranch_execz .LBB57_239
; %bb.234:
	v_mov_b32_e32 v44, 0x7fc00000
	s_mov_b32 s17, exec_lo
	v_cmpx_gt_u64_e32 0x81, v[29:30]
	s_cbranch_execz .LBB57_238
; %bb.235:
	v_dual_add_f32 v37, v40, v40 :: v_dual_mov_b32 v38, 1.0
	v_lshlrev_b64 v[29:30], 1, v[29:30]
	s_mov_b64 s[10:11], 2
	s_mov_b32 s18, 0
	s_delay_alu instid0(VALU_DEP_2)
	v_mov_b32_e32 v44, v37
	.p2align	6
.LBB57_236:                             ; =>This Inner Loop Header: Depth=1
	s_clz_i32_u32 s19, s11
	s_delay_alu instid0(SALU_CYCLE_1) | instskip(NEXT) | instid1(SALU_CYCLE_1)
	s_min_u32 s19, s19, 32
	s_lshl_b64 s[20:21], s[10:11], s19
	s_sub_i32 s19, 32, s19
	s_min_u32 s20, s20, 1
	s_delay_alu instid0(SALU_CYCLE_1) | instskip(SKIP_3) | instid1(SALU_CYCLE_1)
	s_or_b32 s20, s21, s20
	s_add_u32 s10, s10, 2
	v_cvt_f32_u32_e32 v39, s20
	s_addc_u32 s11, s11, 0
	v_cmp_ge_u64_e32 vcc_lo, s[10:11], v[29:30]
	s_delay_alu instid0(VALU_DEP_2) | instskip(SKIP_2) | instid1(VALU_DEP_2)
	v_ldexp_f32 v39, v39, s19
	v_mov_b32_e32 v40, v44
	s_or_b32 s18, vcc_lo, s18
	v_dual_mul_f32 v39, v38, v39 :: v_dual_mov_b32 v38, v44
	s_delay_alu instid0(VALU_DEP_1)
	v_fma_f32 v44, v37, v40, -v39
	s_and_not1_b32 exec_lo, exec_lo, s18
	s_cbranch_execnz .LBB57_236
; %bb.237:
	s_or_b32 exec_lo, exec_lo, s18
.LBB57_238:
	s_delay_alu instid0(SALU_CYCLE_1)
	s_or_b32 exec_lo, exec_lo, s17
                                        ; implicit-def: $vgpr37_vgpr38_vgpr39_vgpr40
.LBB57_239:
	s_and_not1_saveexec_b32 s10, s16
; %bb.240:
	v_add_f32_e32 v44, v40, v40
; %bb.241:
	s_or_b32 exec_lo, exec_lo, s10
.LBB57_242:
	s_delay_alu instid0(SALU_CYCLE_1)
	s_or_b32 exec_lo, exec_lo, s14
.LBB57_243:
	s_delay_alu instid0(SALU_CYCLE_1) | instskip(SKIP_3) | instid1(VALU_DEP_2)
	s_or_b32 exec_lo, exec_lo, s13
	v_cvt_f32_f16_e32 v29, v31
	v_cmp_class_f16_e64 vcc_lo, v31, 0x1f8
	s_mov_b32 s13, exec_lo
	v_cvt_i32_f32_e32 v29, v29
	s_delay_alu instid0(VALU_DEP_1) | instskip(SKIP_1) | instid1(VALU_DEP_2)
	v_ashrrev_i32_e32 v30, 31, v29
	v_cndmask_b32_e32 v37, -1, v29, vcc_lo
	v_dual_mov_b32 v29, 0 :: v_dual_cndmask_b32 v38, -1, v30
	s_delay_alu instid0(VALU_DEP_1)
	v_cmpx_lt_i64_e32 -1, v[37:38]
	s_cbranch_execz .LBB57_255
; %bb.244:
	v_mov_b32_e32 v29, 1.0
	s_mov_b32 s14, exec_lo
	v_cmpx_lt_i64_e32 0, v[37:38]
	s_cbranch_execz .LBB57_254
; %bb.245:
                                        ; implicit-def: $vgpr29
	s_mov_b32 s10, exec_lo
	v_cmpx_ne_u64_e32 1, v[37:38]
	s_xor_b32 s16, exec_lo, s10
	s_cbranch_execz .LBB57_251
; %bb.246:
	v_mov_b32_e32 v29, 0x7fc00000
	s_mov_b32 s17, exec_lo
	v_cmpx_gt_u64_e32 0x81, v[37:38]
	s_cbranch_execz .LBB57_250
; %bb.247:
	v_dual_add_f32 v30, v25, v25 :: v_dual_mov_b32 v39, 1.0
	v_lshlrev_b64 v[37:38], 1, v[37:38]
	s_mov_b64 s[10:11], 2
	s_mov_b32 s18, 0
	s_delay_alu instid0(VALU_DEP_2)
	v_mov_b32_e32 v29, v30
	.p2align	6
.LBB57_248:                             ; =>This Inner Loop Header: Depth=1
	s_clz_i32_u32 s19, s11
	s_delay_alu instid0(SALU_CYCLE_1) | instskip(NEXT) | instid1(SALU_CYCLE_1)
	s_min_u32 s19, s19, 32
	s_lshl_b64 s[20:21], s[10:11], s19
	s_sub_i32 s19, 32, s19
	s_min_u32 s20, s20, 1
	s_delay_alu instid0(SALU_CYCLE_1) | instskip(SKIP_3) | instid1(SALU_CYCLE_1)
	s_or_b32 s20, s21, s20
	s_add_u32 s10, s10, 2
	v_cvt_f32_u32_e32 v40, s20
	s_addc_u32 s11, s11, 0
	v_cmp_ge_u64_e32 vcc_lo, s[10:11], v[37:38]
	s_delay_alu instid0(VALU_DEP_2) | instskip(SKIP_1) | instid1(VALU_DEP_1)
	v_ldexp_f32 v40, v40, s19
	s_or_b32 s18, vcc_lo, s18
	v_dual_mul_f32 v40, v39, v40 :: v_dual_mov_b32 v39, v29
	s_delay_alu instid0(VALU_DEP_1)
	v_fma_f32 v29, v30, v29, -v40
	s_and_not1_b32 exec_lo, exec_lo, s18
	s_cbranch_execnz .LBB57_248
; %bb.249:
	s_or_b32 exec_lo, exec_lo, s18
.LBB57_250:
	s_delay_alu instid0(SALU_CYCLE_1)
	s_or_b32 exec_lo, exec_lo, s17
.LBB57_251:
	s_and_not1_saveexec_b32 s10, s16
; %bb.252:
	v_add_f32_e32 v29, v25, v25
; %bb.253:
	s_or_b32 exec_lo, exec_lo, s10
.LBB57_254:
	s_delay_alu instid0(SALU_CYCLE_1)
	s_or_b32 exec_lo, exec_lo, s14
.LBB57_255:
	s_delay_alu instid0(SALU_CYCLE_1) | instskip(SKIP_2) | instid1(VALU_DEP_1)
	s_or_b32 exec_lo, exec_lo, s13
	v_lshrrev_b32_e32 v25, 16, v31
	s_mov_b32 s13, exec_lo
	v_cvt_f32_f16_e32 v30, v25
	v_cmp_class_f16_e64 vcc_lo, v25, 0x1f8
	s_delay_alu instid0(VALU_DEP_2) | instskip(NEXT) | instid1(VALU_DEP_1)
	v_cvt_i32_f32_e32 v30, v30
	v_ashrrev_i32_e32 v31, 31, v30
	v_dual_cndmask_b32 v37, -1, v30 :: v_dual_mov_b32 v30, 0
	s_delay_alu instid0(VALU_DEP_2) | instskip(NEXT) | instid1(VALU_DEP_1)
	v_cndmask_b32_e32 v38, -1, v31, vcc_lo
	v_cmpx_lt_i64_e32 -1, v[37:38]
	s_cbranch_execz .LBB57_267
; %bb.256:
	v_mov_b32_e32 v30, 1.0
	s_mov_b32 s14, exec_lo
	v_cmpx_lt_i64_e32 0, v[37:38]
	s_cbranch_execz .LBB57_266
; %bb.257:
	s_mov_b32 s10, exec_lo
	v_cmpx_ne_u64_e32 1, v[37:38]
	s_xor_b32 s16, exec_lo, s10
	s_cbranch_execz .LBB57_263
; %bb.258:
	v_mov_b32_e32 v30, 0x7fc00000
	s_mov_b32 s17, exec_lo
	v_cmpx_gt_u64_e32 0x81, v[37:38]
	s_cbranch_execz .LBB57_262
; %bb.259:
	v_add_f32_e32 v25, v26, v26
	v_lshlrev_b64 v[37:38], 1, v[37:38]
	v_mov_b32_e32 v31, 1.0
	s_mov_b64 s[10:11], 2
	s_mov_b32 s18, 0
	v_mov_b32_e32 v30, v25
	.p2align	6
.LBB57_260:                             ; =>This Inner Loop Header: Depth=1
	s_clz_i32_u32 s19, s11
	s_delay_alu instid0(SALU_CYCLE_1) | instskip(NEXT) | instid1(SALU_CYCLE_1)
	s_min_u32 s19, s19, 32
	s_lshl_b64 s[20:21], s[10:11], s19
	s_sub_i32 s19, 32, s19
	s_min_u32 s20, s20, 1
	s_delay_alu instid0(SALU_CYCLE_1) | instskip(SKIP_3) | instid1(SALU_CYCLE_1)
	s_or_b32 s20, s21, s20
	s_add_u32 s10, s10, 2
	v_cvt_f32_u32_e32 v39, s20
	s_addc_u32 s11, s11, 0
	v_cmp_ge_u64_e32 vcc_lo, s[10:11], v[37:38]
	s_delay_alu instid0(VALU_DEP_2) | instskip(SKIP_1) | instid1(VALU_DEP_1)
	v_ldexp_f32 v39, v39, s19
	s_or_b32 s18, vcc_lo, s18
	v_mul_f32_e32 v39, v31, v39
	v_mov_b32_e32 v31, v30
	s_delay_alu instid0(VALU_DEP_2)
	v_fma_f32 v30, v25, v30, -v39
	s_and_not1_b32 exec_lo, exec_lo, s18
	s_cbranch_execnz .LBB57_260
; %bb.261:
	s_or_b32 exec_lo, exec_lo, s18
.LBB57_262:
	s_delay_alu instid0(SALU_CYCLE_1)
	s_or_b32 exec_lo, exec_lo, s17
.LBB57_263:
	s_and_not1_saveexec_b32 s10, s16
; %bb.264:
	v_add_f32_e32 v30, v26, v26
; %bb.265:
	s_or_b32 exec_lo, exec_lo, s10
.LBB57_266:
	s_delay_alu instid0(SALU_CYCLE_1)
	s_or_b32 exec_lo, exec_lo, s14
.LBB57_267:
	s_delay_alu instid0(SALU_CYCLE_1) | instskip(SKIP_4) | instid1(VALU_DEP_3)
	s_or_b32 exec_lo, exec_lo, s13
	v_cvt_f32_f16_e32 v25, v32
	v_cmp_class_f16_e64 vcc_lo, v32, 0x1f8
	v_mov_b32_e32 v31, 0
	s_mov_b32 s13, exec_lo
	v_cvt_i32_f32_e32 v25, v25
	s_delay_alu instid0(VALU_DEP_1) | instskip(NEXT) | instid1(VALU_DEP_1)
	v_ashrrev_i32_e32 v26, 31, v25
	v_dual_cndmask_b32 v25, -1, v25 :: v_dual_cndmask_b32 v26, -1, v26
	s_delay_alu instid0(VALU_DEP_1)
	v_cmpx_lt_i64_e32 -1, v[25:26]
	s_cbranch_execz .LBB57_279
; %bb.268:
	v_mov_b32_e32 v31, 1.0
	s_mov_b32 s14, exec_lo
	v_cmpx_lt_i64_e32 0, v[25:26]
	s_cbranch_execz .LBB57_278
; %bb.269:
	s_mov_b32 s10, exec_lo
	v_cmpx_ne_u64_e32 1, v[25:26]
	s_xor_b32 s16, exec_lo, s10
	s_cbranch_execz .LBB57_275
; %bb.270:
	v_mov_b32_e32 v31, 0x7fc00000
	s_mov_b32 s17, exec_lo
	v_cmpx_gt_u64_e32 0x81, v[25:26]
	s_cbranch_execz .LBB57_274
; %bb.271:
	v_dual_add_f32 v37, v27, v27 :: v_dual_mov_b32 v38, 1.0
	v_lshlrev_b64 v[25:26], 1, v[25:26]
	s_mov_b64 s[10:11], 2
	s_mov_b32 s18, 0
	s_delay_alu instid0(VALU_DEP_2)
	v_mov_b32_e32 v31, v37
	.p2align	6
.LBB57_272:                             ; =>This Inner Loop Header: Depth=1
	s_clz_i32_u32 s19, s11
	s_delay_alu instid0(SALU_CYCLE_1) | instskip(NEXT) | instid1(SALU_CYCLE_1)
	s_min_u32 s19, s19, 32
	s_lshl_b64 s[20:21], s[10:11], s19
	s_sub_i32 s19, 32, s19
	s_min_u32 s20, s20, 1
	s_delay_alu instid0(SALU_CYCLE_1) | instskip(SKIP_3) | instid1(SALU_CYCLE_1)
	s_or_b32 s20, s21, s20
	s_add_u32 s10, s10, 2
	v_cvt_f32_u32_e32 v39, s20
	s_addc_u32 s11, s11, 0
	v_cmp_ge_u64_e32 vcc_lo, s[10:11], v[25:26]
	s_delay_alu instid0(VALU_DEP_2) | instskip(SKIP_1) | instid1(VALU_DEP_1)
	v_ldexp_f32 v39, v39, s19
	s_or_b32 s18, vcc_lo, s18
	v_dual_mul_f32 v39, v38, v39 :: v_dual_mov_b32 v38, v31
	s_delay_alu instid0(VALU_DEP_1)
	v_fma_f32 v31, v37, v31, -v39
	s_and_not1_b32 exec_lo, exec_lo, s18
	s_cbranch_execnz .LBB57_272
; %bb.273:
	s_or_b32 exec_lo, exec_lo, s18
.LBB57_274:
	s_delay_alu instid0(SALU_CYCLE_1)
	s_or_b32 exec_lo, exec_lo, s17
.LBB57_275:
	s_and_not1_saveexec_b32 s10, s16
; %bb.276:
	v_add_f32_e32 v31, v27, v27
; %bb.277:
	s_or_b32 exec_lo, exec_lo, s10
.LBB57_278:
	s_delay_alu instid0(SALU_CYCLE_1)
	s_or_b32 exec_lo, exec_lo, s14
.LBB57_279:
	s_delay_alu instid0(SALU_CYCLE_1) | instskip(SKIP_3) | instid1(VALU_DEP_2)
	s_or_b32 exec_lo, exec_lo, s13
	v_lshrrev_b32_e32 v25, 16, v32
	v_mov_b32_e32 v32, 0
	s_mov_b32 s13, exec_lo
	v_cvt_f32_f16_e32 v26, v25
	v_cmp_class_f16_e64 vcc_lo, v25, 0x1f8
	s_delay_alu instid0(VALU_DEP_2) | instskip(NEXT) | instid1(VALU_DEP_1)
	v_cvt_i32_f32_e32 v27, v26
	v_ashrrev_i32_e32 v26, 31, v27
	s_delay_alu instid0(VALU_DEP_1) | instskip(NEXT) | instid1(VALU_DEP_1)
	v_dual_cndmask_b32 v25, -1, v27 :: v_dual_cndmask_b32 v26, -1, v26
	v_cmpx_lt_i64_e32 -1, v[25:26]
	s_cbranch_execz .LBB57_291
; %bb.280:
	v_mov_b32_e32 v32, 1.0
	s_mov_b32 s14, exec_lo
	v_cmpx_lt_i64_e32 0, v[25:26]
	s_cbranch_execz .LBB57_290
; %bb.281:
	s_mov_b32 s10, exec_lo
	v_cmpx_ne_u64_e32 1, v[25:26]
	s_xor_b32 s16, exec_lo, s10
	s_cbranch_execz .LBB57_287
; %bb.282:
	v_mov_b32_e32 v32, 0x7fc00000
	s_mov_b32 s17, exec_lo
	v_cmpx_gt_u64_e32 0x81, v[25:26]
	s_cbranch_execz .LBB57_286
; %bb.283:
	v_dual_add_f32 v27, v28, v28 :: v_dual_mov_b32 v28, 1.0
	v_lshlrev_b64 v[25:26], 1, v[25:26]
	s_mov_b64 s[10:11], 2
	s_mov_b32 s18, 0
	s_delay_alu instid0(VALU_DEP_2)
	v_mov_b32_e32 v32, v27
	.p2align	6
.LBB57_284:                             ; =>This Inner Loop Header: Depth=1
	s_clz_i32_u32 s19, s11
	s_delay_alu instid0(SALU_CYCLE_1) | instskip(NEXT) | instid1(SALU_CYCLE_1)
	s_min_u32 s19, s19, 32
	s_lshl_b64 s[20:21], s[10:11], s19
	s_sub_i32 s19, 32, s19
	s_min_u32 s20, s20, 1
	s_delay_alu instid0(SALU_CYCLE_1) | instskip(SKIP_3) | instid1(SALU_CYCLE_1)
	s_or_b32 s20, s21, s20
	s_add_u32 s10, s10, 2
	v_cvt_f32_u32_e32 v37, s20
	s_addc_u32 s11, s11, 0
	v_cmp_ge_u64_e32 vcc_lo, s[10:11], v[25:26]
	s_delay_alu instid0(VALU_DEP_2) | instskip(SKIP_1) | instid1(VALU_DEP_1)
	v_ldexp_f32 v37, v37, s19
	s_or_b32 s18, vcc_lo, s18
	v_mul_f32_e32 v37, v28, v37
	v_mov_b32_e32 v28, v32
	s_delay_alu instid0(VALU_DEP_2)
	v_fma_f32 v32, v27, v32, -v37
	s_and_not1_b32 exec_lo, exec_lo, s18
	s_cbranch_execnz .LBB57_284
; %bb.285:
	s_or_b32 exec_lo, exec_lo, s18
.LBB57_286:
	s_delay_alu instid0(SALU_CYCLE_1)
	s_or_b32 exec_lo, exec_lo, s17
                                        ; implicit-def: $vgpr25_vgpr26_vgpr27_vgpr28
.LBB57_287:
	s_and_not1_saveexec_b32 s10, s16
; %bb.288:
	v_add_f32_e32 v32, v28, v28
; %bb.289:
	s_or_b32 exec_lo, exec_lo, s10
.LBB57_290:
	s_delay_alu instid0(SALU_CYCLE_1)
	s_or_b32 exec_lo, exec_lo, s14
.LBB57_291:
	s_delay_alu instid0(SALU_CYCLE_1) | instskip(SKIP_4) | instid1(VALU_DEP_2)
	s_or_b32 exec_lo, exec_lo, s13
	s_waitcnt vmcnt(0)
	v_cvt_f32_f16_e32 v25, v9
	v_cmp_class_f16_e64 vcc_lo, v9, 0x1f8
	s_mov_b32 s13, exec_lo
	v_cvt_i32_f32_e32 v25, v25
	s_delay_alu instid0(VALU_DEP_1) | instskip(NEXT) | instid1(VALU_DEP_1)
	v_ashrrev_i32_e32 v26, 31, v25
	v_dual_cndmask_b32 v27, -1, v26 :: v_dual_cndmask_b32 v26, -1, v25
	v_mov_b32_e32 v25, 0
	s_delay_alu instid0(VALU_DEP_2)
	v_cmpx_lt_i64_e32 -1, v[26:27]
	s_cbranch_execz .LBB57_303
; %bb.292:
	v_mov_b32_e32 v25, 1.0
	s_mov_b32 s14, exec_lo
	v_cmpx_lt_i64_e32 0, v[26:27]
	s_cbranch_execz .LBB57_302
; %bb.293:
                                        ; implicit-def: $vgpr25
	s_mov_b32 s10, exec_lo
	v_cmpx_ne_u64_e32 1, v[26:27]
	s_xor_b32 s16, exec_lo, s10
	s_cbranch_execz .LBB57_299
; %bb.294:
	v_mov_b32_e32 v25, 0x7fc00000
	s_mov_b32 s17, exec_lo
	v_cmpx_gt_u64_e32 0x81, v[26:27]
	s_cbranch_execz .LBB57_298
; %bb.295:
	v_dual_add_f32 v28, v17, v17 :: v_dual_mov_b32 v37, 1.0
	v_lshlrev_b64 v[26:27], 1, v[26:27]
	s_mov_b64 s[10:11], 2
	s_mov_b32 s18, 0
	s_delay_alu instid0(VALU_DEP_2)
	v_mov_b32_e32 v25, v28
	.p2align	6
.LBB57_296:                             ; =>This Inner Loop Header: Depth=1
	s_clz_i32_u32 s19, s11
	s_delay_alu instid0(SALU_CYCLE_1) | instskip(NEXT) | instid1(SALU_CYCLE_1)
	s_min_u32 s19, s19, 32
	s_lshl_b64 s[20:21], s[10:11], s19
	s_sub_i32 s19, 32, s19
	s_min_u32 s20, s20, 1
	s_delay_alu instid0(SALU_CYCLE_1) | instskip(SKIP_3) | instid1(SALU_CYCLE_1)
	s_or_b32 s20, s21, s20
	s_add_u32 s10, s10, 2
	v_cvt_f32_u32_e32 v38, s20
	s_addc_u32 s11, s11, 0
	v_cmp_ge_u64_e32 vcc_lo, s[10:11], v[26:27]
	s_delay_alu instid0(VALU_DEP_2) | instskip(SKIP_1) | instid1(VALU_DEP_1)
	v_ldexp_f32 v38, v38, s19
	s_or_b32 s18, vcc_lo, s18
	v_mul_f32_e32 v38, v37, v38
	v_mov_b32_e32 v37, v25
	s_delay_alu instid0(VALU_DEP_2)
	v_fma_f32 v25, v28, v25, -v38
	s_and_not1_b32 exec_lo, exec_lo, s18
	s_cbranch_execnz .LBB57_296
; %bb.297:
	s_or_b32 exec_lo, exec_lo, s18
.LBB57_298:
	s_delay_alu instid0(SALU_CYCLE_1)
	s_or_b32 exec_lo, exec_lo, s17
.LBB57_299:
	s_and_not1_saveexec_b32 s10, s16
; %bb.300:
	v_add_f32_e32 v25, v17, v17
; %bb.301:
	s_or_b32 exec_lo, exec_lo, s10
.LBB57_302:
	s_delay_alu instid0(SALU_CYCLE_1)
	s_or_b32 exec_lo, exec_lo, s14
.LBB57_303:
	s_delay_alu instid0(SALU_CYCLE_1) | instskip(SKIP_2) | instid1(VALU_DEP_1)
	s_or_b32 exec_lo, exec_lo, s13
	v_lshrrev_b32_e32 v9, 16, v9
	s_mov_b32 s13, exec_lo
	v_cvt_f32_f16_e32 v17, v9
	v_cmp_class_f16_e64 vcc_lo, v9, 0x1f8
	s_delay_alu instid0(VALU_DEP_2) | instskip(NEXT) | instid1(VALU_DEP_1)
	v_cvt_i32_f32_e32 v17, v17
	v_ashrrev_i32_e32 v26, 31, v17
	s_delay_alu instid0(VALU_DEP_1) | instskip(SKIP_1) | instid1(VALU_DEP_2)
	v_dual_cndmask_b32 v27, -1, v17 :: v_dual_cndmask_b32 v28, -1, v26
	v_mov_b32_e32 v26, 0
	v_cmpx_lt_i64_e32 -1, v[27:28]
	s_cbranch_execz .LBB57_315
; %bb.304:
	v_mov_b32_e32 v26, 1.0
	s_mov_b32 s14, exec_lo
	v_cmpx_lt_i64_e32 0, v[27:28]
	s_cbranch_execz .LBB57_314
; %bb.305:
	s_mov_b32 s10, exec_lo
	v_cmpx_ne_u64_e32 1, v[27:28]
	s_xor_b32 s16, exec_lo, s10
	s_cbranch_execz .LBB57_311
; %bb.306:
	v_mov_b32_e32 v26, 0x7fc00000
	s_mov_b32 s17, exec_lo
	v_cmpx_gt_u64_e32 0x81, v[27:28]
	s_cbranch_execz .LBB57_310
; %bb.307:
	v_add_f32_e32 v9, v18, v18
	v_lshlrev_b64 v[27:28], 1, v[27:28]
	v_mov_b32_e32 v17, 1.0
	s_mov_b64 s[10:11], 2
	s_mov_b32 s18, 0
	v_mov_b32_e32 v26, v9
	.p2align	6
.LBB57_308:                             ; =>This Inner Loop Header: Depth=1
	s_clz_i32_u32 s19, s11
	s_delay_alu instid0(SALU_CYCLE_1) | instskip(NEXT) | instid1(SALU_CYCLE_1)
	s_min_u32 s19, s19, 32
	s_lshl_b64 s[20:21], s[10:11], s19
	s_sub_i32 s19, 32, s19
	s_min_u32 s20, s20, 1
	s_delay_alu instid0(SALU_CYCLE_1) | instskip(SKIP_3) | instid1(SALU_CYCLE_1)
	s_or_b32 s20, s21, s20
	s_add_u32 s10, s10, 2
	v_cvt_f32_u32_e32 v37, s20
	s_addc_u32 s11, s11, 0
	v_cmp_ge_u64_e32 vcc_lo, s[10:11], v[27:28]
	s_delay_alu instid0(VALU_DEP_2) | instskip(SKIP_1) | instid1(VALU_DEP_1)
	v_ldexp_f32 v37, v37, s19
	s_or_b32 s18, vcc_lo, s18
	v_mul_f32_e32 v37, v17, v37
	v_mov_b32_e32 v17, v26
	s_delay_alu instid0(VALU_DEP_2)
	v_fma_f32 v26, v9, v26, -v37
	s_and_not1_b32 exec_lo, exec_lo, s18
	s_cbranch_execnz .LBB57_308
; %bb.309:
	s_or_b32 exec_lo, exec_lo, s18
.LBB57_310:
	s_delay_alu instid0(SALU_CYCLE_1)
	s_or_b32 exec_lo, exec_lo, s17
.LBB57_311:
	s_and_not1_saveexec_b32 s10, s16
; %bb.312:
	v_add_f32_e32 v26, v18, v18
; %bb.313:
	s_or_b32 exec_lo, exec_lo, s10
.LBB57_314:
	s_delay_alu instid0(SALU_CYCLE_1)
	s_or_b32 exec_lo, exec_lo, s14
.LBB57_315:
	s_delay_alu instid0(SALU_CYCLE_1) | instskip(SKIP_4) | instid1(VALU_DEP_3)
	s_or_b32 exec_lo, exec_lo, s13
	v_cvt_f32_f16_e32 v9, v10
	v_cmp_class_f16_e64 vcc_lo, v10, 0x1f8
	s_mov_b32 s13, exec_lo
	v_mov_b32_e32 v27, 0
	v_cvt_i32_f32_e32 v9, v9
	s_delay_alu instid0(VALU_DEP_1) | instskip(NEXT) | instid1(VALU_DEP_1)
	v_ashrrev_i32_e32 v17, 31, v9
	v_cndmask_b32_e32 v18, -1, v17, vcc_lo
	v_cndmask_b32_e32 v17, -1, v9, vcc_lo
	s_delay_alu instid0(VALU_DEP_1)
	v_cmpx_lt_i64_e32 -1, v[17:18]
	s_cbranch_execz .LBB57_327
; %bb.316:
	v_mov_b32_e32 v27, 1.0
	s_mov_b32 s14, exec_lo
	v_cmpx_lt_i64_e32 0, v[17:18]
	s_cbranch_execz .LBB57_326
; %bb.317:
	s_mov_b32 s10, exec_lo
	v_cmpx_ne_u64_e32 1, v[17:18]
	s_xor_b32 s16, exec_lo, s10
	s_cbranch_execz .LBB57_323
; %bb.318:
	v_mov_b32_e32 v27, 0x7fc00000
	s_mov_b32 s17, exec_lo
	v_cmpx_gt_u64_e32 0x81, v[17:18]
	s_cbranch_execz .LBB57_322
; %bb.319:
	v_dual_add_f32 v9, v19, v19 :: v_dual_mov_b32 v28, 1.0
	v_lshlrev_b64 v[17:18], 1, v[17:18]
	s_mov_b64 s[10:11], 2
	s_mov_b32 s18, 0
	s_delay_alu instid0(VALU_DEP_2)
	v_mov_b32_e32 v27, v9
	.p2align	6
.LBB57_320:                             ; =>This Inner Loop Header: Depth=1
	s_clz_i32_u32 s19, s11
	s_delay_alu instid0(SALU_CYCLE_1) | instskip(NEXT) | instid1(SALU_CYCLE_1)
	s_min_u32 s19, s19, 32
	s_lshl_b64 s[20:21], s[10:11], s19
	s_sub_i32 s19, 32, s19
	s_min_u32 s20, s20, 1
	s_delay_alu instid0(SALU_CYCLE_1) | instskip(SKIP_3) | instid1(SALU_CYCLE_1)
	s_or_b32 s20, s21, s20
	s_add_u32 s10, s10, 2
	v_cvt_f32_u32_e32 v37, s20
	s_addc_u32 s11, s11, 0
	v_cmp_ge_u64_e32 vcc_lo, s[10:11], v[17:18]
	s_delay_alu instid0(VALU_DEP_2) | instskip(SKIP_1) | instid1(VALU_DEP_1)
	v_ldexp_f32 v37, v37, s19
	s_or_b32 s18, vcc_lo, s18
	v_dual_mul_f32 v37, v28, v37 :: v_dual_mov_b32 v28, v27
	s_delay_alu instid0(VALU_DEP_1)
	v_fma_f32 v27, v9, v27, -v37
	s_and_not1_b32 exec_lo, exec_lo, s18
	s_cbranch_execnz .LBB57_320
; %bb.321:
	s_or_b32 exec_lo, exec_lo, s18
.LBB57_322:
	s_delay_alu instid0(SALU_CYCLE_1)
	s_or_b32 exec_lo, exec_lo, s17
.LBB57_323:
	s_and_not1_saveexec_b32 s10, s16
; %bb.324:
	v_add_f32_e32 v27, v19, v19
; %bb.325:
	s_or_b32 exec_lo, exec_lo, s10
.LBB57_326:
	s_delay_alu instid0(SALU_CYCLE_1)
	s_or_b32 exec_lo, exec_lo, s14
.LBB57_327:
	s_delay_alu instid0(SALU_CYCLE_1) | instskip(SKIP_3) | instid1(VALU_DEP_2)
	s_or_b32 exec_lo, exec_lo, s13
	v_lshrrev_b32_e32 v9, 16, v10
	v_mov_b32_e32 v28, 0
	s_mov_b32 s13, exec_lo
	v_cvt_f32_f16_e32 v10, v9
	v_cmp_class_f16_e64 vcc_lo, v9, 0x1f8
	s_delay_alu instid0(VALU_DEP_2) | instskip(NEXT) | instid1(VALU_DEP_1)
	v_cvt_i32_f32_e32 v17, v10
	v_ashrrev_i32_e32 v10, 31, v17
	s_delay_alu instid0(VALU_DEP_1) | instskip(NEXT) | instid1(VALU_DEP_1)
	v_dual_cndmask_b32 v9, -1, v17 :: v_dual_cndmask_b32 v10, -1, v10
	v_cmpx_lt_i64_e32 -1, v[9:10]
	s_cbranch_execz .LBB57_339
; %bb.328:
	v_mov_b32_e32 v28, 1.0
	s_mov_b32 s14, exec_lo
	v_cmpx_lt_i64_e32 0, v[9:10]
	s_cbranch_execz .LBB57_338
; %bb.329:
	s_mov_b32 s10, exec_lo
	v_cmpx_ne_u64_e32 1, v[9:10]
	s_xor_b32 s16, exec_lo, s10
	s_cbranch_execz .LBB57_335
; %bb.330:
	v_mov_b32_e32 v28, 0x7fc00000
	s_mov_b32 s17, exec_lo
	v_cmpx_gt_u64_e32 0x81, v[9:10]
	s_cbranch_execz .LBB57_334
; %bb.331:
	v_dual_add_f32 v17, v20, v20 :: v_dual_mov_b32 v18, 1.0
	v_lshlrev_b64 v[9:10], 1, v[9:10]
	s_mov_b64 s[10:11], 2
	s_mov_b32 s18, 0
	s_delay_alu instid0(VALU_DEP_2)
	v_mov_b32_e32 v28, v17
	.p2align	6
.LBB57_332:                             ; =>This Inner Loop Header: Depth=1
	s_clz_i32_u32 s19, s11
	s_delay_alu instid0(SALU_CYCLE_1) | instskip(NEXT) | instid1(SALU_CYCLE_1)
	s_min_u32 s19, s19, 32
	s_lshl_b64 s[20:21], s[10:11], s19
	s_sub_i32 s19, 32, s19
	s_min_u32 s20, s20, 1
	s_delay_alu instid0(SALU_CYCLE_1) | instskip(SKIP_3) | instid1(SALU_CYCLE_1)
	s_or_b32 s20, s21, s20
	s_add_u32 s10, s10, 2
	v_cvt_f32_u32_e32 v19, s20
	s_addc_u32 s11, s11, 0
	v_cmp_ge_u64_e32 vcc_lo, s[10:11], v[9:10]
	s_delay_alu instid0(VALU_DEP_2) | instskip(SKIP_2) | instid1(VALU_DEP_2)
	v_ldexp_f32 v19, v19, s19
	v_mov_b32_e32 v20, v28
	s_or_b32 s18, vcc_lo, s18
	v_dual_mul_f32 v19, v18, v19 :: v_dual_mov_b32 v18, v28
	s_delay_alu instid0(VALU_DEP_1)
	v_fma_f32 v28, v17, v20, -v19
	s_and_not1_b32 exec_lo, exec_lo, s18
	s_cbranch_execnz .LBB57_332
; %bb.333:
	s_or_b32 exec_lo, exec_lo, s18
.LBB57_334:
	s_delay_alu instid0(SALU_CYCLE_1)
	s_or_b32 exec_lo, exec_lo, s17
                                        ; implicit-def: $vgpr17_vgpr18_vgpr19_vgpr20
.LBB57_335:
	s_and_not1_saveexec_b32 s10, s16
; %bb.336:
	v_add_f32_e32 v28, v20, v20
; %bb.337:
	s_or_b32 exec_lo, exec_lo, s10
.LBB57_338:
	s_delay_alu instid0(SALU_CYCLE_1)
	s_or_b32 exec_lo, exec_lo, s14
.LBB57_339:
	s_delay_alu instid0(SALU_CYCLE_1) | instskip(SKIP_3) | instid1(VALU_DEP_2)
	s_or_b32 exec_lo, exec_lo, s13
	v_cvt_f32_f16_e32 v9, v11
	v_cmp_class_f16_e64 vcc_lo, v11, 0x1f8
	s_mov_b32 s13, exec_lo
	v_cvt_i32_f32_e32 v9, v9
	s_delay_alu instid0(VALU_DEP_1) | instskip(SKIP_1) | instid1(VALU_DEP_2)
	v_ashrrev_i32_e32 v10, 31, v9
	v_cndmask_b32_e32 v17, -1, v9, vcc_lo
	v_dual_mov_b32 v9, 0 :: v_dual_cndmask_b32 v18, -1, v10
	s_delay_alu instid0(VALU_DEP_1)
	v_cmpx_lt_i64_e32 -1, v[17:18]
	s_cbranch_execz .LBB57_351
; %bb.340:
	v_mov_b32_e32 v9, 1.0
	s_mov_b32 s14, exec_lo
	v_cmpx_lt_i64_e32 0, v[17:18]
	s_cbranch_execz .LBB57_350
; %bb.341:
                                        ; implicit-def: $vgpr9
	s_mov_b32 s10, exec_lo
	v_cmpx_ne_u64_e32 1, v[17:18]
	s_xor_b32 s16, exec_lo, s10
	s_cbranch_execz .LBB57_347
; %bb.342:
	v_mov_b32_e32 v9, 0x7fc00000
	s_mov_b32 s17, exec_lo
	v_cmpx_gt_u64_e32 0x81, v[17:18]
	s_cbranch_execz .LBB57_346
; %bb.343:
	v_dual_add_f32 v10, v5, v5 :: v_dual_mov_b32 v19, 1.0
	v_lshlrev_b64 v[17:18], 1, v[17:18]
	s_mov_b64 s[10:11], 2
	s_mov_b32 s18, 0
	s_delay_alu instid0(VALU_DEP_2)
	v_mov_b32_e32 v9, v10
	.p2align	6
.LBB57_344:                             ; =>This Inner Loop Header: Depth=1
	s_clz_i32_u32 s19, s11
	s_delay_alu instid0(SALU_CYCLE_1) | instskip(NEXT) | instid1(SALU_CYCLE_1)
	s_min_u32 s19, s19, 32
	s_lshl_b64 s[20:21], s[10:11], s19
	s_sub_i32 s19, 32, s19
	s_min_u32 s20, s20, 1
	s_delay_alu instid0(SALU_CYCLE_1) | instskip(SKIP_3) | instid1(SALU_CYCLE_1)
	s_or_b32 s20, s21, s20
	s_add_u32 s10, s10, 2
	v_cvt_f32_u32_e32 v20, s20
	s_addc_u32 s11, s11, 0
	v_cmp_ge_u64_e32 vcc_lo, s[10:11], v[17:18]
	s_delay_alu instid0(VALU_DEP_2) | instskip(SKIP_1) | instid1(VALU_DEP_1)
	v_ldexp_f32 v20, v20, s19
	s_or_b32 s18, vcc_lo, s18
	v_dual_mul_f32 v20, v19, v20 :: v_dual_mov_b32 v19, v9
	s_delay_alu instid0(VALU_DEP_1)
	v_fma_f32 v9, v10, v9, -v20
	s_and_not1_b32 exec_lo, exec_lo, s18
	s_cbranch_execnz .LBB57_344
; %bb.345:
	s_or_b32 exec_lo, exec_lo, s18
.LBB57_346:
	s_delay_alu instid0(SALU_CYCLE_1)
	s_or_b32 exec_lo, exec_lo, s17
.LBB57_347:
	s_and_not1_saveexec_b32 s10, s16
; %bb.348:
	v_add_f32_e32 v9, v5, v5
; %bb.349:
	s_or_b32 exec_lo, exec_lo, s10
.LBB57_350:
	s_delay_alu instid0(SALU_CYCLE_1)
	s_or_b32 exec_lo, exec_lo, s14
.LBB57_351:
	s_delay_alu instid0(SALU_CYCLE_1) | instskip(SKIP_2) | instid1(VALU_DEP_1)
	s_or_b32 exec_lo, exec_lo, s13
	v_lshrrev_b32_e32 v5, 16, v11
	s_mov_b32 s13, exec_lo
	v_cvt_f32_f16_e32 v10, v5
	v_cmp_class_f16_e64 vcc_lo, v5, 0x1f8
	s_delay_alu instid0(VALU_DEP_2) | instskip(NEXT) | instid1(VALU_DEP_1)
	v_cvt_i32_f32_e32 v10, v10
	v_ashrrev_i32_e32 v11, 31, v10
	v_dual_cndmask_b32 v17, -1, v10 :: v_dual_mov_b32 v10, 0
	s_delay_alu instid0(VALU_DEP_2) | instskip(NEXT) | instid1(VALU_DEP_1)
	v_cndmask_b32_e32 v18, -1, v11, vcc_lo
	v_cmpx_lt_i64_e32 -1, v[17:18]
	s_cbranch_execz .LBB57_363
; %bb.352:
	v_mov_b32_e32 v10, 1.0
	s_mov_b32 s14, exec_lo
	v_cmpx_lt_i64_e32 0, v[17:18]
	s_cbranch_execz .LBB57_362
; %bb.353:
	s_mov_b32 s10, exec_lo
	v_cmpx_ne_u64_e32 1, v[17:18]
	s_xor_b32 s16, exec_lo, s10
	s_cbranch_execz .LBB57_359
; %bb.354:
	v_mov_b32_e32 v10, 0x7fc00000
	s_mov_b32 s17, exec_lo
	v_cmpx_gt_u64_e32 0x81, v[17:18]
	s_cbranch_execz .LBB57_358
; %bb.355:
	v_add_f32_e32 v5, v6, v6
	v_lshlrev_b64 v[17:18], 1, v[17:18]
	v_mov_b32_e32 v11, 1.0
	s_mov_b64 s[10:11], 2
	s_mov_b32 s18, 0
	v_mov_b32_e32 v10, v5
	.p2align	6
.LBB57_356:                             ; =>This Inner Loop Header: Depth=1
	s_clz_i32_u32 s19, s11
	s_delay_alu instid0(SALU_CYCLE_1) | instskip(NEXT) | instid1(SALU_CYCLE_1)
	s_min_u32 s19, s19, 32
	s_lshl_b64 s[20:21], s[10:11], s19
	s_sub_i32 s19, 32, s19
	s_min_u32 s20, s20, 1
	s_delay_alu instid0(SALU_CYCLE_1) | instskip(SKIP_3) | instid1(SALU_CYCLE_1)
	s_or_b32 s20, s21, s20
	s_add_u32 s10, s10, 2
	v_cvt_f32_u32_e32 v19, s20
	s_addc_u32 s11, s11, 0
	v_cmp_ge_u64_e32 vcc_lo, s[10:11], v[17:18]
	s_delay_alu instid0(VALU_DEP_2) | instskip(SKIP_1) | instid1(VALU_DEP_1)
	v_ldexp_f32 v19, v19, s19
	s_or_b32 s18, vcc_lo, s18
	v_mul_f32_e32 v19, v11, v19
	v_mov_b32_e32 v11, v10
	s_delay_alu instid0(VALU_DEP_2)
	v_fma_f32 v10, v5, v10, -v19
	s_and_not1_b32 exec_lo, exec_lo, s18
	s_cbranch_execnz .LBB57_356
; %bb.357:
	s_or_b32 exec_lo, exec_lo, s18
.LBB57_358:
	s_delay_alu instid0(SALU_CYCLE_1)
	s_or_b32 exec_lo, exec_lo, s17
.LBB57_359:
	s_and_not1_saveexec_b32 s10, s16
; %bb.360:
	v_add_f32_e32 v10, v6, v6
; %bb.361:
	s_or_b32 exec_lo, exec_lo, s10
.LBB57_362:
	s_delay_alu instid0(SALU_CYCLE_1)
	s_or_b32 exec_lo, exec_lo, s14
.LBB57_363:
	s_delay_alu instid0(SALU_CYCLE_1) | instskip(SKIP_4) | instid1(VALU_DEP_3)
	s_or_b32 exec_lo, exec_lo, s13
	v_cvt_f32_f16_e32 v5, v12
	v_cmp_class_f16_e64 vcc_lo, v12, 0x1f8
	v_mov_b32_e32 v11, 0
	s_mov_b32 s13, exec_lo
	v_cvt_i32_f32_e32 v5, v5
	s_delay_alu instid0(VALU_DEP_1) | instskip(NEXT) | instid1(VALU_DEP_1)
	v_ashrrev_i32_e32 v6, 31, v5
	v_dual_cndmask_b32 v5, -1, v5 :: v_dual_cndmask_b32 v6, -1, v6
	s_delay_alu instid0(VALU_DEP_1)
	v_cmpx_lt_i64_e32 -1, v[5:6]
	s_cbranch_execz .LBB57_375
; %bb.364:
	v_mov_b32_e32 v11, 1.0
	s_mov_b32 s14, exec_lo
	v_cmpx_lt_i64_e32 0, v[5:6]
	s_cbranch_execz .LBB57_374
; %bb.365:
	s_mov_b32 s10, exec_lo
	v_cmpx_ne_u64_e32 1, v[5:6]
	s_xor_b32 s16, exec_lo, s10
	s_cbranch_execz .LBB57_371
; %bb.366:
	v_mov_b32_e32 v11, 0x7fc00000
	s_mov_b32 s17, exec_lo
	v_cmpx_gt_u64_e32 0x81, v[5:6]
	s_cbranch_execz .LBB57_370
; %bb.367:
	v_dual_add_f32 v17, v7, v7 :: v_dual_mov_b32 v18, 1.0
	v_lshlrev_b64 v[5:6], 1, v[5:6]
	s_mov_b64 s[10:11], 2
	s_mov_b32 s18, 0
	s_delay_alu instid0(VALU_DEP_2)
	v_mov_b32_e32 v11, v17
	.p2align	6
.LBB57_368:                             ; =>This Inner Loop Header: Depth=1
	s_clz_i32_u32 s19, s11
	s_delay_alu instid0(SALU_CYCLE_1) | instskip(NEXT) | instid1(SALU_CYCLE_1)
	s_min_u32 s19, s19, 32
	s_lshl_b64 s[20:21], s[10:11], s19
	s_sub_i32 s19, 32, s19
	s_min_u32 s20, s20, 1
	s_delay_alu instid0(SALU_CYCLE_1) | instskip(SKIP_3) | instid1(SALU_CYCLE_1)
	s_or_b32 s20, s21, s20
	s_add_u32 s10, s10, 2
	v_cvt_f32_u32_e32 v19, s20
	s_addc_u32 s11, s11, 0
	v_cmp_ge_u64_e32 vcc_lo, s[10:11], v[5:6]
	s_delay_alu instid0(VALU_DEP_2) | instskip(SKIP_1) | instid1(VALU_DEP_1)
	v_ldexp_f32 v19, v19, s19
	s_or_b32 s18, vcc_lo, s18
	v_dual_mul_f32 v19, v18, v19 :: v_dual_mov_b32 v18, v11
	s_delay_alu instid0(VALU_DEP_1)
	v_fma_f32 v11, v17, v11, -v19
	s_and_not1_b32 exec_lo, exec_lo, s18
	s_cbranch_execnz .LBB57_368
; %bb.369:
	s_or_b32 exec_lo, exec_lo, s18
.LBB57_370:
	s_delay_alu instid0(SALU_CYCLE_1)
	s_or_b32 exec_lo, exec_lo, s17
.LBB57_371:
	s_and_not1_saveexec_b32 s10, s16
; %bb.372:
	v_add_f32_e32 v11, v7, v7
; %bb.373:
	s_or_b32 exec_lo, exec_lo, s10
.LBB57_374:
	s_delay_alu instid0(SALU_CYCLE_1)
	s_or_b32 exec_lo, exec_lo, s14
.LBB57_375:
	s_delay_alu instid0(SALU_CYCLE_1) | instskip(SKIP_3) | instid1(VALU_DEP_2)
	s_or_b32 exec_lo, exec_lo, s13
	v_lshrrev_b32_e32 v5, 16, v12
	v_mov_b32_e32 v12, 0
	s_mov_b32 s13, exec_lo
	v_cvt_f32_f16_e32 v6, v5
	v_cmp_class_f16_e64 vcc_lo, v5, 0x1f8
	s_delay_alu instid0(VALU_DEP_2) | instskip(NEXT) | instid1(VALU_DEP_1)
	v_cvt_i32_f32_e32 v7, v6
	v_ashrrev_i32_e32 v6, 31, v7
	s_delay_alu instid0(VALU_DEP_1) | instskip(NEXT) | instid1(VALU_DEP_1)
	v_dual_cndmask_b32 v5, -1, v7 :: v_dual_cndmask_b32 v6, -1, v6
	v_cmpx_lt_i64_e32 -1, v[5:6]
	s_cbranch_execz .LBB57_387
; %bb.376:
	v_mov_b32_e32 v12, 1.0
	s_mov_b32 s14, exec_lo
	v_cmpx_lt_i64_e32 0, v[5:6]
	s_cbranch_execz .LBB57_386
; %bb.377:
	s_mov_b32 s10, exec_lo
	v_cmpx_ne_u64_e32 1, v[5:6]
	s_xor_b32 s16, exec_lo, s10
	s_cbranch_execz .LBB57_383
; %bb.378:
	v_mov_b32_e32 v12, 0x7fc00000
	s_mov_b32 s17, exec_lo
	v_cmpx_gt_u64_e32 0x81, v[5:6]
	s_cbranch_execz .LBB57_382
; %bb.379:
	v_dual_add_f32 v7, v8, v8 :: v_dual_mov_b32 v8, 1.0
	v_lshlrev_b64 v[5:6], 1, v[5:6]
	s_mov_b64 s[10:11], 2
	s_mov_b32 s18, 0
	s_delay_alu instid0(VALU_DEP_2)
	v_mov_b32_e32 v12, v7
	.p2align	6
.LBB57_380:                             ; =>This Inner Loop Header: Depth=1
	s_clz_i32_u32 s19, s11
	s_delay_alu instid0(SALU_CYCLE_1) | instskip(NEXT) | instid1(SALU_CYCLE_1)
	s_min_u32 s19, s19, 32
	s_lshl_b64 s[20:21], s[10:11], s19
	s_sub_i32 s19, 32, s19
	s_min_u32 s20, s20, 1
	s_delay_alu instid0(SALU_CYCLE_1) | instskip(SKIP_3) | instid1(SALU_CYCLE_1)
	s_or_b32 s20, s21, s20
	s_add_u32 s10, s10, 2
	v_cvt_f32_u32_e32 v17, s20
	s_addc_u32 s11, s11, 0
	v_cmp_ge_u64_e32 vcc_lo, s[10:11], v[5:6]
	s_delay_alu instid0(VALU_DEP_2) | instskip(SKIP_1) | instid1(VALU_DEP_1)
	v_ldexp_f32 v17, v17, s19
	s_or_b32 s18, vcc_lo, s18
	v_mul_f32_e32 v17, v8, v17
	v_mov_b32_e32 v8, v12
	s_delay_alu instid0(VALU_DEP_2)
	v_fma_f32 v12, v7, v12, -v17
	s_and_not1_b32 exec_lo, exec_lo, s18
	s_cbranch_execnz .LBB57_380
; %bb.381:
	s_or_b32 exec_lo, exec_lo, s18
.LBB57_382:
	s_delay_alu instid0(SALU_CYCLE_1)
	s_or_b32 exec_lo, exec_lo, s17
                                        ; implicit-def: $vgpr5_vgpr6_vgpr7_vgpr8
.LBB57_383:
	s_and_not1_saveexec_b32 s10, s16
; %bb.384:
	v_add_f32_e32 v12, v8, v8
; %bb.385:
	s_or_b32 exec_lo, exec_lo, s10
.LBB57_386:
	s_delay_alu instid0(SALU_CYCLE_1)
	s_or_b32 exec_lo, exec_lo, s14
.LBB57_387:
	s_delay_alu instid0(SALU_CYCLE_1) | instskip(SKIP_3) | instid1(VALU_DEP_1)
	s_or_b32 exec_lo, exec_lo, s13
	s_add_u32 s10, s4, s8
	s_addc_u32 s11, s5, s9
	v_add_co_u32 v5, s9, s10, v53
	v_add_co_ci_u32_e64 v6, null, s11, 0, s9
	s_clause 0x1
	global_store_b128 v53, v[1:4], s[10:11]
	global_store_b128 v53, v[13:16], s[10:11] offset:16
	v_add_co_u32 v1, vcc_lo, 0x4000, v5
	v_add_co_ci_u32_e32 v2, vcc_lo, 0, v6, vcc_lo
	v_add_co_u32 v3, vcc_lo, 0xc000, v5
	v_add_co_ci_u32_e32 v4, vcc_lo, 0, v6, vcc_lo
	s_clause 0x5
	global_store_b128 v[1:2], v[21:24], off
	global_store_b128 v[1:2], v[33:36], off offset:16
	global_store_b128 v54, v[41:44], s[10:11]
	global_store_b128 v54, v[29:32], s[10:11] offset:16
	global_store_b128 v[3:4], v[25:28], off
	global_store_b128 v[3:4], v[9:12], off offset:16
	s_branch .LBB57_2
.LBB57_388:
	s_clause 0x1
	s_load_b32 s10, s[0:1], 0x24
	s_load_b128 s[16:19], s[0:1], 0x28
	v_dual_mov_b32 v31, v0 :: v_dual_mov_b32 v0, s4
	v_dual_mov_b32 v1, s5 :: v_dual_mov_b32 v2, s6
	;; [unrolled: 1-line block ×4, first 2 shown]
	s_add_u32 s8, s0, 56
	s_addc_u32 s9, s1, 0
	s_mov_b32 s12, s15
	s_getpc_b64 s[0:1]
	s_add_u32 s0, s0, _ZN2at6native25elementwise_kernel_helperILb1ENS0_13BinaryFunctorIfffZZZNS0_12_GLOBAL__N_132hermite_polynomial_h_kernel_cudaERNS_18TensorIteratorBaseEENKUlvE_clEvENKUlvE0_clEvEUlffE_EENS0_6memory8policies11unroll_baseILi512ESt5arrayIPcLm3EE23TrivialOffsetCalculatorILi2EjESG_ILi1EjENSA_12LoadWithCastILi2EEENSA_13StoreWithCastILi1EEELi32ELi1EEEEEvT0_T1_@rel32@lo+4
	s_addc_u32 s1, s1, _ZN2at6native25elementwise_kernel_helperILb1ENS0_13BinaryFunctorIfffZZZNS0_12_GLOBAL__N_132hermite_polynomial_h_kernel_cudaERNS_18TensorIteratorBaseEENKUlvE_clEvENKUlvE0_clEvEUlffE_EENS0_6memory8policies11unroll_baseILi512ESt5arrayIPcLm3EE23TrivialOffsetCalculatorILi2EjESG_ILi1EjENSA_12LoadWithCastILi2EEENSA_13StoreWithCastILi1EEELi32ELi1EEEEEvT0_T1_@rel32@hi+12
	s_waitcnt lgkmcnt(0)
	v_lshrrev_b16 v8, 8, s10
	v_dual_mov_b32 v7, s10 :: v_dual_mov_b32 v10, s17
	v_dual_mov_b32 v9, s16 :: v_dual_mov_b32 v12, s19
	v_mov_b32_e32 v11, s18
	s_swappc_b64 s[30:31], s[0:1]
	s_endpgm
	.section	.rodata,"a",@progbits
	.p2align	6, 0x0
	.amdhsa_kernel _ZN2at6native39vectorized_templated_elementwise_kernelILi8ENS0_13BinaryFunctorIfffZZZNS0_12_GLOBAL__N_132hermite_polynomial_h_kernel_cudaERNS_18TensorIteratorBaseEENKUlvE_clEvENKUlvE0_clEvEUlffE_EESt5arrayIPcLm3EE23TrivialOffsetCalculatorILi2EjESD_ILi1EjENS0_6memory12LoadWithCastILi2EEENSG_13StoreWithCastILi1EEEfJfN3c104HalfEEEEviT0_T1_T2_T3_T4_T5_
		.amdhsa_group_segment_fixed_size 0
		.amdhsa_private_segment_fixed_size 272
		.amdhsa_kernarg_size 312
		.amdhsa_user_sgpr_count 15
		.amdhsa_user_sgpr_dispatch_ptr 0
		.amdhsa_user_sgpr_queue_ptr 0
		.amdhsa_user_sgpr_kernarg_segment_ptr 1
		.amdhsa_user_sgpr_dispatch_id 0
		.amdhsa_user_sgpr_private_segment_size 0
		.amdhsa_wavefront_size32 1
		.amdhsa_uses_dynamic_stack 0
		.amdhsa_enable_private_segment 1
		.amdhsa_system_sgpr_workgroup_id_x 1
		.amdhsa_system_sgpr_workgroup_id_y 0
		.amdhsa_system_sgpr_workgroup_id_z 0
		.amdhsa_system_sgpr_workgroup_info 0
		.amdhsa_system_vgpr_workitem_id 0
		.amdhsa_next_free_vgpr 68
		.amdhsa_next_free_sgpr 77
		.amdhsa_reserve_vcc 1
		.amdhsa_float_round_mode_32 0
		.amdhsa_float_round_mode_16_64 0
		.amdhsa_float_denorm_mode_32 3
		.amdhsa_float_denorm_mode_16_64 3
		.amdhsa_dx10_clamp 1
		.amdhsa_ieee_mode 1
		.amdhsa_fp16_overflow 0
		.amdhsa_workgroup_processor_mode 1
		.amdhsa_memory_ordered 1
		.amdhsa_forward_progress 0
		.amdhsa_shared_vgpr_count 0
		.amdhsa_exception_fp_ieee_invalid_op 0
		.amdhsa_exception_fp_denorm_src 0
		.amdhsa_exception_fp_ieee_div_zero 0
		.amdhsa_exception_fp_ieee_overflow 0
		.amdhsa_exception_fp_ieee_underflow 0
		.amdhsa_exception_fp_ieee_inexact 0
		.amdhsa_exception_int_div_zero 0
	.end_amdhsa_kernel
	.section	.text._ZN2at6native39vectorized_templated_elementwise_kernelILi8ENS0_13BinaryFunctorIfffZZZNS0_12_GLOBAL__N_132hermite_polynomial_h_kernel_cudaERNS_18TensorIteratorBaseEENKUlvE_clEvENKUlvE0_clEvEUlffE_EESt5arrayIPcLm3EE23TrivialOffsetCalculatorILi2EjESD_ILi1EjENS0_6memory12LoadWithCastILi2EEENSG_13StoreWithCastILi1EEEfJfN3c104HalfEEEEviT0_T1_T2_T3_T4_T5_,"axG",@progbits,_ZN2at6native39vectorized_templated_elementwise_kernelILi8ENS0_13BinaryFunctorIfffZZZNS0_12_GLOBAL__N_132hermite_polynomial_h_kernel_cudaERNS_18TensorIteratorBaseEENKUlvE_clEvENKUlvE0_clEvEUlffE_EESt5arrayIPcLm3EE23TrivialOffsetCalculatorILi2EjESD_ILi1EjENS0_6memory12LoadWithCastILi2EEENSG_13StoreWithCastILi1EEEfJfN3c104HalfEEEEviT0_T1_T2_T3_T4_T5_,comdat
.Lfunc_end57:
	.size	_ZN2at6native39vectorized_templated_elementwise_kernelILi8ENS0_13BinaryFunctorIfffZZZNS0_12_GLOBAL__N_132hermite_polynomial_h_kernel_cudaERNS_18TensorIteratorBaseEENKUlvE_clEvENKUlvE0_clEvEUlffE_EESt5arrayIPcLm3EE23TrivialOffsetCalculatorILi2EjESD_ILi1EjENS0_6memory12LoadWithCastILi2EEENSG_13StoreWithCastILi1EEEfJfN3c104HalfEEEEviT0_T1_T2_T3_T4_T5_, .Lfunc_end57-_ZN2at6native39vectorized_templated_elementwise_kernelILi8ENS0_13BinaryFunctorIfffZZZNS0_12_GLOBAL__N_132hermite_polynomial_h_kernel_cudaERNS_18TensorIteratorBaseEENKUlvE_clEvENKUlvE0_clEvEUlffE_EESt5arrayIPcLm3EE23TrivialOffsetCalculatorILi2EjESD_ILi1EjENS0_6memory12LoadWithCastILi2EEENSG_13StoreWithCastILi1EEEfJfN3c104HalfEEEEviT0_T1_T2_T3_T4_T5_
                                        ; -- End function
	.section	.AMDGPU.csdata,"",@progbits
; Kernel info:
; codeLenInByte = 9536
; NumSgprs: 79
; NumVgprs: 68
; ScratchSize: 272
; MemoryBound: 0
; FloatMode: 240
; IeeeMode: 1
; LDSByteSize: 0 bytes/workgroup (compile time only)
; SGPRBlocks: 9
; VGPRBlocks: 8
; NumSGPRsForWavesPerEU: 79
; NumVGPRsForWavesPerEU: 68
; Occupancy: 16
; WaveLimiterHint : 0
; COMPUTE_PGM_RSRC2:SCRATCH_EN: 1
; COMPUTE_PGM_RSRC2:USER_SGPR: 15
; COMPUTE_PGM_RSRC2:TRAP_HANDLER: 0
; COMPUTE_PGM_RSRC2:TGID_X_EN: 1
; COMPUTE_PGM_RSRC2:TGID_Y_EN: 0
; COMPUTE_PGM_RSRC2:TGID_Z_EN: 0
; COMPUTE_PGM_RSRC2:TIDIG_COMP_CNT: 0
	.section	.text._ZN2at6native39vectorized_templated_elementwise_kernelILi4ENS0_13BinaryFunctorIfffZZZNS0_12_GLOBAL__N_132hermite_polynomial_h_kernel_cudaERNS_18TensorIteratorBaseEENKUlvE_clEvENKUlvE0_clEvEUlffE_EESt5arrayIPcLm3EE23TrivialOffsetCalculatorILi2EjESD_ILi1EjENS0_6memory12LoadWithCastILi2EEENSG_13StoreWithCastILi1EEEfJfN3c104HalfEEEEviT0_T1_T2_T3_T4_T5_,"axG",@progbits,_ZN2at6native39vectorized_templated_elementwise_kernelILi4ENS0_13BinaryFunctorIfffZZZNS0_12_GLOBAL__N_132hermite_polynomial_h_kernel_cudaERNS_18TensorIteratorBaseEENKUlvE_clEvENKUlvE0_clEvEUlffE_EESt5arrayIPcLm3EE23TrivialOffsetCalculatorILi2EjESD_ILi1EjENS0_6memory12LoadWithCastILi2EEENSG_13StoreWithCastILi1EEEfJfN3c104HalfEEEEviT0_T1_T2_T3_T4_T5_,comdat
	.globl	_ZN2at6native39vectorized_templated_elementwise_kernelILi4ENS0_13BinaryFunctorIfffZZZNS0_12_GLOBAL__N_132hermite_polynomial_h_kernel_cudaERNS_18TensorIteratorBaseEENKUlvE_clEvENKUlvE0_clEvEUlffE_EESt5arrayIPcLm3EE23TrivialOffsetCalculatorILi2EjESD_ILi1EjENS0_6memory12LoadWithCastILi2EEENSG_13StoreWithCastILi1EEEfJfN3c104HalfEEEEviT0_T1_T2_T3_T4_T5_ ; -- Begin function _ZN2at6native39vectorized_templated_elementwise_kernelILi4ENS0_13BinaryFunctorIfffZZZNS0_12_GLOBAL__N_132hermite_polynomial_h_kernel_cudaERNS_18TensorIteratorBaseEENKUlvE_clEvENKUlvE0_clEvEUlffE_EESt5arrayIPcLm3EE23TrivialOffsetCalculatorILi2EjESD_ILi1EjENS0_6memory12LoadWithCastILi2EEENSG_13StoreWithCastILi1EEEfJfN3c104HalfEEEEviT0_T1_T2_T3_T4_T5_
	.p2align	8
	.type	_ZN2at6native39vectorized_templated_elementwise_kernelILi4ENS0_13BinaryFunctorIfffZZZNS0_12_GLOBAL__N_132hermite_polynomial_h_kernel_cudaERNS_18TensorIteratorBaseEENKUlvE_clEvENKUlvE0_clEvEUlffE_EESt5arrayIPcLm3EE23TrivialOffsetCalculatorILi2EjESD_ILi1EjENS0_6memory12LoadWithCastILi2EEENSG_13StoreWithCastILi1EEEfJfN3c104HalfEEEEviT0_T1_T2_T3_T4_T5_,@function
_ZN2at6native39vectorized_templated_elementwise_kernelILi4ENS0_13BinaryFunctorIfffZZZNS0_12_GLOBAL__N_132hermite_polynomial_h_kernel_cudaERNS_18TensorIteratorBaseEENKUlvE_clEvENKUlvE0_clEvEUlffE_EESt5arrayIPcLm3EE23TrivialOffsetCalculatorILi2EjESD_ILi1EjENS0_6memory12LoadWithCastILi2EEENSG_13StoreWithCastILi1EEEfJfN3c104HalfEEEEviT0_T1_T2_T3_T4_T5_: ; @_ZN2at6native39vectorized_templated_elementwise_kernelILi4ENS0_13BinaryFunctorIfffZZZNS0_12_GLOBAL__N_132hermite_polynomial_h_kernel_cudaERNS_18TensorIteratorBaseEENKUlvE_clEvENKUlvE0_clEvEUlffE_EESt5arrayIPcLm3EE23TrivialOffsetCalculatorILi2EjESD_ILi1EjENS0_6memory12LoadWithCastILi2EEENSG_13StoreWithCastILi1EEEfJfN3c104HalfEEEEviT0_T1_T2_T3_T4_T5_
; %bb.0:
	s_clause 0x3
	s_load_b32 s8, s[0:1], 0x38
	s_load_b32 s9, s[0:1], 0x0
	s_load_b64 s[2:3], s[0:1], 0x18
	s_load_b128 s[4:7], s[0:1], 0x8
	s_not_b32 s10, s15
	s_mov_b32 s32, 0
	s_waitcnt lgkmcnt(0)
	s_add_i32 s8, s8, s10
	s_delay_alu instid0(SALU_CYCLE_1) | instskip(SKIP_2) | instid1(SALU_CYCLE_1)
	s_lshl_b32 s10, s8, 14
	s_mov_b32 s8, -1
	s_sub_i32 s12, s9, s10
	s_cmpk_gt_i32 s12, 0x3fff
	s_cbranch_scc1 .LBB58_3
; %bb.1:
	s_and_b32 vcc_lo, exec_lo, s8
	s_cbranch_vccnz .LBB58_388
.LBB58_2:
	s_nop 0
	s_sendmsg sendmsg(MSG_DEALLOC_VGPRS)
	s_endpgm
.LBB58_3:
	s_ashr_i32 s11, s10, 31
	v_lshlrev_b32_e32 v55, 4, v0
	s_lshl_b64 s[8:9], s[10:11], 2
	v_or_b32_e32 v37, 0x400, v0
	s_add_u32 s16, s6, s8
	s_addc_u32 s17, s7, s9
	v_add_co_u32 v5, s13, s16, v55
	s_delay_alu instid0(VALU_DEP_1) | instskip(SKIP_1) | instid1(VALU_DEP_3)
	v_add_co_ci_u32_e64 v6, null, s17, 0, s13
	v_or_b32_e32 v39, 0x800, v0
	v_add_co_u32 v1, vcc_lo, 0x2000, v5
	s_delay_alu instid0(VALU_DEP_3) | instskip(SKIP_1) | instid1(VALU_DEP_4)
	v_add_co_ci_u32_e32 v2, vcc_lo, 0, v6, vcc_lo
	v_lshlrev_b32_e32 v56, 4, v37
	v_lshlrev_b32_e32 v53, 4, v39
	s_clause 0x1
	global_load_b128 v[9:12], v55, s[16:17]
	global_load_b128 v[21:24], v[1:2], off
	v_add_co_u32 v1, vcc_lo, 0x6000, v5
	v_add_co_ci_u32_e32 v2, vcc_lo, 0, v6, vcc_lo
	v_add_co_u32 v3, vcc_lo, 0xa000, v5
	v_add_co_ci_u32_e32 v4, vcc_lo, 0, v6, vcc_lo
	v_or_b32_e32 v41, 0xc00, v0
	s_clause 0x3
	global_load_b128 v[25:28], v56, s[16:17]
	global_load_b128 v[33:36], v[1:2], off
	global_load_b128 v[29:32], v53, s[16:17]
	global_load_b128 v[17:20], v[3:4], off
	v_lshlrev_b32_e32 v3, 3, v0
	s_lshl_b64 s[10:11], s[10:11], 1
	v_add_co_u32 v1, vcc_lo, 0xe000, v5
	s_add_u32 s10, s2, s10
	v_lshlrev_b32_e32 v54, 4, v41
	v_add_co_ci_u32_e32 v2, vcc_lo, 0, v6, vcc_lo
	s_addc_u32 s11, s3, s11
	v_add_co_u32 v42, s13, s10, v3
	s_delay_alu instid0(VALU_DEP_1)
	v_add_co_ci_u32_e64 v43, null, s11, 0, s13
	global_load_b64 v[3:4], v3, s[10:11]
	s_clause 0x1
	global_load_b128 v[13:16], v54, s[16:17]
	global_load_b128 v[5:8], v[1:2], off
	v_add_co_u32 v1, vcc_lo, 0x1000, v42
	v_add_co_ci_u32_e32 v2, vcc_lo, 0, v43, vcc_lo
	v_lshlrev_b32_e32 v44, 3, v37
	v_add_co_u32 v37, vcc_lo, 0x3000, v42
	v_add_co_ci_u32_e32 v38, vcc_lo, 0, v43, vcc_lo
	v_lshlrev_b32_e32 v57, 3, v39
	v_add_co_u32 v39, vcc_lo, 0x5000, v42
	v_add_co_ci_u32_e32 v40, vcc_lo, 0, v43, vcc_lo
	v_add_co_u32 v51, vcc_lo, 0x7000, v42
	v_lshlrev_b32_e32 v58, 3, v41
	v_add_co_ci_u32_e32 v52, vcc_lo, 0, v43, vcc_lo
	s_clause 0x6
	global_load_b64 v[49:50], v[1:2], off
	global_load_b64 v[47:48], v44, s[10:11]
	global_load_b64 v[45:46], v[37:38], off
	global_load_b64 v[43:44], v57, s[10:11]
	;; [unrolled: 2-line block ×3, first 2 shown]
	global_load_b64 v[37:38], v[51:52], off
	s_mov_b32 s13, exec_lo
	s_waitcnt vmcnt(9)
	v_cvt_f32_f16_e32 v1, v3
	v_cmp_class_f16_e64 vcc_lo, v3, 0x1f8
	s_delay_alu instid0(VALU_DEP_2) | instskip(NEXT) | instid1(VALU_DEP_1)
	v_cvt_i32_f32_e32 v1, v1
	v_ashrrev_i32_e32 v2, 31, v1
	v_cndmask_b32_e32 v51, -1, v1, vcc_lo
	s_delay_alu instid0(VALU_DEP_2) | instskip(NEXT) | instid1(VALU_DEP_1)
	v_dual_mov_b32 v1, 0 :: v_dual_cndmask_b32 v52, -1, v2
	v_cmpx_lt_i64_e32 -1, v[51:52]
	s_cbranch_execz .LBB58_15
; %bb.4:
	v_mov_b32_e32 v1, 1.0
	s_mov_b32 s14, exec_lo
	v_cmpx_lt_i64_e32 0, v[51:52]
	s_cbranch_execz .LBB58_14
; %bb.5:
                                        ; implicit-def: $vgpr1
	s_mov_b32 s10, exec_lo
	v_cmpx_ne_u64_e32 1, v[51:52]
	s_xor_b32 s16, exec_lo, s10
	s_cbranch_execz .LBB58_11
; %bb.6:
	v_mov_b32_e32 v1, 0x7fc00000
	s_mov_b32 s17, exec_lo
	v_cmpx_gt_u64_e32 0x81, v[51:52]
	s_cbranch_execz .LBB58_10
; %bb.7:
	v_dual_add_f32 v2, v9, v9 :: v_dual_mov_b32 v57, 1.0
	v_lshlrev_b64 v[51:52], 1, v[51:52]
	s_mov_b64 s[10:11], 2
	s_mov_b32 s18, 0
	s_delay_alu instid0(VALU_DEP_2)
	v_mov_b32_e32 v1, v2
	.p2align	6
.LBB58_8:                               ; =>This Inner Loop Header: Depth=1
	s_clz_i32_u32 s19, s11
	s_delay_alu instid0(SALU_CYCLE_1) | instskip(NEXT) | instid1(SALU_CYCLE_1)
	s_min_u32 s19, s19, 32
	s_lshl_b64 s[20:21], s[10:11], s19
	s_sub_i32 s19, 32, s19
	s_min_u32 s20, s20, 1
	s_delay_alu instid0(SALU_CYCLE_1) | instskip(SKIP_3) | instid1(SALU_CYCLE_1)
	s_or_b32 s20, s21, s20
	s_add_u32 s10, s10, 2
	v_cvt_f32_u32_e32 v58, s20
	s_addc_u32 s11, s11, 0
	v_cmp_ge_u64_e32 vcc_lo, s[10:11], v[51:52]
	s_delay_alu instid0(VALU_DEP_2) | instskip(SKIP_1) | instid1(VALU_DEP_1)
	v_ldexp_f32 v58, v58, s19
	s_or_b32 s18, vcc_lo, s18
	v_mul_f32_e32 v58, v57, v58
	v_mov_b32_e32 v57, v1
	s_delay_alu instid0(VALU_DEP_2)
	v_fma_f32 v1, v2, v1, -v58
	s_and_not1_b32 exec_lo, exec_lo, s18
	s_cbranch_execnz .LBB58_8
; %bb.9:
	s_or_b32 exec_lo, exec_lo, s18
.LBB58_10:
	s_delay_alu instid0(SALU_CYCLE_1)
	s_or_b32 exec_lo, exec_lo, s17
.LBB58_11:
	s_and_not1_saveexec_b32 s10, s16
; %bb.12:
	v_add_f32_e32 v1, v9, v9
; %bb.13:
	s_or_b32 exec_lo, exec_lo, s10
.LBB58_14:
	s_delay_alu instid0(SALU_CYCLE_1)
	s_or_b32 exec_lo, exec_lo, s14
.LBB58_15:
	s_delay_alu instid0(SALU_CYCLE_1) | instskip(SKIP_2) | instid1(VALU_DEP_1)
	s_or_b32 exec_lo, exec_lo, s13
	v_lshrrev_b32_e32 v2, 16, v3
	s_mov_b32 s13, exec_lo
	v_cvt_f32_f16_e32 v3, v2
	v_cmp_class_f16_e64 vcc_lo, v2, 0x1f8
	v_mov_b32_e32 v2, 0
	s_delay_alu instid0(VALU_DEP_3) | instskip(NEXT) | instid1(VALU_DEP_1)
	v_cvt_i32_f32_e32 v3, v3
	v_ashrrev_i32_e32 v9, 31, v3
	s_delay_alu instid0(VALU_DEP_1) | instskip(NEXT) | instid1(VALU_DEP_1)
	v_dual_cndmask_b32 v51, -1, v3 :: v_dual_cndmask_b32 v52, -1, v9
	v_cmpx_lt_i64_e32 -1, v[51:52]
	s_cbranch_execz .LBB58_27
; %bb.16:
	v_mov_b32_e32 v2, 1.0
	s_mov_b32 s14, exec_lo
	v_cmpx_lt_i64_e32 0, v[51:52]
	s_cbranch_execz .LBB58_26
; %bb.17:
	s_mov_b32 s10, exec_lo
	v_cmpx_ne_u64_e32 1, v[51:52]
	s_xor_b32 s16, exec_lo, s10
	s_cbranch_execz .LBB58_23
; %bb.18:
	v_mov_b32_e32 v2, 0x7fc00000
	s_mov_b32 s17, exec_lo
	v_cmpx_gt_u64_e32 0x81, v[51:52]
	s_cbranch_execz .LBB58_22
; %bb.19:
	v_add_f32_e32 v3, v10, v10
	v_lshlrev_b64 v[51:52], 1, v[51:52]
	v_mov_b32_e32 v9, 1.0
	s_mov_b64 s[10:11], 2
	s_mov_b32 s18, 0
	v_mov_b32_e32 v2, v3
	.p2align	6
.LBB58_20:                              ; =>This Inner Loop Header: Depth=1
	s_clz_i32_u32 s19, s11
	s_delay_alu instid0(SALU_CYCLE_1) | instskip(NEXT) | instid1(SALU_CYCLE_1)
	s_min_u32 s19, s19, 32
	s_lshl_b64 s[20:21], s[10:11], s19
	s_sub_i32 s19, 32, s19
	s_min_u32 s20, s20, 1
	s_delay_alu instid0(SALU_CYCLE_1) | instskip(SKIP_3) | instid1(SALU_CYCLE_1)
	s_or_b32 s20, s21, s20
	s_add_u32 s10, s10, 2
	v_cvt_f32_u32_e32 v57, s20
	s_addc_u32 s11, s11, 0
	v_cmp_ge_u64_e32 vcc_lo, s[10:11], v[51:52]
	s_delay_alu instid0(VALU_DEP_2) | instskip(SKIP_1) | instid1(VALU_DEP_1)
	v_ldexp_f32 v57, v57, s19
	s_or_b32 s18, vcc_lo, s18
	v_mul_f32_e32 v57, v9, v57
	v_mov_b32_e32 v9, v2
	s_delay_alu instid0(VALU_DEP_2)
	v_fma_f32 v2, v3, v2, -v57
	s_and_not1_b32 exec_lo, exec_lo, s18
	s_cbranch_execnz .LBB58_20
; %bb.21:
	s_or_b32 exec_lo, exec_lo, s18
.LBB58_22:
	s_delay_alu instid0(SALU_CYCLE_1)
	s_or_b32 exec_lo, exec_lo, s17
.LBB58_23:
	s_and_not1_saveexec_b32 s10, s16
; %bb.24:
	v_add_f32_e32 v2, v10, v10
; %bb.25:
	s_or_b32 exec_lo, exec_lo, s10
.LBB58_26:
	s_delay_alu instid0(SALU_CYCLE_1)
	s_or_b32 exec_lo, exec_lo, s14
.LBB58_27:
	s_delay_alu instid0(SALU_CYCLE_1) | instskip(SKIP_3) | instid1(VALU_DEP_2)
	s_or_b32 exec_lo, exec_lo, s13
	v_cvt_f32_f16_e32 v3, v4
	v_cmp_class_f16_e64 vcc_lo, v4, 0x1f8
	s_mov_b32 s13, exec_lo
	v_cvt_i32_f32_e32 v3, v3
	s_delay_alu instid0(VALU_DEP_1) | instskip(NEXT) | instid1(VALU_DEP_1)
	v_ashrrev_i32_e32 v9, 31, v3
	v_dual_cndmask_b32 v10, -1, v9 :: v_dual_cndmask_b32 v9, -1, v3
	v_mov_b32_e32 v3, 0
	s_delay_alu instid0(VALU_DEP_2)
	v_cmpx_lt_i64_e32 -1, v[9:10]
	s_cbranch_execz .LBB58_39
; %bb.28:
	v_mov_b32_e32 v3, 1.0
	s_mov_b32 s14, exec_lo
	v_cmpx_lt_i64_e32 0, v[9:10]
	s_cbranch_execz .LBB58_38
; %bb.29:
	s_mov_b32 s10, exec_lo
	v_cmpx_ne_u64_e32 1, v[9:10]
	s_xor_b32 s16, exec_lo, s10
	s_cbranch_execz .LBB58_35
; %bb.30:
	v_mov_b32_e32 v3, 0x7fc00000
	s_mov_b32 s17, exec_lo
	v_cmpx_gt_u64_e32 0x81, v[9:10]
	s_cbranch_execz .LBB58_34
; %bb.31:
	v_dual_add_f32 v51, v11, v11 :: v_dual_mov_b32 v52, 1.0
	v_lshlrev_b64 v[9:10], 1, v[9:10]
	s_mov_b64 s[10:11], 2
	s_mov_b32 s18, 0
	s_delay_alu instid0(VALU_DEP_2)
	v_mov_b32_e32 v3, v51
	.p2align	6
.LBB58_32:                              ; =>This Inner Loop Header: Depth=1
	s_clz_i32_u32 s19, s11
	s_delay_alu instid0(SALU_CYCLE_1) | instskip(NEXT) | instid1(SALU_CYCLE_1)
	s_min_u32 s19, s19, 32
	s_lshl_b64 s[20:21], s[10:11], s19
	s_sub_i32 s19, 32, s19
	s_min_u32 s20, s20, 1
	s_delay_alu instid0(SALU_CYCLE_1) | instskip(SKIP_3) | instid1(SALU_CYCLE_1)
	s_or_b32 s20, s21, s20
	s_add_u32 s10, s10, 2
	v_cvt_f32_u32_e32 v57, s20
	s_addc_u32 s11, s11, 0
	v_cmp_ge_u64_e32 vcc_lo, s[10:11], v[9:10]
	s_delay_alu instid0(VALU_DEP_2) | instskip(SKIP_1) | instid1(VALU_DEP_1)
	v_ldexp_f32 v57, v57, s19
	s_or_b32 s18, vcc_lo, s18
	v_dual_mul_f32 v57, v52, v57 :: v_dual_mov_b32 v52, v3
	s_delay_alu instid0(VALU_DEP_1)
	v_fma_f32 v3, v51, v3, -v57
	s_and_not1_b32 exec_lo, exec_lo, s18
	s_cbranch_execnz .LBB58_32
; %bb.33:
	s_or_b32 exec_lo, exec_lo, s18
.LBB58_34:
	s_delay_alu instid0(SALU_CYCLE_1)
	s_or_b32 exec_lo, exec_lo, s17
.LBB58_35:
	s_and_not1_saveexec_b32 s10, s16
; %bb.36:
	v_add_f32_e32 v3, v11, v11
; %bb.37:
	s_or_b32 exec_lo, exec_lo, s10
.LBB58_38:
	s_delay_alu instid0(SALU_CYCLE_1)
	s_or_b32 exec_lo, exec_lo, s14
.LBB58_39:
	s_delay_alu instid0(SALU_CYCLE_1) | instskip(SKIP_2) | instid1(VALU_DEP_1)
	s_or_b32 exec_lo, exec_lo, s13
	v_lshrrev_b32_e32 v4, 16, v4
	s_mov_b32 s13, exec_lo
	v_cvt_f32_f16_e32 v9, v4
	v_cmp_class_f16_e64 vcc_lo, v4, 0x1f8
	v_mov_b32_e32 v4, 0
	s_delay_alu instid0(VALU_DEP_3) | instskip(NEXT) | instid1(VALU_DEP_1)
	v_cvt_i32_f32_e32 v9, v9
	v_ashrrev_i32_e32 v10, 31, v9
	s_delay_alu instid0(VALU_DEP_1) | instskip(NEXT) | instid1(VALU_DEP_1)
	v_dual_cndmask_b32 v9, -1, v9 :: v_dual_cndmask_b32 v10, -1, v10
	v_cmpx_lt_i64_e32 -1, v[9:10]
	s_cbranch_execz .LBB58_51
; %bb.40:
	v_mov_b32_e32 v4, 1.0
	s_mov_b32 s14, exec_lo
	v_cmpx_lt_i64_e32 0, v[9:10]
	s_cbranch_execz .LBB58_50
; %bb.41:
	s_mov_b32 s10, exec_lo
	v_cmpx_ne_u64_e32 1, v[9:10]
	s_xor_b32 s16, exec_lo, s10
	s_cbranch_execz .LBB58_47
; %bb.42:
	v_mov_b32_e32 v4, 0x7fc00000
	s_mov_b32 s17, exec_lo
	v_cmpx_gt_u64_e32 0x81, v[9:10]
	s_cbranch_execz .LBB58_46
; %bb.43:
	v_dual_add_f32 v11, v12, v12 :: v_dual_mov_b32 v12, 1.0
	v_lshlrev_b64 v[9:10], 1, v[9:10]
	s_mov_b64 s[10:11], 2
	s_mov_b32 s18, 0
	s_delay_alu instid0(VALU_DEP_2)
	v_mov_b32_e32 v4, v11
	.p2align	6
.LBB58_44:                              ; =>This Inner Loop Header: Depth=1
	s_clz_i32_u32 s19, s11
	s_delay_alu instid0(SALU_CYCLE_1) | instskip(NEXT) | instid1(SALU_CYCLE_1)
	s_min_u32 s19, s19, 32
	s_lshl_b64 s[20:21], s[10:11], s19
	s_sub_i32 s19, 32, s19
	s_min_u32 s20, s20, 1
	s_delay_alu instid0(SALU_CYCLE_1) | instskip(SKIP_3) | instid1(SALU_CYCLE_1)
	s_or_b32 s20, s21, s20
	s_add_u32 s10, s10, 2
	v_cvt_f32_u32_e32 v51, s20
	s_addc_u32 s11, s11, 0
	v_cmp_ge_u64_e32 vcc_lo, s[10:11], v[9:10]
	s_delay_alu instid0(VALU_DEP_2) | instskip(SKIP_1) | instid1(VALU_DEP_1)
	v_ldexp_f32 v51, v51, s19
	s_or_b32 s18, vcc_lo, s18
	v_mul_f32_e32 v51, v12, v51
	v_mov_b32_e32 v12, v4
	s_delay_alu instid0(VALU_DEP_2)
	v_fma_f32 v4, v11, v4, -v51
	s_and_not1_b32 exec_lo, exec_lo, s18
	s_cbranch_execnz .LBB58_44
; %bb.45:
	s_or_b32 exec_lo, exec_lo, s18
.LBB58_46:
	s_delay_alu instid0(SALU_CYCLE_1)
	s_or_b32 exec_lo, exec_lo, s17
                                        ; implicit-def: $vgpr9_vgpr10_vgpr11_vgpr12
.LBB58_47:
	s_and_not1_saveexec_b32 s10, s16
; %bb.48:
	v_add_f32_e32 v4, v12, v12
; %bb.49:
	s_or_b32 exec_lo, exec_lo, s10
.LBB58_50:
	s_delay_alu instid0(SALU_CYCLE_1)
	s_or_b32 exec_lo, exec_lo, s14
.LBB58_51:
	s_delay_alu instid0(SALU_CYCLE_1) | instskip(SKIP_4) | instid1(VALU_DEP_2)
	s_or_b32 exec_lo, exec_lo, s13
	s_waitcnt vmcnt(6)
	v_cvt_f32_f16_e32 v9, v49
	v_cmp_class_f16_e64 vcc_lo, v49, 0x1f8
	s_mov_b32 s13, exec_lo
	v_cvt_i32_f32_e32 v9, v9
	s_delay_alu instid0(VALU_DEP_1) | instskip(NEXT) | instid1(VALU_DEP_1)
	v_ashrrev_i32_e32 v10, 31, v9
	v_dual_cndmask_b32 v11, -1, v10 :: v_dual_cndmask_b32 v10, -1, v9
	v_mov_b32_e32 v9, 0
	s_delay_alu instid0(VALU_DEP_2)
	v_cmpx_lt_i64_e32 -1, v[10:11]
	s_cbranch_execz .LBB58_63
; %bb.52:
	v_mov_b32_e32 v9, 1.0
	s_mov_b32 s14, exec_lo
	v_cmpx_lt_i64_e32 0, v[10:11]
	s_cbranch_execz .LBB58_62
; %bb.53:
                                        ; implicit-def: $vgpr9
	s_mov_b32 s10, exec_lo
	v_cmpx_ne_u64_e32 1, v[10:11]
	s_xor_b32 s16, exec_lo, s10
	s_cbranch_execz .LBB58_59
; %bb.54:
	v_mov_b32_e32 v9, 0x7fc00000
	s_mov_b32 s17, exec_lo
	v_cmpx_gt_u64_e32 0x81, v[10:11]
	s_cbranch_execz .LBB58_58
; %bb.55:
	v_dual_add_f32 v12, v21, v21 :: v_dual_mov_b32 v51, 1.0
	v_lshlrev_b64 v[10:11], 1, v[10:11]
	s_mov_b64 s[10:11], 2
	s_mov_b32 s18, 0
	s_delay_alu instid0(VALU_DEP_2)
	v_mov_b32_e32 v9, v12
	.p2align	6
.LBB58_56:                              ; =>This Inner Loop Header: Depth=1
	s_clz_i32_u32 s19, s11
	s_delay_alu instid0(SALU_CYCLE_1) | instskip(NEXT) | instid1(SALU_CYCLE_1)
	s_min_u32 s19, s19, 32
	s_lshl_b64 s[20:21], s[10:11], s19
	s_sub_i32 s19, 32, s19
	s_min_u32 s20, s20, 1
	s_delay_alu instid0(SALU_CYCLE_1) | instskip(SKIP_3) | instid1(SALU_CYCLE_1)
	s_or_b32 s20, s21, s20
	s_add_u32 s10, s10, 2
	v_cvt_f32_u32_e32 v52, s20
	s_addc_u32 s11, s11, 0
	v_cmp_ge_u64_e32 vcc_lo, s[10:11], v[10:11]
	s_delay_alu instid0(VALU_DEP_2) | instskip(SKIP_1) | instid1(VALU_DEP_1)
	v_ldexp_f32 v52, v52, s19
	s_or_b32 s18, vcc_lo, s18
	v_dual_mul_f32 v52, v51, v52 :: v_dual_mov_b32 v51, v9
	s_delay_alu instid0(VALU_DEP_1)
	v_fma_f32 v9, v12, v9, -v52
	s_and_not1_b32 exec_lo, exec_lo, s18
	s_cbranch_execnz .LBB58_56
; %bb.57:
	s_or_b32 exec_lo, exec_lo, s18
.LBB58_58:
	s_delay_alu instid0(SALU_CYCLE_1)
	s_or_b32 exec_lo, exec_lo, s17
.LBB58_59:
	s_and_not1_saveexec_b32 s10, s16
; %bb.60:
	v_add_f32_e32 v9, v21, v21
; %bb.61:
	s_or_b32 exec_lo, exec_lo, s10
.LBB58_62:
	s_delay_alu instid0(SALU_CYCLE_1)
	s_or_b32 exec_lo, exec_lo, s14
.LBB58_63:
	s_delay_alu instid0(SALU_CYCLE_1) | instskip(SKIP_2) | instid1(VALU_DEP_1)
	s_or_b32 exec_lo, exec_lo, s13
	v_lshrrev_b32_e32 v10, 16, v49
	s_mov_b32 s13, exec_lo
	v_cvt_f32_f16_e32 v11, v10
	v_cmp_class_f16_e64 vcc_lo, v10, 0x1f8
	v_mov_b32_e32 v10, 0
	s_delay_alu instid0(VALU_DEP_3) | instskip(NEXT) | instid1(VALU_DEP_1)
	v_cvt_i32_f32_e32 v11, v11
	v_ashrrev_i32_e32 v12, 31, v11
	s_delay_alu instid0(VALU_DEP_1) | instskip(NEXT) | instid1(VALU_DEP_1)
	v_dual_cndmask_b32 v11, -1, v11 :: v_dual_cndmask_b32 v12, -1, v12
	v_cmpx_lt_i64_e32 -1, v[11:12]
	s_cbranch_execz .LBB58_75
; %bb.64:
	v_mov_b32_e32 v10, 1.0
	s_mov_b32 s14, exec_lo
	v_cmpx_lt_i64_e32 0, v[11:12]
	s_cbranch_execz .LBB58_74
; %bb.65:
	s_mov_b32 s10, exec_lo
	v_cmpx_ne_u64_e32 1, v[11:12]
	s_xor_b32 s16, exec_lo, s10
	s_cbranch_execz .LBB58_71
; %bb.66:
	v_mov_b32_e32 v10, 0x7fc00000
	s_mov_b32 s17, exec_lo
	v_cmpx_gt_u64_e32 0x81, v[11:12]
	s_cbranch_execz .LBB58_70
; %bb.67:
	v_add_f32_e32 v21, v22, v22
	v_lshlrev_b64 v[11:12], 1, v[11:12]
	v_mov_b32_e32 v49, 1.0
	s_mov_b64 s[10:11], 2
	s_mov_b32 s18, 0
	v_mov_b32_e32 v10, v21
	.p2align	6
.LBB58_68:                              ; =>This Inner Loop Header: Depth=1
	s_clz_i32_u32 s19, s11
	s_delay_alu instid0(SALU_CYCLE_1) | instskip(NEXT) | instid1(SALU_CYCLE_1)
	s_min_u32 s19, s19, 32
	s_lshl_b64 s[20:21], s[10:11], s19
	s_sub_i32 s19, 32, s19
	s_min_u32 s20, s20, 1
	s_delay_alu instid0(SALU_CYCLE_1) | instskip(SKIP_3) | instid1(SALU_CYCLE_1)
	s_or_b32 s20, s21, s20
	s_add_u32 s10, s10, 2
	v_cvt_f32_u32_e32 v51, s20
	s_addc_u32 s11, s11, 0
	v_cmp_ge_u64_e32 vcc_lo, s[10:11], v[11:12]
	s_delay_alu instid0(VALU_DEP_2) | instskip(SKIP_1) | instid1(VALU_DEP_1)
	v_ldexp_f32 v51, v51, s19
	s_or_b32 s18, vcc_lo, s18
	v_mul_f32_e32 v51, v49, v51
	v_mov_b32_e32 v49, v10
	s_delay_alu instid0(VALU_DEP_2)
	v_fma_f32 v10, v21, v10, -v51
	s_and_not1_b32 exec_lo, exec_lo, s18
	s_cbranch_execnz .LBB58_68
; %bb.69:
	s_or_b32 exec_lo, exec_lo, s18
.LBB58_70:
	s_delay_alu instid0(SALU_CYCLE_1)
	s_or_b32 exec_lo, exec_lo, s17
.LBB58_71:
	s_and_not1_saveexec_b32 s10, s16
; %bb.72:
	v_add_f32_e32 v10, v22, v22
; %bb.73:
	s_or_b32 exec_lo, exec_lo, s10
.LBB58_74:
	s_delay_alu instid0(SALU_CYCLE_1)
	s_or_b32 exec_lo, exec_lo, s14
.LBB58_75:
	s_delay_alu instid0(SALU_CYCLE_1) | instskip(SKIP_3) | instid1(VALU_DEP_2)
	s_or_b32 exec_lo, exec_lo, s13
	v_cvt_f32_f16_e32 v11, v50
	v_cmp_class_f16_e64 vcc_lo, v50, 0x1f8
	s_mov_b32 s13, exec_lo
	v_cvt_i32_f32_e32 v11, v11
	s_delay_alu instid0(VALU_DEP_1) | instskip(SKIP_1) | instid1(VALU_DEP_2)
	v_ashrrev_i32_e32 v12, 31, v11
	v_cndmask_b32_e32 v21, -1, v11, vcc_lo
	v_dual_mov_b32 v11, 0 :: v_dual_cndmask_b32 v22, -1, v12
	s_delay_alu instid0(VALU_DEP_1)
	v_cmpx_lt_i64_e32 -1, v[21:22]
	s_cbranch_execz .LBB58_87
; %bb.76:
	v_mov_b32_e32 v11, 1.0
	s_mov_b32 s14, exec_lo
	v_cmpx_lt_i64_e32 0, v[21:22]
	s_cbranch_execz .LBB58_86
; %bb.77:
	s_mov_b32 s10, exec_lo
	v_cmpx_ne_u64_e32 1, v[21:22]
	s_xor_b32 s16, exec_lo, s10
	s_cbranch_execz .LBB58_83
; %bb.78:
	v_mov_b32_e32 v11, 0x7fc00000
	s_mov_b32 s17, exec_lo
	v_cmpx_gt_u64_e32 0x81, v[21:22]
	s_cbranch_execz .LBB58_82
; %bb.79:
	v_dual_add_f32 v12, v23, v23 :: v_dual_mov_b32 v49, 1.0
	v_lshlrev_b64 v[21:22], 1, v[21:22]
	s_mov_b64 s[10:11], 2
	s_mov_b32 s18, 0
	s_delay_alu instid0(VALU_DEP_2)
	v_mov_b32_e32 v11, v12
	.p2align	6
.LBB58_80:                              ; =>This Inner Loop Header: Depth=1
	s_clz_i32_u32 s19, s11
	s_delay_alu instid0(SALU_CYCLE_1) | instskip(NEXT) | instid1(SALU_CYCLE_1)
	s_min_u32 s19, s19, 32
	s_lshl_b64 s[20:21], s[10:11], s19
	s_sub_i32 s19, 32, s19
	s_min_u32 s20, s20, 1
	s_delay_alu instid0(SALU_CYCLE_1) | instskip(SKIP_3) | instid1(SALU_CYCLE_1)
	s_or_b32 s20, s21, s20
	s_add_u32 s10, s10, 2
	v_cvt_f32_u32_e32 v51, s20
	s_addc_u32 s11, s11, 0
	v_cmp_ge_u64_e32 vcc_lo, s[10:11], v[21:22]
	s_delay_alu instid0(VALU_DEP_2) | instskip(SKIP_1) | instid1(VALU_DEP_1)
	v_ldexp_f32 v51, v51, s19
	s_or_b32 s18, vcc_lo, s18
	v_mul_f32_e32 v51, v49, v51
	v_mov_b32_e32 v49, v11
	s_delay_alu instid0(VALU_DEP_2)
	v_fma_f32 v11, v12, v11, -v51
	s_and_not1_b32 exec_lo, exec_lo, s18
	s_cbranch_execnz .LBB58_80
; %bb.81:
	s_or_b32 exec_lo, exec_lo, s18
.LBB58_82:
	s_delay_alu instid0(SALU_CYCLE_1)
	s_or_b32 exec_lo, exec_lo, s17
.LBB58_83:
	s_and_not1_saveexec_b32 s10, s16
; %bb.84:
	v_add_f32_e32 v11, v23, v23
; %bb.85:
	s_or_b32 exec_lo, exec_lo, s10
.LBB58_86:
	s_delay_alu instid0(SALU_CYCLE_1)
	s_or_b32 exec_lo, exec_lo, s14
.LBB58_87:
	s_delay_alu instid0(SALU_CYCLE_1) | instskip(SKIP_2) | instid1(VALU_DEP_1)
	s_or_b32 exec_lo, exec_lo, s13
	v_lshrrev_b32_e32 v12, 16, v50
	s_mov_b32 s13, exec_lo
	v_cvt_f32_f16_e32 v21, v12
	v_cmp_class_f16_e64 vcc_lo, v12, 0x1f8
	v_mov_b32_e32 v12, 0
	s_delay_alu instid0(VALU_DEP_3) | instskip(NEXT) | instid1(VALU_DEP_1)
	v_cvt_i32_f32_e32 v21, v21
	v_ashrrev_i32_e32 v22, 31, v21
	s_delay_alu instid0(VALU_DEP_1) | instskip(NEXT) | instid1(VALU_DEP_1)
	v_dual_cndmask_b32 v21, -1, v21 :: v_dual_cndmask_b32 v22, -1, v22
	v_cmpx_lt_i64_e32 -1, v[21:22]
	s_cbranch_execz .LBB58_99
; %bb.88:
	v_mov_b32_e32 v12, 1.0
	s_mov_b32 s14, exec_lo
	v_cmpx_lt_i64_e32 0, v[21:22]
	s_cbranch_execz .LBB58_98
; %bb.89:
	s_mov_b32 s10, exec_lo
	v_cmpx_ne_u64_e32 1, v[21:22]
	s_xor_b32 s16, exec_lo, s10
	s_cbranch_execz .LBB58_95
; %bb.90:
	v_mov_b32_e32 v12, 0x7fc00000
	s_mov_b32 s17, exec_lo
	v_cmpx_gt_u64_e32 0x81, v[21:22]
	s_cbranch_execz .LBB58_94
; %bb.91:
	v_dual_add_f32 v23, v24, v24 :: v_dual_mov_b32 v24, 1.0
	v_lshlrev_b64 v[21:22], 1, v[21:22]
	s_mov_b64 s[10:11], 2
	s_mov_b32 s18, 0
	s_delay_alu instid0(VALU_DEP_2)
	v_mov_b32_e32 v12, v23
	.p2align	6
.LBB58_92:                              ; =>This Inner Loop Header: Depth=1
	s_clz_i32_u32 s19, s11
	s_delay_alu instid0(SALU_CYCLE_1) | instskip(NEXT) | instid1(SALU_CYCLE_1)
	s_min_u32 s19, s19, 32
	s_lshl_b64 s[20:21], s[10:11], s19
	s_sub_i32 s19, 32, s19
	s_min_u32 s20, s20, 1
	s_delay_alu instid0(SALU_CYCLE_1) | instskip(SKIP_3) | instid1(SALU_CYCLE_1)
	s_or_b32 s20, s21, s20
	s_add_u32 s10, s10, 2
	v_cvt_f32_u32_e32 v49, s20
	s_addc_u32 s11, s11, 0
	v_cmp_ge_u64_e32 vcc_lo, s[10:11], v[21:22]
	s_delay_alu instid0(VALU_DEP_2) | instskip(SKIP_1) | instid1(VALU_DEP_1)
	v_ldexp_f32 v49, v49, s19
	s_or_b32 s18, vcc_lo, s18
	v_mul_f32_e32 v49, v24, v49
	v_mov_b32_e32 v24, v12
	s_delay_alu instid0(VALU_DEP_2)
	v_fma_f32 v12, v23, v12, -v49
	s_and_not1_b32 exec_lo, exec_lo, s18
	s_cbranch_execnz .LBB58_92
; %bb.93:
	s_or_b32 exec_lo, exec_lo, s18
.LBB58_94:
	s_delay_alu instid0(SALU_CYCLE_1)
	s_or_b32 exec_lo, exec_lo, s17
                                        ; implicit-def: $vgpr21_vgpr22_vgpr23_vgpr24
.LBB58_95:
	s_and_not1_saveexec_b32 s10, s16
; %bb.96:
	v_add_f32_e32 v12, v24, v24
; %bb.97:
	s_or_b32 exec_lo, exec_lo, s10
.LBB58_98:
	s_delay_alu instid0(SALU_CYCLE_1)
	s_or_b32 exec_lo, exec_lo, s14
.LBB58_99:
	s_delay_alu instid0(SALU_CYCLE_1) | instskip(SKIP_4) | instid1(VALU_DEP_2)
	s_or_b32 exec_lo, exec_lo, s13
	s_waitcnt vmcnt(5)
	v_cvt_f32_f16_e32 v21, v47
	v_cmp_class_f16_e64 vcc_lo, v47, 0x1f8
	s_mov_b32 s13, exec_lo
	v_cvt_i32_f32_e32 v21, v21
	s_delay_alu instid0(VALU_DEP_1) | instskip(NEXT) | instid1(VALU_DEP_1)
	v_ashrrev_i32_e32 v22, 31, v21
	v_dual_cndmask_b32 v23, -1, v22 :: v_dual_cndmask_b32 v22, -1, v21
	v_mov_b32_e32 v21, 0
	s_delay_alu instid0(VALU_DEP_2)
	v_cmpx_lt_i64_e32 -1, v[22:23]
	s_cbranch_execz .LBB58_111
; %bb.100:
	v_mov_b32_e32 v21, 1.0
	s_mov_b32 s14, exec_lo
	v_cmpx_lt_i64_e32 0, v[22:23]
	s_cbranch_execz .LBB58_110
; %bb.101:
                                        ; implicit-def: $vgpr21
	s_mov_b32 s10, exec_lo
	v_cmpx_ne_u64_e32 1, v[22:23]
	s_xor_b32 s16, exec_lo, s10
	s_cbranch_execz .LBB58_107
; %bb.102:
	v_mov_b32_e32 v21, 0x7fc00000
	s_mov_b32 s17, exec_lo
	v_cmpx_gt_u64_e32 0x81, v[22:23]
	s_cbranch_execz .LBB58_106
; %bb.103:
	v_dual_add_f32 v24, v25, v25 :: v_dual_mov_b32 v49, 1.0
	v_lshlrev_b64 v[22:23], 1, v[22:23]
	s_mov_b64 s[10:11], 2
	s_mov_b32 s18, 0
	s_delay_alu instid0(VALU_DEP_2)
	v_mov_b32_e32 v21, v24
	.p2align	6
.LBB58_104:                             ; =>This Inner Loop Header: Depth=1
	s_clz_i32_u32 s19, s11
	s_delay_alu instid0(SALU_CYCLE_1) | instskip(NEXT) | instid1(SALU_CYCLE_1)
	s_min_u32 s19, s19, 32
	s_lshl_b64 s[20:21], s[10:11], s19
	s_sub_i32 s19, 32, s19
	s_min_u32 s20, s20, 1
	s_delay_alu instid0(SALU_CYCLE_1) | instskip(SKIP_3) | instid1(SALU_CYCLE_1)
	s_or_b32 s20, s21, s20
	s_add_u32 s10, s10, 2
	v_cvt_f32_u32_e32 v50, s20
	s_addc_u32 s11, s11, 0
	v_cmp_ge_u64_e32 vcc_lo, s[10:11], v[22:23]
	s_delay_alu instid0(VALU_DEP_2) | instskip(SKIP_1) | instid1(VALU_DEP_1)
	v_ldexp_f32 v50, v50, s19
	s_or_b32 s18, vcc_lo, s18
	v_mul_f32_e32 v50, v49, v50
	v_mov_b32_e32 v49, v21
	s_delay_alu instid0(VALU_DEP_2)
	v_fma_f32 v21, v24, v21, -v50
	s_and_not1_b32 exec_lo, exec_lo, s18
	s_cbranch_execnz .LBB58_104
; %bb.105:
	s_or_b32 exec_lo, exec_lo, s18
.LBB58_106:
	s_delay_alu instid0(SALU_CYCLE_1)
	s_or_b32 exec_lo, exec_lo, s17
.LBB58_107:
	s_and_not1_saveexec_b32 s10, s16
; %bb.108:
	v_add_f32_e32 v21, v25, v25
; %bb.109:
	s_or_b32 exec_lo, exec_lo, s10
.LBB58_110:
	s_delay_alu instid0(SALU_CYCLE_1)
	s_or_b32 exec_lo, exec_lo, s14
.LBB58_111:
	s_delay_alu instid0(SALU_CYCLE_1) | instskip(SKIP_2) | instid1(VALU_DEP_1)
	s_or_b32 exec_lo, exec_lo, s13
	v_lshrrev_b32_e32 v22, 16, v47
	s_mov_b32 s13, exec_lo
	v_cvt_f32_f16_e32 v23, v22
	v_cmp_class_f16_e64 vcc_lo, v22, 0x1f8
	v_mov_b32_e32 v22, 0
	s_delay_alu instid0(VALU_DEP_3) | instskip(NEXT) | instid1(VALU_DEP_1)
	v_cvt_i32_f32_e32 v23, v23
	v_ashrrev_i32_e32 v24, 31, v23
	s_delay_alu instid0(VALU_DEP_1) | instskip(NEXT) | instid1(VALU_DEP_1)
	v_dual_cndmask_b32 v23, -1, v23 :: v_dual_cndmask_b32 v24, -1, v24
	v_cmpx_lt_i64_e32 -1, v[23:24]
	s_cbranch_execz .LBB58_123
; %bb.112:
	v_mov_b32_e32 v22, 1.0
	s_mov_b32 s14, exec_lo
	v_cmpx_lt_i64_e32 0, v[23:24]
	s_cbranch_execz .LBB58_122
; %bb.113:
	s_mov_b32 s10, exec_lo
	v_cmpx_ne_u64_e32 1, v[23:24]
	s_xor_b32 s16, exec_lo, s10
	s_cbranch_execz .LBB58_119
; %bb.114:
	v_mov_b32_e32 v22, 0x7fc00000
	s_mov_b32 s17, exec_lo
	v_cmpx_gt_u64_e32 0x81, v[23:24]
	s_cbranch_execz .LBB58_118
; %bb.115:
	v_add_f32_e32 v25, v26, v26
	v_lshlrev_b64 v[23:24], 1, v[23:24]
	v_mov_b32_e32 v47, 1.0
	s_mov_b64 s[10:11], 2
	s_mov_b32 s18, 0
	v_mov_b32_e32 v22, v25
	.p2align	6
.LBB58_116:                             ; =>This Inner Loop Header: Depth=1
	s_clz_i32_u32 s19, s11
	s_delay_alu instid0(SALU_CYCLE_1) | instskip(NEXT) | instid1(SALU_CYCLE_1)
	s_min_u32 s19, s19, 32
	s_lshl_b64 s[20:21], s[10:11], s19
	s_sub_i32 s19, 32, s19
	s_min_u32 s20, s20, 1
	s_delay_alu instid0(SALU_CYCLE_1) | instskip(SKIP_3) | instid1(SALU_CYCLE_1)
	s_or_b32 s20, s21, s20
	s_add_u32 s10, s10, 2
	v_cvt_f32_u32_e32 v49, s20
	s_addc_u32 s11, s11, 0
	v_cmp_ge_u64_e32 vcc_lo, s[10:11], v[23:24]
	s_delay_alu instid0(VALU_DEP_2) | instskip(SKIP_1) | instid1(VALU_DEP_1)
	v_ldexp_f32 v49, v49, s19
	s_or_b32 s18, vcc_lo, s18
	v_mul_f32_e32 v49, v47, v49
	v_mov_b32_e32 v47, v22
	s_delay_alu instid0(VALU_DEP_2)
	v_fma_f32 v22, v25, v22, -v49
	s_and_not1_b32 exec_lo, exec_lo, s18
	s_cbranch_execnz .LBB58_116
; %bb.117:
	s_or_b32 exec_lo, exec_lo, s18
.LBB58_118:
	s_delay_alu instid0(SALU_CYCLE_1)
	s_or_b32 exec_lo, exec_lo, s17
.LBB58_119:
	s_and_not1_saveexec_b32 s10, s16
; %bb.120:
	v_add_f32_e32 v22, v26, v26
; %bb.121:
	s_or_b32 exec_lo, exec_lo, s10
.LBB58_122:
	s_delay_alu instid0(SALU_CYCLE_1)
	s_or_b32 exec_lo, exec_lo, s14
.LBB58_123:
	s_delay_alu instid0(SALU_CYCLE_1) | instskip(SKIP_3) | instid1(VALU_DEP_2)
	s_or_b32 exec_lo, exec_lo, s13
	v_cvt_f32_f16_e32 v23, v48
	v_cmp_class_f16_e64 vcc_lo, v48, 0x1f8
	s_mov_b32 s13, exec_lo
	v_cvt_i32_f32_e32 v23, v23
	s_delay_alu instid0(VALU_DEP_1) | instskip(NEXT) | instid1(VALU_DEP_1)
	v_ashrrev_i32_e32 v24, 31, v23
	v_dual_cndmask_b32 v25, -1, v24 :: v_dual_cndmask_b32 v24, -1, v23
	v_mov_b32_e32 v23, 0
	s_delay_alu instid0(VALU_DEP_2)
	v_cmpx_lt_i64_e32 -1, v[24:25]
	s_cbranch_execz .LBB58_135
; %bb.124:
	v_mov_b32_e32 v23, 1.0
	s_mov_b32 s14, exec_lo
	v_cmpx_lt_i64_e32 0, v[24:25]
	s_cbranch_execz .LBB58_134
; %bb.125:
	s_mov_b32 s10, exec_lo
	v_cmpx_ne_u64_e32 1, v[24:25]
	s_xor_b32 s16, exec_lo, s10
	s_cbranch_execz .LBB58_131
; %bb.126:
	v_mov_b32_e32 v23, 0x7fc00000
	s_mov_b32 s17, exec_lo
	v_cmpx_gt_u64_e32 0x81, v[24:25]
	s_cbranch_execz .LBB58_130
; %bb.127:
	v_dual_add_f32 v26, v27, v27 :: v_dual_mov_b32 v47, 1.0
	v_lshlrev_b64 v[24:25], 1, v[24:25]
	s_mov_b64 s[10:11], 2
	s_mov_b32 s18, 0
	s_delay_alu instid0(VALU_DEP_2)
	v_mov_b32_e32 v23, v26
	.p2align	6
.LBB58_128:                             ; =>This Inner Loop Header: Depth=1
	s_clz_i32_u32 s19, s11
	s_delay_alu instid0(SALU_CYCLE_1) | instskip(NEXT) | instid1(SALU_CYCLE_1)
	s_min_u32 s19, s19, 32
	s_lshl_b64 s[20:21], s[10:11], s19
	s_sub_i32 s19, 32, s19
	s_min_u32 s20, s20, 1
	s_delay_alu instid0(SALU_CYCLE_1) | instskip(SKIP_3) | instid1(SALU_CYCLE_1)
	s_or_b32 s20, s21, s20
	s_add_u32 s10, s10, 2
	v_cvt_f32_u32_e32 v49, s20
	s_addc_u32 s11, s11, 0
	v_cmp_ge_u64_e32 vcc_lo, s[10:11], v[24:25]
	s_delay_alu instid0(VALU_DEP_2) | instskip(SKIP_1) | instid1(VALU_DEP_1)
	v_ldexp_f32 v49, v49, s19
	s_or_b32 s18, vcc_lo, s18
	v_mul_f32_e32 v49, v47, v49
	v_mov_b32_e32 v47, v23
	s_delay_alu instid0(VALU_DEP_2)
	v_fma_f32 v23, v26, v23, -v49
	s_and_not1_b32 exec_lo, exec_lo, s18
	s_cbranch_execnz .LBB58_128
; %bb.129:
	s_or_b32 exec_lo, exec_lo, s18
.LBB58_130:
	s_delay_alu instid0(SALU_CYCLE_1)
	s_or_b32 exec_lo, exec_lo, s17
.LBB58_131:
	s_and_not1_saveexec_b32 s10, s16
; %bb.132:
	v_add_f32_e32 v23, v27, v27
; %bb.133:
	s_or_b32 exec_lo, exec_lo, s10
.LBB58_134:
	s_delay_alu instid0(SALU_CYCLE_1)
	s_or_b32 exec_lo, exec_lo, s14
.LBB58_135:
	s_delay_alu instid0(SALU_CYCLE_1) | instskip(SKIP_2) | instid1(VALU_DEP_1)
	s_or_b32 exec_lo, exec_lo, s13
	v_lshrrev_b32_e32 v24, 16, v48
	s_mov_b32 s13, exec_lo
	v_cvt_f32_f16_e32 v25, v24
	v_cmp_class_f16_e64 vcc_lo, v24, 0x1f8
	v_mov_b32_e32 v24, 0
	s_delay_alu instid0(VALU_DEP_3) | instskip(NEXT) | instid1(VALU_DEP_1)
	v_cvt_i32_f32_e32 v25, v25
	v_ashrrev_i32_e32 v26, 31, v25
	s_delay_alu instid0(VALU_DEP_1) | instskip(NEXT) | instid1(VALU_DEP_1)
	v_dual_cndmask_b32 v25, -1, v25 :: v_dual_cndmask_b32 v26, -1, v26
	v_cmpx_lt_i64_e32 -1, v[25:26]
	s_cbranch_execz .LBB58_147
; %bb.136:
	v_mov_b32_e32 v24, 1.0
	s_mov_b32 s14, exec_lo
	v_cmpx_lt_i64_e32 0, v[25:26]
	s_cbranch_execz .LBB58_146
; %bb.137:
	s_mov_b32 s10, exec_lo
	v_cmpx_ne_u64_e32 1, v[25:26]
	s_xor_b32 s16, exec_lo, s10
	s_cbranch_execz .LBB58_143
; %bb.138:
	v_mov_b32_e32 v24, 0x7fc00000
	s_mov_b32 s17, exec_lo
	v_cmpx_gt_u64_e32 0x81, v[25:26]
	s_cbranch_execz .LBB58_142
; %bb.139:
	v_dual_add_f32 v27, v28, v28 :: v_dual_mov_b32 v28, 1.0
	v_lshlrev_b64 v[25:26], 1, v[25:26]
	s_mov_b64 s[10:11], 2
	s_mov_b32 s18, 0
	s_delay_alu instid0(VALU_DEP_2)
	v_mov_b32_e32 v24, v27
	.p2align	6
.LBB58_140:                             ; =>This Inner Loop Header: Depth=1
	s_clz_i32_u32 s19, s11
	s_delay_alu instid0(SALU_CYCLE_1) | instskip(NEXT) | instid1(SALU_CYCLE_1)
	s_min_u32 s19, s19, 32
	s_lshl_b64 s[20:21], s[10:11], s19
	s_sub_i32 s19, 32, s19
	s_min_u32 s20, s20, 1
	s_delay_alu instid0(SALU_CYCLE_1) | instskip(SKIP_3) | instid1(SALU_CYCLE_1)
	s_or_b32 s20, s21, s20
	s_add_u32 s10, s10, 2
	v_cvt_f32_u32_e32 v47, s20
	s_addc_u32 s11, s11, 0
	v_cmp_ge_u64_e32 vcc_lo, s[10:11], v[25:26]
	s_delay_alu instid0(VALU_DEP_2) | instskip(SKIP_1) | instid1(VALU_DEP_1)
	v_ldexp_f32 v47, v47, s19
	s_or_b32 s18, vcc_lo, s18
	v_mul_f32_e32 v47, v28, v47
	v_mov_b32_e32 v28, v24
	s_delay_alu instid0(VALU_DEP_2)
	v_fma_f32 v24, v27, v24, -v47
	s_and_not1_b32 exec_lo, exec_lo, s18
	s_cbranch_execnz .LBB58_140
; %bb.141:
	s_or_b32 exec_lo, exec_lo, s18
.LBB58_142:
	s_delay_alu instid0(SALU_CYCLE_1)
	s_or_b32 exec_lo, exec_lo, s17
                                        ; implicit-def: $vgpr25_vgpr26_vgpr27_vgpr28
.LBB58_143:
	s_and_not1_saveexec_b32 s10, s16
; %bb.144:
	v_add_f32_e32 v24, v28, v28
; %bb.145:
	s_or_b32 exec_lo, exec_lo, s10
.LBB58_146:
	s_delay_alu instid0(SALU_CYCLE_1)
	s_or_b32 exec_lo, exec_lo, s14
.LBB58_147:
	s_delay_alu instid0(SALU_CYCLE_1) | instskip(SKIP_4) | instid1(VALU_DEP_2)
	s_or_b32 exec_lo, exec_lo, s13
	s_waitcnt vmcnt(4)
	v_cvt_f32_f16_e32 v25, v45
	v_cmp_class_f16_e64 vcc_lo, v45, 0x1f8
	s_mov_b32 s13, exec_lo
	v_cvt_i32_f32_e32 v25, v25
	s_delay_alu instid0(VALU_DEP_1) | instskip(NEXT) | instid1(VALU_DEP_1)
	v_ashrrev_i32_e32 v26, 31, v25
	v_dual_cndmask_b32 v27, -1, v26 :: v_dual_cndmask_b32 v26, -1, v25
	v_mov_b32_e32 v25, 0
	s_delay_alu instid0(VALU_DEP_2)
	v_cmpx_lt_i64_e32 -1, v[26:27]
	s_cbranch_execz .LBB58_159
; %bb.148:
	v_mov_b32_e32 v25, 1.0
	s_mov_b32 s14, exec_lo
	v_cmpx_lt_i64_e32 0, v[26:27]
	s_cbranch_execz .LBB58_158
; %bb.149:
                                        ; implicit-def: $vgpr25
	s_mov_b32 s10, exec_lo
	v_cmpx_ne_u64_e32 1, v[26:27]
	s_xor_b32 s16, exec_lo, s10
	s_cbranch_execz .LBB58_155
; %bb.150:
	v_mov_b32_e32 v25, 0x7fc00000
	s_mov_b32 s17, exec_lo
	v_cmpx_gt_u64_e32 0x81, v[26:27]
	s_cbranch_execz .LBB58_154
; %bb.151:
	v_dual_add_f32 v28, v33, v33 :: v_dual_mov_b32 v47, 1.0
	v_lshlrev_b64 v[26:27], 1, v[26:27]
	s_mov_b64 s[10:11], 2
	s_mov_b32 s18, 0
	s_delay_alu instid0(VALU_DEP_2)
	v_mov_b32_e32 v25, v28
	.p2align	6
.LBB58_152:                             ; =>This Inner Loop Header: Depth=1
	s_clz_i32_u32 s19, s11
	s_delay_alu instid0(SALU_CYCLE_1) | instskip(NEXT) | instid1(SALU_CYCLE_1)
	s_min_u32 s19, s19, 32
	s_lshl_b64 s[20:21], s[10:11], s19
	s_sub_i32 s19, 32, s19
	s_min_u32 s20, s20, 1
	s_delay_alu instid0(SALU_CYCLE_1) | instskip(SKIP_3) | instid1(SALU_CYCLE_1)
	s_or_b32 s20, s21, s20
	s_add_u32 s10, s10, 2
	v_cvt_f32_u32_e32 v48, s20
	s_addc_u32 s11, s11, 0
	v_cmp_ge_u64_e32 vcc_lo, s[10:11], v[26:27]
	s_delay_alu instid0(VALU_DEP_2) | instskip(SKIP_1) | instid1(VALU_DEP_1)
	v_ldexp_f32 v48, v48, s19
	s_or_b32 s18, vcc_lo, s18
	v_dual_mul_f32 v48, v47, v48 :: v_dual_mov_b32 v47, v25
	s_delay_alu instid0(VALU_DEP_1)
	v_fma_f32 v25, v28, v25, -v48
	s_and_not1_b32 exec_lo, exec_lo, s18
	s_cbranch_execnz .LBB58_152
; %bb.153:
	s_or_b32 exec_lo, exec_lo, s18
.LBB58_154:
	s_delay_alu instid0(SALU_CYCLE_1)
	s_or_b32 exec_lo, exec_lo, s17
.LBB58_155:
	s_and_not1_saveexec_b32 s10, s16
; %bb.156:
	v_add_f32_e32 v25, v33, v33
; %bb.157:
	s_or_b32 exec_lo, exec_lo, s10
.LBB58_158:
	s_delay_alu instid0(SALU_CYCLE_1)
	s_or_b32 exec_lo, exec_lo, s14
.LBB58_159:
	s_delay_alu instid0(SALU_CYCLE_1) | instskip(SKIP_2) | instid1(VALU_DEP_1)
	s_or_b32 exec_lo, exec_lo, s13
	v_lshrrev_b32_e32 v26, 16, v45
	s_mov_b32 s13, exec_lo
	v_cvt_f32_f16_e32 v27, v26
	v_cmp_class_f16_e64 vcc_lo, v26, 0x1f8
	v_mov_b32_e32 v26, 0
	s_delay_alu instid0(VALU_DEP_3) | instskip(NEXT) | instid1(VALU_DEP_1)
	v_cvt_i32_f32_e32 v27, v27
	v_ashrrev_i32_e32 v28, 31, v27
	s_delay_alu instid0(VALU_DEP_1) | instskip(NEXT) | instid1(VALU_DEP_1)
	v_dual_cndmask_b32 v27, -1, v27 :: v_dual_cndmask_b32 v28, -1, v28
	v_cmpx_lt_i64_e32 -1, v[27:28]
	s_cbranch_execz .LBB58_171
; %bb.160:
	v_mov_b32_e32 v26, 1.0
	s_mov_b32 s14, exec_lo
	v_cmpx_lt_i64_e32 0, v[27:28]
	s_cbranch_execz .LBB58_170
; %bb.161:
	s_mov_b32 s10, exec_lo
	v_cmpx_ne_u64_e32 1, v[27:28]
	s_xor_b32 s16, exec_lo, s10
	s_cbranch_execz .LBB58_167
; %bb.162:
	v_mov_b32_e32 v26, 0x7fc00000
	s_mov_b32 s17, exec_lo
	v_cmpx_gt_u64_e32 0x81, v[27:28]
	s_cbranch_execz .LBB58_166
; %bb.163:
	v_add_f32_e32 v33, v34, v34
	v_lshlrev_b64 v[27:28], 1, v[27:28]
	v_mov_b32_e32 v45, 1.0
	s_mov_b64 s[10:11], 2
	s_mov_b32 s18, 0
	v_mov_b32_e32 v26, v33
	.p2align	6
.LBB58_164:                             ; =>This Inner Loop Header: Depth=1
	s_clz_i32_u32 s19, s11
	s_delay_alu instid0(SALU_CYCLE_1) | instskip(NEXT) | instid1(SALU_CYCLE_1)
	s_min_u32 s19, s19, 32
	s_lshl_b64 s[20:21], s[10:11], s19
	s_sub_i32 s19, 32, s19
	s_min_u32 s20, s20, 1
	s_delay_alu instid0(SALU_CYCLE_1) | instskip(SKIP_3) | instid1(SALU_CYCLE_1)
	s_or_b32 s20, s21, s20
	s_add_u32 s10, s10, 2
	v_cvt_f32_u32_e32 v47, s20
	s_addc_u32 s11, s11, 0
	v_cmp_ge_u64_e32 vcc_lo, s[10:11], v[27:28]
	s_delay_alu instid0(VALU_DEP_2) | instskip(SKIP_1) | instid1(VALU_DEP_1)
	v_ldexp_f32 v47, v47, s19
	s_or_b32 s18, vcc_lo, s18
	v_mul_f32_e32 v47, v45, v47
	v_mov_b32_e32 v45, v26
	s_delay_alu instid0(VALU_DEP_2)
	v_fma_f32 v26, v33, v26, -v47
	s_and_not1_b32 exec_lo, exec_lo, s18
	s_cbranch_execnz .LBB58_164
; %bb.165:
	s_or_b32 exec_lo, exec_lo, s18
.LBB58_166:
	s_delay_alu instid0(SALU_CYCLE_1)
	s_or_b32 exec_lo, exec_lo, s17
.LBB58_167:
	s_and_not1_saveexec_b32 s10, s16
; %bb.168:
	v_add_f32_e32 v26, v34, v34
; %bb.169:
	s_or_b32 exec_lo, exec_lo, s10
.LBB58_170:
	s_delay_alu instid0(SALU_CYCLE_1)
	s_or_b32 exec_lo, exec_lo, s14
.LBB58_171:
	s_delay_alu instid0(SALU_CYCLE_1) | instskip(SKIP_3) | instid1(VALU_DEP_2)
	s_or_b32 exec_lo, exec_lo, s13
	v_cvt_f32_f16_e32 v27, v46
	v_cmp_class_f16_e64 vcc_lo, v46, 0x1f8
	s_mov_b32 s13, exec_lo
	v_cvt_i32_f32_e32 v27, v27
	s_delay_alu instid0(VALU_DEP_1) | instskip(SKIP_1) | instid1(VALU_DEP_2)
	v_ashrrev_i32_e32 v28, 31, v27
	v_cndmask_b32_e32 v33, -1, v27, vcc_lo
	v_dual_mov_b32 v27, 0 :: v_dual_cndmask_b32 v34, -1, v28
	s_delay_alu instid0(VALU_DEP_1)
	v_cmpx_lt_i64_e32 -1, v[33:34]
	s_cbranch_execz .LBB58_183
; %bb.172:
	v_mov_b32_e32 v27, 1.0
	s_mov_b32 s14, exec_lo
	v_cmpx_lt_i64_e32 0, v[33:34]
	s_cbranch_execz .LBB58_182
; %bb.173:
	s_mov_b32 s10, exec_lo
	v_cmpx_ne_u64_e32 1, v[33:34]
	s_xor_b32 s16, exec_lo, s10
	s_cbranch_execz .LBB58_179
; %bb.174:
	v_mov_b32_e32 v27, 0x7fc00000
	s_mov_b32 s17, exec_lo
	v_cmpx_gt_u64_e32 0x81, v[33:34]
	s_cbranch_execz .LBB58_178
; %bb.175:
	v_dual_add_f32 v28, v35, v35 :: v_dual_mov_b32 v45, 1.0
	v_lshlrev_b64 v[33:34], 1, v[33:34]
	s_mov_b64 s[10:11], 2
	s_mov_b32 s18, 0
	s_delay_alu instid0(VALU_DEP_2)
	v_mov_b32_e32 v27, v28
	.p2align	6
.LBB58_176:                             ; =>This Inner Loop Header: Depth=1
	s_clz_i32_u32 s19, s11
	s_delay_alu instid0(SALU_CYCLE_1) | instskip(NEXT) | instid1(SALU_CYCLE_1)
	s_min_u32 s19, s19, 32
	s_lshl_b64 s[20:21], s[10:11], s19
	s_sub_i32 s19, 32, s19
	s_min_u32 s20, s20, 1
	s_delay_alu instid0(SALU_CYCLE_1) | instskip(SKIP_3) | instid1(SALU_CYCLE_1)
	s_or_b32 s20, s21, s20
	s_add_u32 s10, s10, 2
	v_cvt_f32_u32_e32 v47, s20
	s_addc_u32 s11, s11, 0
	v_cmp_ge_u64_e32 vcc_lo, s[10:11], v[33:34]
	s_delay_alu instid0(VALU_DEP_2) | instskip(SKIP_1) | instid1(VALU_DEP_1)
	v_ldexp_f32 v47, v47, s19
	s_or_b32 s18, vcc_lo, s18
	v_mul_f32_e32 v47, v45, v47
	v_mov_b32_e32 v45, v27
	s_delay_alu instid0(VALU_DEP_2)
	v_fma_f32 v27, v28, v27, -v47
	s_and_not1_b32 exec_lo, exec_lo, s18
	s_cbranch_execnz .LBB58_176
; %bb.177:
	s_or_b32 exec_lo, exec_lo, s18
.LBB58_178:
	s_delay_alu instid0(SALU_CYCLE_1)
	s_or_b32 exec_lo, exec_lo, s17
.LBB58_179:
	s_and_not1_saveexec_b32 s10, s16
; %bb.180:
	v_add_f32_e32 v27, v35, v35
; %bb.181:
	s_or_b32 exec_lo, exec_lo, s10
.LBB58_182:
	s_delay_alu instid0(SALU_CYCLE_1)
	s_or_b32 exec_lo, exec_lo, s14
.LBB58_183:
	s_delay_alu instid0(SALU_CYCLE_1) | instskip(SKIP_2) | instid1(VALU_DEP_1)
	s_or_b32 exec_lo, exec_lo, s13
	v_lshrrev_b32_e32 v28, 16, v46
	s_mov_b32 s13, exec_lo
	v_cvt_f32_f16_e32 v33, v28
	v_cmp_class_f16_e64 vcc_lo, v28, 0x1f8
	v_mov_b32_e32 v28, 0
	s_delay_alu instid0(VALU_DEP_3) | instskip(NEXT) | instid1(VALU_DEP_1)
	v_cvt_i32_f32_e32 v33, v33
	v_ashrrev_i32_e32 v34, 31, v33
	s_delay_alu instid0(VALU_DEP_1) | instskip(NEXT) | instid1(VALU_DEP_1)
	v_dual_cndmask_b32 v33, -1, v33 :: v_dual_cndmask_b32 v34, -1, v34
	v_cmpx_lt_i64_e32 -1, v[33:34]
	s_cbranch_execz .LBB58_195
; %bb.184:
	v_mov_b32_e32 v28, 1.0
	s_mov_b32 s14, exec_lo
	v_cmpx_lt_i64_e32 0, v[33:34]
	s_cbranch_execz .LBB58_194
; %bb.185:
	s_mov_b32 s10, exec_lo
	v_cmpx_ne_u64_e32 1, v[33:34]
	s_xor_b32 s16, exec_lo, s10
	s_cbranch_execz .LBB58_191
; %bb.186:
	v_mov_b32_e32 v28, 0x7fc00000
	s_mov_b32 s17, exec_lo
	v_cmpx_gt_u64_e32 0x81, v[33:34]
	s_cbranch_execz .LBB58_190
; %bb.187:
	v_dual_add_f32 v35, v36, v36 :: v_dual_mov_b32 v36, 1.0
	v_lshlrev_b64 v[33:34], 1, v[33:34]
	s_mov_b64 s[10:11], 2
	s_mov_b32 s18, 0
	s_delay_alu instid0(VALU_DEP_2)
	v_mov_b32_e32 v28, v35
	.p2align	6
.LBB58_188:                             ; =>This Inner Loop Header: Depth=1
	s_clz_i32_u32 s19, s11
	s_delay_alu instid0(SALU_CYCLE_1) | instskip(NEXT) | instid1(SALU_CYCLE_1)
	s_min_u32 s19, s19, 32
	s_lshl_b64 s[20:21], s[10:11], s19
	s_sub_i32 s19, 32, s19
	s_min_u32 s20, s20, 1
	s_delay_alu instid0(SALU_CYCLE_1) | instskip(SKIP_3) | instid1(SALU_CYCLE_1)
	s_or_b32 s20, s21, s20
	s_add_u32 s10, s10, 2
	v_cvt_f32_u32_e32 v45, s20
	s_addc_u32 s11, s11, 0
	v_cmp_ge_u64_e32 vcc_lo, s[10:11], v[33:34]
	s_delay_alu instid0(VALU_DEP_2) | instskip(SKIP_1) | instid1(VALU_DEP_1)
	v_ldexp_f32 v45, v45, s19
	s_or_b32 s18, vcc_lo, s18
	v_mul_f32_e32 v45, v36, v45
	v_mov_b32_e32 v36, v28
	s_delay_alu instid0(VALU_DEP_2)
	v_fma_f32 v28, v35, v28, -v45
	s_and_not1_b32 exec_lo, exec_lo, s18
	s_cbranch_execnz .LBB58_188
; %bb.189:
	s_or_b32 exec_lo, exec_lo, s18
.LBB58_190:
	s_delay_alu instid0(SALU_CYCLE_1)
	s_or_b32 exec_lo, exec_lo, s17
                                        ; implicit-def: $vgpr33_vgpr34_vgpr35_vgpr36
.LBB58_191:
	s_and_not1_saveexec_b32 s10, s16
; %bb.192:
	v_add_f32_e32 v28, v36, v36
; %bb.193:
	s_or_b32 exec_lo, exec_lo, s10
.LBB58_194:
	s_delay_alu instid0(SALU_CYCLE_1)
	s_or_b32 exec_lo, exec_lo, s14
.LBB58_195:
	s_delay_alu instid0(SALU_CYCLE_1) | instskip(SKIP_4) | instid1(VALU_DEP_2)
	s_or_b32 exec_lo, exec_lo, s13
	s_waitcnt vmcnt(3)
	v_cvt_f32_f16_e32 v33, v43
	v_cmp_class_f16_e64 vcc_lo, v43, 0x1f8
	s_mov_b32 s13, exec_lo
	v_cvt_i32_f32_e32 v33, v33
	s_delay_alu instid0(VALU_DEP_1) | instskip(NEXT) | instid1(VALU_DEP_1)
	v_ashrrev_i32_e32 v34, 31, v33
	v_dual_cndmask_b32 v35, -1, v34 :: v_dual_cndmask_b32 v34, -1, v33
	v_mov_b32_e32 v33, 0
	s_delay_alu instid0(VALU_DEP_2)
	v_cmpx_lt_i64_e32 -1, v[34:35]
	s_cbranch_execz .LBB58_207
; %bb.196:
	v_mov_b32_e32 v33, 1.0
	s_mov_b32 s14, exec_lo
	v_cmpx_lt_i64_e32 0, v[34:35]
	s_cbranch_execz .LBB58_206
; %bb.197:
                                        ; implicit-def: $vgpr33
	s_mov_b32 s10, exec_lo
	v_cmpx_ne_u64_e32 1, v[34:35]
	s_xor_b32 s16, exec_lo, s10
	s_cbranch_execz .LBB58_203
; %bb.198:
	v_mov_b32_e32 v33, 0x7fc00000
	s_mov_b32 s17, exec_lo
	v_cmpx_gt_u64_e32 0x81, v[34:35]
	s_cbranch_execz .LBB58_202
; %bb.199:
	v_dual_add_f32 v36, v29, v29 :: v_dual_mov_b32 v45, 1.0
	v_lshlrev_b64 v[34:35], 1, v[34:35]
	s_mov_b64 s[10:11], 2
	s_mov_b32 s18, 0
	s_delay_alu instid0(VALU_DEP_2)
	v_mov_b32_e32 v33, v36
	.p2align	6
.LBB58_200:                             ; =>This Inner Loop Header: Depth=1
	s_clz_i32_u32 s19, s11
	s_delay_alu instid0(SALU_CYCLE_1) | instskip(NEXT) | instid1(SALU_CYCLE_1)
	s_min_u32 s19, s19, 32
	s_lshl_b64 s[20:21], s[10:11], s19
	s_sub_i32 s19, 32, s19
	s_min_u32 s20, s20, 1
	s_delay_alu instid0(SALU_CYCLE_1) | instskip(SKIP_3) | instid1(SALU_CYCLE_1)
	s_or_b32 s20, s21, s20
	s_add_u32 s10, s10, 2
	v_cvt_f32_u32_e32 v46, s20
	s_addc_u32 s11, s11, 0
	v_cmp_ge_u64_e32 vcc_lo, s[10:11], v[34:35]
	s_delay_alu instid0(VALU_DEP_2) | instskip(SKIP_1) | instid1(VALU_DEP_1)
	v_ldexp_f32 v46, v46, s19
	s_or_b32 s18, vcc_lo, s18
	v_mul_f32_e32 v46, v45, v46
	v_mov_b32_e32 v45, v33
	s_delay_alu instid0(VALU_DEP_2)
	v_fma_f32 v33, v36, v33, -v46
	s_and_not1_b32 exec_lo, exec_lo, s18
	s_cbranch_execnz .LBB58_200
; %bb.201:
	s_or_b32 exec_lo, exec_lo, s18
.LBB58_202:
	s_delay_alu instid0(SALU_CYCLE_1)
	s_or_b32 exec_lo, exec_lo, s17
.LBB58_203:
	s_and_not1_saveexec_b32 s10, s16
; %bb.204:
	v_add_f32_e32 v33, v29, v29
; %bb.205:
	s_or_b32 exec_lo, exec_lo, s10
.LBB58_206:
	s_delay_alu instid0(SALU_CYCLE_1)
	s_or_b32 exec_lo, exec_lo, s14
.LBB58_207:
	s_delay_alu instid0(SALU_CYCLE_1) | instskip(SKIP_2) | instid1(VALU_DEP_1)
	s_or_b32 exec_lo, exec_lo, s13
	v_lshrrev_b32_e32 v29, 16, v43
	s_mov_b32 s13, exec_lo
	v_cvt_f32_f16_e32 v34, v29
	v_cmp_class_f16_e64 vcc_lo, v29, 0x1f8
	s_delay_alu instid0(VALU_DEP_2) | instskip(NEXT) | instid1(VALU_DEP_1)
	v_cvt_i32_f32_e32 v34, v34
	v_ashrrev_i32_e32 v35, 31, v34
	s_delay_alu instid0(VALU_DEP_1) | instskip(SKIP_1) | instid1(VALU_DEP_2)
	v_dual_cndmask_b32 v36, -1, v35 :: v_dual_cndmask_b32 v35, -1, v34
	v_mov_b32_e32 v34, 0
	v_cmpx_lt_i64_e32 -1, v[35:36]
	s_cbranch_execz .LBB58_219
; %bb.208:
	v_mov_b32_e32 v34, 1.0
	s_mov_b32 s14, exec_lo
	v_cmpx_lt_i64_e32 0, v[35:36]
	s_cbranch_execz .LBB58_218
; %bb.209:
	s_mov_b32 s10, exec_lo
	v_cmpx_ne_u64_e32 1, v[35:36]
	s_xor_b32 s16, exec_lo, s10
	s_cbranch_execz .LBB58_215
; %bb.210:
	v_mov_b32_e32 v34, 0x7fc00000
	s_mov_b32 s17, exec_lo
	v_cmpx_gt_u64_e32 0x81, v[35:36]
	s_cbranch_execz .LBB58_214
; %bb.211:
	v_add_f32_e32 v29, v30, v30
	v_lshlrev_b64 v[35:36], 1, v[35:36]
	v_mov_b32_e32 v43, 1.0
	s_mov_b64 s[10:11], 2
	s_mov_b32 s18, 0
	v_mov_b32_e32 v34, v29
	.p2align	6
.LBB58_212:                             ; =>This Inner Loop Header: Depth=1
	s_clz_i32_u32 s19, s11
	s_delay_alu instid0(SALU_CYCLE_1) | instskip(NEXT) | instid1(SALU_CYCLE_1)
	s_min_u32 s19, s19, 32
	s_lshl_b64 s[20:21], s[10:11], s19
	s_sub_i32 s19, 32, s19
	s_min_u32 s20, s20, 1
	s_delay_alu instid0(SALU_CYCLE_1) | instskip(SKIP_3) | instid1(SALU_CYCLE_1)
	s_or_b32 s20, s21, s20
	s_add_u32 s10, s10, 2
	v_cvt_f32_u32_e32 v45, s20
	s_addc_u32 s11, s11, 0
	v_cmp_ge_u64_e32 vcc_lo, s[10:11], v[35:36]
	s_delay_alu instid0(VALU_DEP_2) | instskip(SKIP_1) | instid1(VALU_DEP_1)
	v_ldexp_f32 v45, v45, s19
	s_or_b32 s18, vcc_lo, s18
	v_mul_f32_e32 v45, v43, v45
	v_mov_b32_e32 v43, v34
	s_delay_alu instid0(VALU_DEP_2)
	v_fma_f32 v34, v29, v34, -v45
	s_and_not1_b32 exec_lo, exec_lo, s18
	s_cbranch_execnz .LBB58_212
; %bb.213:
	s_or_b32 exec_lo, exec_lo, s18
.LBB58_214:
	s_delay_alu instid0(SALU_CYCLE_1)
	s_or_b32 exec_lo, exec_lo, s17
.LBB58_215:
	s_and_not1_saveexec_b32 s10, s16
; %bb.216:
	v_add_f32_e32 v34, v30, v30
; %bb.217:
	s_or_b32 exec_lo, exec_lo, s10
.LBB58_218:
	s_delay_alu instid0(SALU_CYCLE_1)
	s_or_b32 exec_lo, exec_lo, s14
.LBB58_219:
	s_delay_alu instid0(SALU_CYCLE_1) | instskip(SKIP_4) | instid1(VALU_DEP_3)
	s_or_b32 exec_lo, exec_lo, s13
	v_cvt_f32_f16_e32 v29, v44
	v_cmp_class_f16_e64 vcc_lo, v44, 0x1f8
	v_mov_b32_e32 v35, 0
	s_mov_b32 s13, exec_lo
	v_cvt_i32_f32_e32 v29, v29
	s_delay_alu instid0(VALU_DEP_1) | instskip(NEXT) | instid1(VALU_DEP_1)
	v_ashrrev_i32_e32 v30, 31, v29
	v_dual_cndmask_b32 v29, -1, v29 :: v_dual_cndmask_b32 v30, -1, v30
	s_delay_alu instid0(VALU_DEP_1)
	v_cmpx_lt_i64_e32 -1, v[29:30]
	s_cbranch_execz .LBB58_231
; %bb.220:
	v_mov_b32_e32 v35, 1.0
	s_mov_b32 s14, exec_lo
	v_cmpx_lt_i64_e32 0, v[29:30]
	s_cbranch_execz .LBB58_230
; %bb.221:
	s_mov_b32 s10, exec_lo
	v_cmpx_ne_u64_e32 1, v[29:30]
	s_xor_b32 s16, exec_lo, s10
	s_cbranch_execz .LBB58_227
; %bb.222:
	v_mov_b32_e32 v35, 0x7fc00000
	s_mov_b32 s17, exec_lo
	v_cmpx_gt_u64_e32 0x81, v[29:30]
	s_cbranch_execz .LBB58_226
; %bb.223:
	v_dual_add_f32 v36, v31, v31 :: v_dual_mov_b32 v43, 1.0
	v_lshlrev_b64 v[29:30], 1, v[29:30]
	s_mov_b64 s[10:11], 2
	s_mov_b32 s18, 0
	s_delay_alu instid0(VALU_DEP_2)
	v_mov_b32_e32 v35, v36
	.p2align	6
.LBB58_224:                             ; =>This Inner Loop Header: Depth=1
	s_clz_i32_u32 s19, s11
	s_delay_alu instid0(SALU_CYCLE_1) | instskip(NEXT) | instid1(SALU_CYCLE_1)
	s_min_u32 s19, s19, 32
	s_lshl_b64 s[20:21], s[10:11], s19
	s_sub_i32 s19, 32, s19
	s_min_u32 s20, s20, 1
	s_delay_alu instid0(SALU_CYCLE_1) | instskip(SKIP_3) | instid1(SALU_CYCLE_1)
	s_or_b32 s20, s21, s20
	s_add_u32 s10, s10, 2
	v_cvt_f32_u32_e32 v45, s20
	s_addc_u32 s11, s11, 0
	v_cmp_ge_u64_e32 vcc_lo, s[10:11], v[29:30]
	s_delay_alu instid0(VALU_DEP_2) | instskip(SKIP_1) | instid1(VALU_DEP_1)
	v_ldexp_f32 v45, v45, s19
	s_or_b32 s18, vcc_lo, s18
	v_mul_f32_e32 v45, v43, v45
	v_mov_b32_e32 v43, v35
	s_delay_alu instid0(VALU_DEP_2)
	v_fma_f32 v35, v36, v35, -v45
	s_and_not1_b32 exec_lo, exec_lo, s18
	s_cbranch_execnz .LBB58_224
; %bb.225:
	s_or_b32 exec_lo, exec_lo, s18
.LBB58_226:
	s_delay_alu instid0(SALU_CYCLE_1)
	s_or_b32 exec_lo, exec_lo, s17
.LBB58_227:
	s_and_not1_saveexec_b32 s10, s16
; %bb.228:
	v_add_f32_e32 v35, v31, v31
; %bb.229:
	s_or_b32 exec_lo, exec_lo, s10
.LBB58_230:
	s_delay_alu instid0(SALU_CYCLE_1)
	s_or_b32 exec_lo, exec_lo, s14
.LBB58_231:
	s_delay_alu instid0(SALU_CYCLE_1) | instskip(SKIP_3) | instid1(VALU_DEP_2)
	s_or_b32 exec_lo, exec_lo, s13
	v_lshrrev_b32_e32 v29, 16, v44
	v_mov_b32_e32 v36, 0
	s_mov_b32 s13, exec_lo
	v_cvt_f32_f16_e32 v30, v29
	v_cmp_class_f16_e64 vcc_lo, v29, 0x1f8
	s_delay_alu instid0(VALU_DEP_2) | instskip(NEXT) | instid1(VALU_DEP_1)
	v_cvt_i32_f32_e32 v31, v30
	v_ashrrev_i32_e32 v30, 31, v31
	s_delay_alu instid0(VALU_DEP_1) | instskip(NEXT) | instid1(VALU_DEP_1)
	v_dual_cndmask_b32 v29, -1, v31 :: v_dual_cndmask_b32 v30, -1, v30
	v_cmpx_lt_i64_e32 -1, v[29:30]
	s_cbranch_execz .LBB58_243
; %bb.232:
	v_mov_b32_e32 v36, 1.0
	s_mov_b32 s14, exec_lo
	v_cmpx_lt_i64_e32 0, v[29:30]
	s_cbranch_execz .LBB58_242
; %bb.233:
	s_mov_b32 s10, exec_lo
	v_cmpx_ne_u64_e32 1, v[29:30]
	s_xor_b32 s16, exec_lo, s10
	s_cbranch_execz .LBB58_239
; %bb.234:
	v_mov_b32_e32 v36, 0x7fc00000
	s_mov_b32 s17, exec_lo
	v_cmpx_gt_u64_e32 0x81, v[29:30]
	s_cbranch_execz .LBB58_238
; %bb.235:
	v_dual_add_f32 v31, v32, v32 :: v_dual_mov_b32 v32, 1.0
	v_lshlrev_b64 v[29:30], 1, v[29:30]
	s_mov_b64 s[10:11], 2
	s_mov_b32 s18, 0
	s_delay_alu instid0(VALU_DEP_2)
	v_mov_b32_e32 v36, v31
	.p2align	6
.LBB58_236:                             ; =>This Inner Loop Header: Depth=1
	s_clz_i32_u32 s19, s11
	s_delay_alu instid0(SALU_CYCLE_1) | instskip(NEXT) | instid1(SALU_CYCLE_1)
	s_min_u32 s19, s19, 32
	s_lshl_b64 s[20:21], s[10:11], s19
	s_sub_i32 s19, 32, s19
	s_min_u32 s20, s20, 1
	s_delay_alu instid0(SALU_CYCLE_1) | instskip(SKIP_3) | instid1(SALU_CYCLE_1)
	s_or_b32 s20, s21, s20
	s_add_u32 s10, s10, 2
	v_cvt_f32_u32_e32 v43, s20
	s_addc_u32 s11, s11, 0
	v_cmp_ge_u64_e32 vcc_lo, s[10:11], v[29:30]
	s_delay_alu instid0(VALU_DEP_2) | instskip(SKIP_1) | instid1(VALU_DEP_1)
	v_ldexp_f32 v43, v43, s19
	s_or_b32 s18, vcc_lo, s18
	v_mul_f32_e32 v43, v32, v43
	v_mov_b32_e32 v32, v36
	s_delay_alu instid0(VALU_DEP_2)
	v_fma_f32 v36, v31, v36, -v43
	s_and_not1_b32 exec_lo, exec_lo, s18
	s_cbranch_execnz .LBB58_236
; %bb.237:
	s_or_b32 exec_lo, exec_lo, s18
.LBB58_238:
	s_delay_alu instid0(SALU_CYCLE_1)
	s_or_b32 exec_lo, exec_lo, s17
                                        ; implicit-def: $vgpr29_vgpr30_vgpr31_vgpr32
.LBB58_239:
	s_and_not1_saveexec_b32 s10, s16
; %bb.240:
	v_add_f32_e32 v36, v32, v32
; %bb.241:
	s_or_b32 exec_lo, exec_lo, s10
.LBB58_242:
	s_delay_alu instid0(SALU_CYCLE_1)
	s_or_b32 exec_lo, exec_lo, s14
.LBB58_243:
	s_delay_alu instid0(SALU_CYCLE_1) | instskip(SKIP_4) | instid1(VALU_DEP_2)
	s_or_b32 exec_lo, exec_lo, s13
	s_waitcnt vmcnt(2)
	v_cvt_f32_f16_e32 v29, v41
	v_cmp_class_f16_e64 vcc_lo, v41, 0x1f8
	s_mov_b32 s13, exec_lo
	v_cvt_i32_f32_e32 v29, v29
	s_delay_alu instid0(VALU_DEP_1) | instskip(NEXT) | instid1(VALU_DEP_1)
	v_ashrrev_i32_e32 v30, 31, v29
	v_dual_cndmask_b32 v31, -1, v30 :: v_dual_cndmask_b32 v30, -1, v29
	v_mov_b32_e32 v29, 0
	s_delay_alu instid0(VALU_DEP_2)
	v_cmpx_lt_i64_e32 -1, v[30:31]
	s_cbranch_execz .LBB58_255
; %bb.244:
	v_mov_b32_e32 v29, 1.0
	s_mov_b32 s14, exec_lo
	v_cmpx_lt_i64_e32 0, v[30:31]
	s_cbranch_execz .LBB58_254
; %bb.245:
                                        ; implicit-def: $vgpr29
	s_mov_b32 s10, exec_lo
	v_cmpx_ne_u64_e32 1, v[30:31]
	s_xor_b32 s16, exec_lo, s10
	s_cbranch_execz .LBB58_251
; %bb.246:
	v_mov_b32_e32 v29, 0x7fc00000
	s_mov_b32 s17, exec_lo
	v_cmpx_gt_u64_e32 0x81, v[30:31]
	s_cbranch_execz .LBB58_250
; %bb.247:
	v_dual_add_f32 v32, v17, v17 :: v_dual_mov_b32 v43, 1.0
	v_lshlrev_b64 v[30:31], 1, v[30:31]
	s_mov_b64 s[10:11], 2
	s_mov_b32 s18, 0
	s_delay_alu instid0(VALU_DEP_2)
	v_mov_b32_e32 v29, v32
	.p2align	6
.LBB58_248:                             ; =>This Inner Loop Header: Depth=1
	s_clz_i32_u32 s19, s11
	s_delay_alu instid0(SALU_CYCLE_1) | instskip(NEXT) | instid1(SALU_CYCLE_1)
	s_min_u32 s19, s19, 32
	s_lshl_b64 s[20:21], s[10:11], s19
	s_sub_i32 s19, 32, s19
	s_min_u32 s20, s20, 1
	s_delay_alu instid0(SALU_CYCLE_1) | instskip(SKIP_3) | instid1(SALU_CYCLE_1)
	s_or_b32 s20, s21, s20
	s_add_u32 s10, s10, 2
	v_cvt_f32_u32_e32 v44, s20
	s_addc_u32 s11, s11, 0
	v_cmp_ge_u64_e32 vcc_lo, s[10:11], v[30:31]
	s_delay_alu instid0(VALU_DEP_2) | instskip(SKIP_1) | instid1(VALU_DEP_1)
	v_ldexp_f32 v44, v44, s19
	s_or_b32 s18, vcc_lo, s18
	v_dual_mul_f32 v44, v43, v44 :: v_dual_mov_b32 v43, v29
	s_delay_alu instid0(VALU_DEP_1)
	v_fma_f32 v29, v32, v29, -v44
	s_and_not1_b32 exec_lo, exec_lo, s18
	s_cbranch_execnz .LBB58_248
; %bb.249:
	s_or_b32 exec_lo, exec_lo, s18
.LBB58_250:
	s_delay_alu instid0(SALU_CYCLE_1)
	s_or_b32 exec_lo, exec_lo, s17
.LBB58_251:
	s_and_not1_saveexec_b32 s10, s16
; %bb.252:
	v_add_f32_e32 v29, v17, v17
; %bb.253:
	s_or_b32 exec_lo, exec_lo, s10
.LBB58_254:
	s_delay_alu instid0(SALU_CYCLE_1)
	s_or_b32 exec_lo, exec_lo, s14
.LBB58_255:
	s_delay_alu instid0(SALU_CYCLE_1) | instskip(SKIP_2) | instid1(VALU_DEP_1)
	s_or_b32 exec_lo, exec_lo, s13
	v_lshrrev_b32_e32 v17, 16, v41
	s_mov_b32 s13, exec_lo
	v_cvt_f32_f16_e32 v30, v17
	v_cmp_class_f16_e64 vcc_lo, v17, 0x1f8
	s_delay_alu instid0(VALU_DEP_2) | instskip(NEXT) | instid1(VALU_DEP_1)
	v_cvt_i32_f32_e32 v30, v30
	v_ashrrev_i32_e32 v31, 31, v30
	s_delay_alu instid0(VALU_DEP_1) | instskip(SKIP_1) | instid1(VALU_DEP_2)
	v_dual_cndmask_b32 v32, -1, v31 :: v_dual_cndmask_b32 v31, -1, v30
	v_mov_b32_e32 v30, 0
	v_cmpx_lt_i64_e32 -1, v[31:32]
	s_cbranch_execz .LBB58_267
; %bb.256:
	v_mov_b32_e32 v30, 1.0
	s_mov_b32 s14, exec_lo
	v_cmpx_lt_i64_e32 0, v[31:32]
	s_cbranch_execz .LBB58_266
; %bb.257:
	s_mov_b32 s10, exec_lo
	v_cmpx_ne_u64_e32 1, v[31:32]
	s_xor_b32 s16, exec_lo, s10
	s_cbranch_execz .LBB58_263
; %bb.258:
	v_mov_b32_e32 v30, 0x7fc00000
	s_mov_b32 s17, exec_lo
	v_cmpx_gt_u64_e32 0x81, v[31:32]
	s_cbranch_execz .LBB58_262
; %bb.259:
	v_add_f32_e32 v17, v18, v18
	v_lshlrev_b64 v[31:32], 1, v[31:32]
	v_mov_b32_e32 v41, 1.0
	s_mov_b64 s[10:11], 2
	s_mov_b32 s18, 0
	v_mov_b32_e32 v30, v17
	.p2align	6
.LBB58_260:                             ; =>This Inner Loop Header: Depth=1
	s_clz_i32_u32 s19, s11
	s_delay_alu instid0(SALU_CYCLE_1) | instskip(NEXT) | instid1(SALU_CYCLE_1)
	s_min_u32 s19, s19, 32
	s_lshl_b64 s[20:21], s[10:11], s19
	s_sub_i32 s19, 32, s19
	s_min_u32 s20, s20, 1
	s_delay_alu instid0(SALU_CYCLE_1) | instskip(SKIP_3) | instid1(SALU_CYCLE_1)
	s_or_b32 s20, s21, s20
	s_add_u32 s10, s10, 2
	v_cvt_f32_u32_e32 v43, s20
	s_addc_u32 s11, s11, 0
	v_cmp_ge_u64_e32 vcc_lo, s[10:11], v[31:32]
	s_delay_alu instid0(VALU_DEP_2) | instskip(SKIP_1) | instid1(VALU_DEP_1)
	v_ldexp_f32 v43, v43, s19
	s_or_b32 s18, vcc_lo, s18
	v_mul_f32_e32 v43, v41, v43
	v_mov_b32_e32 v41, v30
	s_delay_alu instid0(VALU_DEP_2)
	v_fma_f32 v30, v17, v30, -v43
	s_and_not1_b32 exec_lo, exec_lo, s18
	s_cbranch_execnz .LBB58_260
; %bb.261:
	s_or_b32 exec_lo, exec_lo, s18
.LBB58_262:
	s_delay_alu instid0(SALU_CYCLE_1)
	s_or_b32 exec_lo, exec_lo, s17
.LBB58_263:
	s_and_not1_saveexec_b32 s10, s16
; %bb.264:
	v_add_f32_e32 v30, v18, v18
; %bb.265:
	s_or_b32 exec_lo, exec_lo, s10
.LBB58_266:
	s_delay_alu instid0(SALU_CYCLE_1)
	s_or_b32 exec_lo, exec_lo, s14
.LBB58_267:
	s_delay_alu instid0(SALU_CYCLE_1) | instskip(SKIP_4) | instid1(VALU_DEP_3)
	s_or_b32 exec_lo, exec_lo, s13
	v_cvt_f32_f16_e32 v17, v42
	v_cmp_class_f16_e64 vcc_lo, v42, 0x1f8
	v_mov_b32_e32 v31, 0
	s_mov_b32 s13, exec_lo
	v_cvt_i32_f32_e32 v17, v17
	s_delay_alu instid0(VALU_DEP_1) | instskip(NEXT) | instid1(VALU_DEP_1)
	v_ashrrev_i32_e32 v18, 31, v17
	v_dual_cndmask_b32 v17, -1, v17 :: v_dual_cndmask_b32 v18, -1, v18
	s_delay_alu instid0(VALU_DEP_1)
	v_cmpx_lt_i64_e32 -1, v[17:18]
	s_cbranch_execz .LBB58_279
; %bb.268:
	v_mov_b32_e32 v31, 1.0
	s_mov_b32 s14, exec_lo
	v_cmpx_lt_i64_e32 0, v[17:18]
	s_cbranch_execz .LBB58_278
; %bb.269:
	s_mov_b32 s10, exec_lo
	v_cmpx_ne_u64_e32 1, v[17:18]
	s_xor_b32 s16, exec_lo, s10
	s_cbranch_execz .LBB58_275
; %bb.270:
	v_mov_b32_e32 v31, 0x7fc00000
	s_mov_b32 s17, exec_lo
	v_cmpx_gt_u64_e32 0x81, v[17:18]
	s_cbranch_execz .LBB58_274
; %bb.271:
	v_dual_add_f32 v32, v19, v19 :: v_dual_mov_b32 v41, 1.0
	v_lshlrev_b64 v[17:18], 1, v[17:18]
	s_mov_b64 s[10:11], 2
	s_mov_b32 s18, 0
	s_delay_alu instid0(VALU_DEP_2)
	v_mov_b32_e32 v31, v32
	.p2align	6
.LBB58_272:                             ; =>This Inner Loop Header: Depth=1
	s_clz_i32_u32 s19, s11
	s_delay_alu instid0(SALU_CYCLE_1) | instskip(NEXT) | instid1(SALU_CYCLE_1)
	s_min_u32 s19, s19, 32
	s_lshl_b64 s[20:21], s[10:11], s19
	s_sub_i32 s19, 32, s19
	s_min_u32 s20, s20, 1
	s_delay_alu instid0(SALU_CYCLE_1) | instskip(SKIP_3) | instid1(SALU_CYCLE_1)
	s_or_b32 s20, s21, s20
	s_add_u32 s10, s10, 2
	v_cvt_f32_u32_e32 v43, s20
	s_addc_u32 s11, s11, 0
	v_cmp_ge_u64_e32 vcc_lo, s[10:11], v[17:18]
	s_delay_alu instid0(VALU_DEP_2) | instskip(SKIP_1) | instid1(VALU_DEP_1)
	v_ldexp_f32 v43, v43, s19
	s_or_b32 s18, vcc_lo, s18
	v_mul_f32_e32 v43, v41, v43
	v_mov_b32_e32 v41, v31
	s_delay_alu instid0(VALU_DEP_2)
	v_fma_f32 v31, v32, v31, -v43
	s_and_not1_b32 exec_lo, exec_lo, s18
	s_cbranch_execnz .LBB58_272
; %bb.273:
	s_or_b32 exec_lo, exec_lo, s18
.LBB58_274:
	s_delay_alu instid0(SALU_CYCLE_1)
	s_or_b32 exec_lo, exec_lo, s17
.LBB58_275:
	s_and_not1_saveexec_b32 s10, s16
; %bb.276:
	v_add_f32_e32 v31, v19, v19
; %bb.277:
	s_or_b32 exec_lo, exec_lo, s10
.LBB58_278:
	s_delay_alu instid0(SALU_CYCLE_1)
	s_or_b32 exec_lo, exec_lo, s14
.LBB58_279:
	s_delay_alu instid0(SALU_CYCLE_1) | instskip(SKIP_3) | instid1(VALU_DEP_2)
	s_or_b32 exec_lo, exec_lo, s13
	v_lshrrev_b32_e32 v17, 16, v42
	v_mov_b32_e32 v32, 0
	s_mov_b32 s13, exec_lo
	v_cvt_f32_f16_e32 v18, v17
	v_cmp_class_f16_e64 vcc_lo, v17, 0x1f8
	s_delay_alu instid0(VALU_DEP_2) | instskip(NEXT) | instid1(VALU_DEP_1)
	v_cvt_i32_f32_e32 v19, v18
	v_ashrrev_i32_e32 v18, 31, v19
	s_delay_alu instid0(VALU_DEP_1) | instskip(NEXT) | instid1(VALU_DEP_1)
	v_dual_cndmask_b32 v17, -1, v19 :: v_dual_cndmask_b32 v18, -1, v18
	v_cmpx_lt_i64_e32 -1, v[17:18]
	s_cbranch_execz .LBB58_291
; %bb.280:
	v_mov_b32_e32 v32, 1.0
	s_mov_b32 s14, exec_lo
	v_cmpx_lt_i64_e32 0, v[17:18]
	s_cbranch_execz .LBB58_290
; %bb.281:
	s_mov_b32 s10, exec_lo
	v_cmpx_ne_u64_e32 1, v[17:18]
	s_xor_b32 s16, exec_lo, s10
	s_cbranch_execz .LBB58_287
; %bb.282:
	v_mov_b32_e32 v32, 0x7fc00000
	s_mov_b32 s17, exec_lo
	v_cmpx_gt_u64_e32 0x81, v[17:18]
	s_cbranch_execz .LBB58_286
; %bb.283:
	v_dual_add_f32 v19, v20, v20 :: v_dual_mov_b32 v20, 1.0
	v_lshlrev_b64 v[17:18], 1, v[17:18]
	s_mov_b64 s[10:11], 2
	s_mov_b32 s18, 0
	s_delay_alu instid0(VALU_DEP_2)
	v_mov_b32_e32 v32, v19
	.p2align	6
.LBB58_284:                             ; =>This Inner Loop Header: Depth=1
	s_clz_i32_u32 s19, s11
	s_delay_alu instid0(SALU_CYCLE_1) | instskip(NEXT) | instid1(SALU_CYCLE_1)
	s_min_u32 s19, s19, 32
	s_lshl_b64 s[20:21], s[10:11], s19
	s_sub_i32 s19, 32, s19
	s_min_u32 s20, s20, 1
	s_delay_alu instid0(SALU_CYCLE_1) | instskip(SKIP_3) | instid1(SALU_CYCLE_1)
	s_or_b32 s20, s21, s20
	s_add_u32 s10, s10, 2
	v_cvt_f32_u32_e32 v41, s20
	s_addc_u32 s11, s11, 0
	v_cmp_ge_u64_e32 vcc_lo, s[10:11], v[17:18]
	s_delay_alu instid0(VALU_DEP_2) | instskip(SKIP_1) | instid1(VALU_DEP_1)
	v_ldexp_f32 v41, v41, s19
	s_or_b32 s18, vcc_lo, s18
	v_mul_f32_e32 v41, v20, v41
	v_mov_b32_e32 v20, v32
	s_delay_alu instid0(VALU_DEP_2)
	v_fma_f32 v32, v19, v32, -v41
	s_and_not1_b32 exec_lo, exec_lo, s18
	s_cbranch_execnz .LBB58_284
; %bb.285:
	s_or_b32 exec_lo, exec_lo, s18
.LBB58_286:
	s_delay_alu instid0(SALU_CYCLE_1)
	s_or_b32 exec_lo, exec_lo, s17
                                        ; implicit-def: $vgpr17_vgpr18_vgpr19_vgpr20
.LBB58_287:
	s_and_not1_saveexec_b32 s10, s16
; %bb.288:
	v_add_f32_e32 v32, v20, v20
; %bb.289:
	s_or_b32 exec_lo, exec_lo, s10
.LBB58_290:
	s_delay_alu instid0(SALU_CYCLE_1)
	s_or_b32 exec_lo, exec_lo, s14
.LBB58_291:
	s_delay_alu instid0(SALU_CYCLE_1) | instskip(SKIP_4) | instid1(VALU_DEP_2)
	s_or_b32 exec_lo, exec_lo, s13
	s_waitcnt vmcnt(1)
	v_cvt_f32_f16_e32 v17, v39
	v_cmp_class_f16_e64 vcc_lo, v39, 0x1f8
	s_mov_b32 s13, exec_lo
	v_cvt_i32_f32_e32 v17, v17
	s_delay_alu instid0(VALU_DEP_1) | instskip(NEXT) | instid1(VALU_DEP_1)
	v_ashrrev_i32_e32 v18, 31, v17
	v_dual_cndmask_b32 v19, -1, v18 :: v_dual_cndmask_b32 v18, -1, v17
	v_mov_b32_e32 v17, 0
	s_delay_alu instid0(VALU_DEP_2)
	v_cmpx_lt_i64_e32 -1, v[18:19]
	s_cbranch_execz .LBB58_303
; %bb.292:
	v_mov_b32_e32 v17, 1.0
	s_mov_b32 s14, exec_lo
	v_cmpx_lt_i64_e32 0, v[18:19]
	s_cbranch_execz .LBB58_302
; %bb.293:
                                        ; implicit-def: $vgpr17
	s_mov_b32 s10, exec_lo
	v_cmpx_ne_u64_e32 1, v[18:19]
	s_xor_b32 s16, exec_lo, s10
	s_cbranch_execz .LBB58_299
; %bb.294:
	v_mov_b32_e32 v17, 0x7fc00000
	s_mov_b32 s17, exec_lo
	v_cmpx_gt_u64_e32 0x81, v[18:19]
	s_cbranch_execz .LBB58_298
; %bb.295:
	v_dual_add_f32 v20, v13, v13 :: v_dual_mov_b32 v41, 1.0
	v_lshlrev_b64 v[18:19], 1, v[18:19]
	s_mov_b64 s[10:11], 2
	s_mov_b32 s18, 0
	s_delay_alu instid0(VALU_DEP_2)
	v_mov_b32_e32 v17, v20
	.p2align	6
.LBB58_296:                             ; =>This Inner Loop Header: Depth=1
	s_clz_i32_u32 s19, s11
	s_delay_alu instid0(SALU_CYCLE_1) | instskip(NEXT) | instid1(SALU_CYCLE_1)
	s_min_u32 s19, s19, 32
	s_lshl_b64 s[20:21], s[10:11], s19
	s_sub_i32 s19, 32, s19
	s_min_u32 s20, s20, 1
	s_delay_alu instid0(SALU_CYCLE_1) | instskip(SKIP_3) | instid1(SALU_CYCLE_1)
	s_or_b32 s20, s21, s20
	s_add_u32 s10, s10, 2
	v_cvt_f32_u32_e32 v42, s20
	s_addc_u32 s11, s11, 0
	v_cmp_ge_u64_e32 vcc_lo, s[10:11], v[18:19]
	s_delay_alu instid0(VALU_DEP_2) | instskip(SKIP_1) | instid1(VALU_DEP_1)
	v_ldexp_f32 v42, v42, s19
	s_or_b32 s18, vcc_lo, s18
	v_mul_f32_e32 v42, v41, v42
	v_mov_b32_e32 v41, v17
	s_delay_alu instid0(VALU_DEP_2)
	v_fma_f32 v17, v20, v17, -v42
	s_and_not1_b32 exec_lo, exec_lo, s18
	s_cbranch_execnz .LBB58_296
; %bb.297:
	s_or_b32 exec_lo, exec_lo, s18
.LBB58_298:
	s_delay_alu instid0(SALU_CYCLE_1)
	s_or_b32 exec_lo, exec_lo, s17
.LBB58_299:
	s_and_not1_saveexec_b32 s10, s16
; %bb.300:
	v_add_f32_e32 v17, v13, v13
; %bb.301:
	s_or_b32 exec_lo, exec_lo, s10
.LBB58_302:
	s_delay_alu instid0(SALU_CYCLE_1)
	s_or_b32 exec_lo, exec_lo, s14
.LBB58_303:
	s_delay_alu instid0(SALU_CYCLE_1) | instskip(SKIP_2) | instid1(VALU_DEP_1)
	s_or_b32 exec_lo, exec_lo, s13
	v_lshrrev_b32_e32 v13, 16, v39
	s_mov_b32 s13, exec_lo
	v_cvt_f32_f16_e32 v18, v13
	v_cmp_class_f16_e64 vcc_lo, v13, 0x1f8
	s_delay_alu instid0(VALU_DEP_2) | instskip(NEXT) | instid1(VALU_DEP_1)
	v_cvt_i32_f32_e32 v18, v18
	v_ashrrev_i32_e32 v19, 31, v18
	s_delay_alu instid0(VALU_DEP_1) | instskip(SKIP_1) | instid1(VALU_DEP_2)
	v_dual_cndmask_b32 v20, -1, v19 :: v_dual_cndmask_b32 v19, -1, v18
	v_mov_b32_e32 v18, 0
	v_cmpx_lt_i64_e32 -1, v[19:20]
	s_cbranch_execz .LBB58_315
; %bb.304:
	v_mov_b32_e32 v18, 1.0
	s_mov_b32 s14, exec_lo
	v_cmpx_lt_i64_e32 0, v[19:20]
	s_cbranch_execz .LBB58_314
; %bb.305:
	s_mov_b32 s10, exec_lo
	v_cmpx_ne_u64_e32 1, v[19:20]
	s_xor_b32 s16, exec_lo, s10
	s_cbranch_execz .LBB58_311
; %bb.306:
	v_mov_b32_e32 v18, 0x7fc00000
	s_mov_b32 s17, exec_lo
	v_cmpx_gt_u64_e32 0x81, v[19:20]
	s_cbranch_execz .LBB58_310
; %bb.307:
	v_add_f32_e32 v13, v14, v14
	v_lshlrev_b64 v[19:20], 1, v[19:20]
	v_mov_b32_e32 v39, 1.0
	s_mov_b64 s[10:11], 2
	s_mov_b32 s18, 0
	v_mov_b32_e32 v18, v13
	.p2align	6
.LBB58_308:                             ; =>This Inner Loop Header: Depth=1
	s_clz_i32_u32 s19, s11
	s_delay_alu instid0(SALU_CYCLE_1) | instskip(NEXT) | instid1(SALU_CYCLE_1)
	s_min_u32 s19, s19, 32
	s_lshl_b64 s[20:21], s[10:11], s19
	s_sub_i32 s19, 32, s19
	s_min_u32 s20, s20, 1
	s_delay_alu instid0(SALU_CYCLE_1) | instskip(SKIP_3) | instid1(SALU_CYCLE_1)
	s_or_b32 s20, s21, s20
	s_add_u32 s10, s10, 2
	v_cvt_f32_u32_e32 v41, s20
	s_addc_u32 s11, s11, 0
	v_cmp_ge_u64_e32 vcc_lo, s[10:11], v[19:20]
	s_delay_alu instid0(VALU_DEP_2) | instskip(SKIP_1) | instid1(VALU_DEP_1)
	v_ldexp_f32 v41, v41, s19
	s_or_b32 s18, vcc_lo, s18
	v_mul_f32_e32 v41, v39, v41
	v_mov_b32_e32 v39, v18
	s_delay_alu instid0(VALU_DEP_2)
	v_fma_f32 v18, v13, v18, -v41
	s_and_not1_b32 exec_lo, exec_lo, s18
	s_cbranch_execnz .LBB58_308
; %bb.309:
	s_or_b32 exec_lo, exec_lo, s18
.LBB58_310:
	s_delay_alu instid0(SALU_CYCLE_1)
	s_or_b32 exec_lo, exec_lo, s17
.LBB58_311:
	s_and_not1_saveexec_b32 s10, s16
; %bb.312:
	v_add_f32_e32 v18, v14, v14
; %bb.313:
	s_or_b32 exec_lo, exec_lo, s10
.LBB58_314:
	s_delay_alu instid0(SALU_CYCLE_1)
	s_or_b32 exec_lo, exec_lo, s14
.LBB58_315:
	s_delay_alu instid0(SALU_CYCLE_1) | instskip(SKIP_4) | instid1(VALU_DEP_3)
	s_or_b32 exec_lo, exec_lo, s13
	v_cvt_f32_f16_e32 v13, v40
	v_cmp_class_f16_e64 vcc_lo, v40, 0x1f8
	v_mov_b32_e32 v19, 0
	s_mov_b32 s13, exec_lo
	v_cvt_i32_f32_e32 v13, v13
	s_delay_alu instid0(VALU_DEP_1) | instskip(NEXT) | instid1(VALU_DEP_1)
	v_ashrrev_i32_e32 v14, 31, v13
	v_dual_cndmask_b32 v13, -1, v13 :: v_dual_cndmask_b32 v14, -1, v14
	s_delay_alu instid0(VALU_DEP_1)
	v_cmpx_lt_i64_e32 -1, v[13:14]
	s_cbranch_execz .LBB58_327
; %bb.316:
	v_mov_b32_e32 v19, 1.0
	s_mov_b32 s14, exec_lo
	v_cmpx_lt_i64_e32 0, v[13:14]
	s_cbranch_execz .LBB58_326
; %bb.317:
	s_mov_b32 s10, exec_lo
	v_cmpx_ne_u64_e32 1, v[13:14]
	s_xor_b32 s16, exec_lo, s10
	s_cbranch_execz .LBB58_323
; %bb.318:
	v_mov_b32_e32 v19, 0x7fc00000
	s_mov_b32 s17, exec_lo
	v_cmpx_gt_u64_e32 0x81, v[13:14]
	s_cbranch_execz .LBB58_322
; %bb.319:
	v_dual_add_f32 v20, v15, v15 :: v_dual_mov_b32 v39, 1.0
	v_lshlrev_b64 v[13:14], 1, v[13:14]
	s_mov_b64 s[10:11], 2
	s_mov_b32 s18, 0
	s_delay_alu instid0(VALU_DEP_2)
	v_mov_b32_e32 v19, v20
	.p2align	6
.LBB58_320:                             ; =>This Inner Loop Header: Depth=1
	s_clz_i32_u32 s19, s11
	s_delay_alu instid0(SALU_CYCLE_1) | instskip(NEXT) | instid1(SALU_CYCLE_1)
	s_min_u32 s19, s19, 32
	s_lshl_b64 s[20:21], s[10:11], s19
	s_sub_i32 s19, 32, s19
	s_min_u32 s20, s20, 1
	s_delay_alu instid0(SALU_CYCLE_1) | instskip(SKIP_3) | instid1(SALU_CYCLE_1)
	s_or_b32 s20, s21, s20
	s_add_u32 s10, s10, 2
	v_cvt_f32_u32_e32 v41, s20
	s_addc_u32 s11, s11, 0
	v_cmp_ge_u64_e32 vcc_lo, s[10:11], v[13:14]
	s_delay_alu instid0(VALU_DEP_2) | instskip(SKIP_1) | instid1(VALU_DEP_1)
	v_ldexp_f32 v41, v41, s19
	s_or_b32 s18, vcc_lo, s18
	v_mul_f32_e32 v41, v39, v41
	v_mov_b32_e32 v39, v19
	s_delay_alu instid0(VALU_DEP_2)
	v_fma_f32 v19, v20, v19, -v41
	s_and_not1_b32 exec_lo, exec_lo, s18
	s_cbranch_execnz .LBB58_320
; %bb.321:
	s_or_b32 exec_lo, exec_lo, s18
.LBB58_322:
	s_delay_alu instid0(SALU_CYCLE_1)
	s_or_b32 exec_lo, exec_lo, s17
.LBB58_323:
	s_and_not1_saveexec_b32 s10, s16
; %bb.324:
	v_add_f32_e32 v19, v15, v15
; %bb.325:
	s_or_b32 exec_lo, exec_lo, s10
.LBB58_326:
	s_delay_alu instid0(SALU_CYCLE_1)
	s_or_b32 exec_lo, exec_lo, s14
.LBB58_327:
	s_delay_alu instid0(SALU_CYCLE_1) | instskip(SKIP_3) | instid1(VALU_DEP_2)
	s_or_b32 exec_lo, exec_lo, s13
	v_lshrrev_b32_e32 v13, 16, v40
	v_mov_b32_e32 v20, 0
	s_mov_b32 s13, exec_lo
	v_cvt_f32_f16_e32 v14, v13
	v_cmp_class_f16_e64 vcc_lo, v13, 0x1f8
	s_delay_alu instid0(VALU_DEP_2) | instskip(NEXT) | instid1(VALU_DEP_1)
	v_cvt_i32_f32_e32 v15, v14
	v_ashrrev_i32_e32 v14, 31, v15
	s_delay_alu instid0(VALU_DEP_1) | instskip(NEXT) | instid1(VALU_DEP_1)
	v_dual_cndmask_b32 v13, -1, v15 :: v_dual_cndmask_b32 v14, -1, v14
	v_cmpx_lt_i64_e32 -1, v[13:14]
	s_cbranch_execz .LBB58_339
; %bb.328:
	v_mov_b32_e32 v20, 1.0
	s_mov_b32 s14, exec_lo
	v_cmpx_lt_i64_e32 0, v[13:14]
	s_cbranch_execz .LBB58_338
; %bb.329:
	s_mov_b32 s10, exec_lo
	v_cmpx_ne_u64_e32 1, v[13:14]
	s_xor_b32 s16, exec_lo, s10
	s_cbranch_execz .LBB58_335
; %bb.330:
	v_mov_b32_e32 v20, 0x7fc00000
	s_mov_b32 s17, exec_lo
	v_cmpx_gt_u64_e32 0x81, v[13:14]
	s_cbranch_execz .LBB58_334
; %bb.331:
	v_dual_add_f32 v15, v16, v16 :: v_dual_mov_b32 v16, 1.0
	v_lshlrev_b64 v[13:14], 1, v[13:14]
	s_mov_b64 s[10:11], 2
	s_mov_b32 s18, 0
	s_delay_alu instid0(VALU_DEP_2)
	v_mov_b32_e32 v20, v15
	.p2align	6
.LBB58_332:                             ; =>This Inner Loop Header: Depth=1
	s_clz_i32_u32 s19, s11
	s_delay_alu instid0(SALU_CYCLE_1) | instskip(NEXT) | instid1(SALU_CYCLE_1)
	s_min_u32 s19, s19, 32
	s_lshl_b64 s[20:21], s[10:11], s19
	s_sub_i32 s19, 32, s19
	s_min_u32 s20, s20, 1
	s_delay_alu instid0(SALU_CYCLE_1) | instskip(SKIP_3) | instid1(SALU_CYCLE_1)
	s_or_b32 s20, s21, s20
	s_add_u32 s10, s10, 2
	v_cvt_f32_u32_e32 v39, s20
	s_addc_u32 s11, s11, 0
	v_cmp_ge_u64_e32 vcc_lo, s[10:11], v[13:14]
	s_delay_alu instid0(VALU_DEP_2) | instskip(SKIP_1) | instid1(VALU_DEP_1)
	v_ldexp_f32 v39, v39, s19
	s_or_b32 s18, vcc_lo, s18
	v_mul_f32_e32 v39, v16, v39
	v_mov_b32_e32 v16, v20
	s_delay_alu instid0(VALU_DEP_2)
	v_fma_f32 v20, v15, v20, -v39
	s_and_not1_b32 exec_lo, exec_lo, s18
	s_cbranch_execnz .LBB58_332
; %bb.333:
	s_or_b32 exec_lo, exec_lo, s18
.LBB58_334:
	s_delay_alu instid0(SALU_CYCLE_1)
	s_or_b32 exec_lo, exec_lo, s17
                                        ; implicit-def: $vgpr13_vgpr14_vgpr15_vgpr16
.LBB58_335:
	s_and_not1_saveexec_b32 s10, s16
; %bb.336:
	v_add_f32_e32 v20, v16, v16
; %bb.337:
	s_or_b32 exec_lo, exec_lo, s10
.LBB58_338:
	s_delay_alu instid0(SALU_CYCLE_1)
	s_or_b32 exec_lo, exec_lo, s14
.LBB58_339:
	s_delay_alu instid0(SALU_CYCLE_1) | instskip(SKIP_4) | instid1(VALU_DEP_2)
	s_or_b32 exec_lo, exec_lo, s13
	s_waitcnt vmcnt(0)
	v_cvt_f32_f16_e32 v13, v37
	v_cmp_class_f16_e64 vcc_lo, v37, 0x1f8
	s_mov_b32 s13, exec_lo
	v_cvt_i32_f32_e32 v13, v13
	s_delay_alu instid0(VALU_DEP_1) | instskip(NEXT) | instid1(VALU_DEP_1)
	v_ashrrev_i32_e32 v14, 31, v13
	v_dual_cndmask_b32 v15, -1, v14 :: v_dual_cndmask_b32 v14, -1, v13
	v_mov_b32_e32 v13, 0
	s_delay_alu instid0(VALU_DEP_2)
	v_cmpx_lt_i64_e32 -1, v[14:15]
	s_cbranch_execz .LBB58_351
; %bb.340:
	v_mov_b32_e32 v13, 1.0
	s_mov_b32 s14, exec_lo
	v_cmpx_lt_i64_e32 0, v[14:15]
	s_cbranch_execz .LBB58_350
; %bb.341:
                                        ; implicit-def: $vgpr13
	s_mov_b32 s10, exec_lo
	v_cmpx_ne_u64_e32 1, v[14:15]
	s_xor_b32 s16, exec_lo, s10
	s_cbranch_execz .LBB58_347
; %bb.342:
	v_mov_b32_e32 v13, 0x7fc00000
	s_mov_b32 s17, exec_lo
	v_cmpx_gt_u64_e32 0x81, v[14:15]
	s_cbranch_execz .LBB58_346
; %bb.343:
	v_dual_add_f32 v16, v5, v5 :: v_dual_mov_b32 v39, 1.0
	v_lshlrev_b64 v[14:15], 1, v[14:15]
	s_mov_b64 s[10:11], 2
	s_mov_b32 s18, 0
	s_delay_alu instid0(VALU_DEP_2)
	v_mov_b32_e32 v13, v16
	.p2align	6
.LBB58_344:                             ; =>This Inner Loop Header: Depth=1
	s_clz_i32_u32 s19, s11
	s_delay_alu instid0(SALU_CYCLE_1) | instskip(NEXT) | instid1(SALU_CYCLE_1)
	s_min_u32 s19, s19, 32
	s_lshl_b64 s[20:21], s[10:11], s19
	s_sub_i32 s19, 32, s19
	s_min_u32 s20, s20, 1
	s_delay_alu instid0(SALU_CYCLE_1) | instskip(SKIP_3) | instid1(SALU_CYCLE_1)
	s_or_b32 s20, s21, s20
	s_add_u32 s10, s10, 2
	v_cvt_f32_u32_e32 v40, s20
	s_addc_u32 s11, s11, 0
	v_cmp_ge_u64_e32 vcc_lo, s[10:11], v[14:15]
	s_delay_alu instid0(VALU_DEP_2) | instskip(SKIP_1) | instid1(VALU_DEP_1)
	v_ldexp_f32 v40, v40, s19
	s_or_b32 s18, vcc_lo, s18
	v_dual_mul_f32 v40, v39, v40 :: v_dual_mov_b32 v39, v13
	s_delay_alu instid0(VALU_DEP_1)
	v_fma_f32 v13, v16, v13, -v40
	s_and_not1_b32 exec_lo, exec_lo, s18
	s_cbranch_execnz .LBB58_344
; %bb.345:
	s_or_b32 exec_lo, exec_lo, s18
.LBB58_346:
	s_delay_alu instid0(SALU_CYCLE_1)
	s_or_b32 exec_lo, exec_lo, s17
.LBB58_347:
	s_and_not1_saveexec_b32 s10, s16
; %bb.348:
	v_add_f32_e32 v13, v5, v5
; %bb.349:
	s_or_b32 exec_lo, exec_lo, s10
.LBB58_350:
	s_delay_alu instid0(SALU_CYCLE_1)
	s_or_b32 exec_lo, exec_lo, s14
.LBB58_351:
	s_delay_alu instid0(SALU_CYCLE_1) | instskip(SKIP_2) | instid1(VALU_DEP_1)
	s_or_b32 exec_lo, exec_lo, s13
	v_lshrrev_b32_e32 v5, 16, v37
	s_mov_b32 s13, exec_lo
	v_cvt_f32_f16_e32 v14, v5
	v_cmp_class_f16_e64 vcc_lo, v5, 0x1f8
	s_delay_alu instid0(VALU_DEP_2) | instskip(NEXT) | instid1(VALU_DEP_1)
	v_cvt_i32_f32_e32 v14, v14
	v_ashrrev_i32_e32 v15, 31, v14
	s_delay_alu instid0(VALU_DEP_1) | instskip(SKIP_1) | instid1(VALU_DEP_2)
	v_dual_cndmask_b32 v16, -1, v15 :: v_dual_cndmask_b32 v15, -1, v14
	v_mov_b32_e32 v14, 0
	v_cmpx_lt_i64_e32 -1, v[15:16]
	s_cbranch_execz .LBB58_363
; %bb.352:
	v_mov_b32_e32 v14, 1.0
	s_mov_b32 s14, exec_lo
	v_cmpx_lt_i64_e32 0, v[15:16]
	s_cbranch_execz .LBB58_362
; %bb.353:
	s_mov_b32 s10, exec_lo
	v_cmpx_ne_u64_e32 1, v[15:16]
	s_xor_b32 s16, exec_lo, s10
	s_cbranch_execz .LBB58_359
; %bb.354:
	v_mov_b32_e32 v14, 0x7fc00000
	s_mov_b32 s17, exec_lo
	v_cmpx_gt_u64_e32 0x81, v[15:16]
	s_cbranch_execz .LBB58_358
; %bb.355:
	v_add_f32_e32 v5, v6, v6
	v_lshlrev_b64 v[15:16], 1, v[15:16]
	v_mov_b32_e32 v37, 1.0
	s_mov_b64 s[10:11], 2
	s_mov_b32 s18, 0
	v_mov_b32_e32 v14, v5
	.p2align	6
.LBB58_356:                             ; =>This Inner Loop Header: Depth=1
	s_clz_i32_u32 s19, s11
	s_delay_alu instid0(SALU_CYCLE_1) | instskip(NEXT) | instid1(SALU_CYCLE_1)
	s_min_u32 s19, s19, 32
	s_lshl_b64 s[20:21], s[10:11], s19
	s_sub_i32 s19, 32, s19
	s_min_u32 s20, s20, 1
	s_delay_alu instid0(SALU_CYCLE_1) | instskip(SKIP_3) | instid1(SALU_CYCLE_1)
	s_or_b32 s20, s21, s20
	s_add_u32 s10, s10, 2
	v_cvt_f32_u32_e32 v39, s20
	s_addc_u32 s11, s11, 0
	v_cmp_ge_u64_e32 vcc_lo, s[10:11], v[15:16]
	s_delay_alu instid0(VALU_DEP_2) | instskip(SKIP_1) | instid1(VALU_DEP_1)
	v_ldexp_f32 v39, v39, s19
	s_or_b32 s18, vcc_lo, s18
	v_mul_f32_e32 v39, v37, v39
	v_mov_b32_e32 v37, v14
	s_delay_alu instid0(VALU_DEP_2)
	v_fma_f32 v14, v5, v14, -v39
	s_and_not1_b32 exec_lo, exec_lo, s18
	s_cbranch_execnz .LBB58_356
; %bb.357:
	s_or_b32 exec_lo, exec_lo, s18
.LBB58_358:
	s_delay_alu instid0(SALU_CYCLE_1)
	s_or_b32 exec_lo, exec_lo, s17
.LBB58_359:
	s_and_not1_saveexec_b32 s10, s16
; %bb.360:
	v_add_f32_e32 v14, v6, v6
; %bb.361:
	s_or_b32 exec_lo, exec_lo, s10
.LBB58_362:
	s_delay_alu instid0(SALU_CYCLE_1)
	s_or_b32 exec_lo, exec_lo, s14
.LBB58_363:
	s_delay_alu instid0(SALU_CYCLE_1) | instskip(SKIP_4) | instid1(VALU_DEP_3)
	s_or_b32 exec_lo, exec_lo, s13
	v_cvt_f32_f16_e32 v5, v38
	v_cmp_class_f16_e64 vcc_lo, v38, 0x1f8
	v_mov_b32_e32 v15, 0
	s_mov_b32 s13, exec_lo
	v_cvt_i32_f32_e32 v5, v5
	s_delay_alu instid0(VALU_DEP_1) | instskip(NEXT) | instid1(VALU_DEP_1)
	v_ashrrev_i32_e32 v6, 31, v5
	v_dual_cndmask_b32 v5, -1, v5 :: v_dual_cndmask_b32 v6, -1, v6
	s_delay_alu instid0(VALU_DEP_1)
	v_cmpx_lt_i64_e32 -1, v[5:6]
	s_cbranch_execz .LBB58_375
; %bb.364:
	v_mov_b32_e32 v15, 1.0
	s_mov_b32 s14, exec_lo
	v_cmpx_lt_i64_e32 0, v[5:6]
	s_cbranch_execz .LBB58_374
; %bb.365:
	s_mov_b32 s10, exec_lo
	v_cmpx_ne_u64_e32 1, v[5:6]
	s_xor_b32 s16, exec_lo, s10
	s_cbranch_execz .LBB58_371
; %bb.366:
	v_mov_b32_e32 v15, 0x7fc00000
	s_mov_b32 s17, exec_lo
	v_cmpx_gt_u64_e32 0x81, v[5:6]
	s_cbranch_execz .LBB58_370
; %bb.367:
	v_dual_add_f32 v16, v7, v7 :: v_dual_mov_b32 v37, 1.0
	v_lshlrev_b64 v[5:6], 1, v[5:6]
	s_mov_b64 s[10:11], 2
	s_mov_b32 s18, 0
	s_delay_alu instid0(VALU_DEP_2)
	v_mov_b32_e32 v15, v16
	.p2align	6
.LBB58_368:                             ; =>This Inner Loop Header: Depth=1
	s_clz_i32_u32 s19, s11
	s_delay_alu instid0(SALU_CYCLE_1) | instskip(NEXT) | instid1(SALU_CYCLE_1)
	s_min_u32 s19, s19, 32
	s_lshl_b64 s[20:21], s[10:11], s19
	s_sub_i32 s19, 32, s19
	s_min_u32 s20, s20, 1
	s_delay_alu instid0(SALU_CYCLE_1) | instskip(SKIP_3) | instid1(SALU_CYCLE_1)
	s_or_b32 s20, s21, s20
	s_add_u32 s10, s10, 2
	v_cvt_f32_u32_e32 v39, s20
	s_addc_u32 s11, s11, 0
	v_cmp_ge_u64_e32 vcc_lo, s[10:11], v[5:6]
	s_delay_alu instid0(VALU_DEP_2) | instskip(SKIP_1) | instid1(VALU_DEP_1)
	v_ldexp_f32 v39, v39, s19
	s_or_b32 s18, vcc_lo, s18
	v_mul_f32_e32 v39, v37, v39
	v_mov_b32_e32 v37, v15
	s_delay_alu instid0(VALU_DEP_2)
	v_fma_f32 v15, v16, v15, -v39
	s_and_not1_b32 exec_lo, exec_lo, s18
	s_cbranch_execnz .LBB58_368
; %bb.369:
	s_or_b32 exec_lo, exec_lo, s18
.LBB58_370:
	s_delay_alu instid0(SALU_CYCLE_1)
	s_or_b32 exec_lo, exec_lo, s17
.LBB58_371:
	s_and_not1_saveexec_b32 s10, s16
; %bb.372:
	v_add_f32_e32 v15, v7, v7
; %bb.373:
	s_or_b32 exec_lo, exec_lo, s10
.LBB58_374:
	s_delay_alu instid0(SALU_CYCLE_1)
	s_or_b32 exec_lo, exec_lo, s14
.LBB58_375:
	s_delay_alu instid0(SALU_CYCLE_1) | instskip(SKIP_3) | instid1(VALU_DEP_2)
	s_or_b32 exec_lo, exec_lo, s13
	v_lshrrev_b32_e32 v5, 16, v38
	v_mov_b32_e32 v16, 0
	s_mov_b32 s13, exec_lo
	v_cvt_f32_f16_e32 v6, v5
	v_cmp_class_f16_e64 vcc_lo, v5, 0x1f8
	s_delay_alu instid0(VALU_DEP_2) | instskip(NEXT) | instid1(VALU_DEP_1)
	v_cvt_i32_f32_e32 v7, v6
	v_ashrrev_i32_e32 v6, 31, v7
	s_delay_alu instid0(VALU_DEP_1) | instskip(NEXT) | instid1(VALU_DEP_1)
	v_dual_cndmask_b32 v5, -1, v7 :: v_dual_cndmask_b32 v6, -1, v6
	v_cmpx_lt_i64_e32 -1, v[5:6]
	s_cbranch_execz .LBB58_387
; %bb.376:
	v_mov_b32_e32 v16, 1.0
	s_mov_b32 s14, exec_lo
	v_cmpx_lt_i64_e32 0, v[5:6]
	s_cbranch_execz .LBB58_386
; %bb.377:
	s_mov_b32 s10, exec_lo
	v_cmpx_ne_u64_e32 1, v[5:6]
	s_xor_b32 s16, exec_lo, s10
	s_cbranch_execz .LBB58_383
; %bb.378:
	v_mov_b32_e32 v16, 0x7fc00000
	s_mov_b32 s17, exec_lo
	v_cmpx_gt_u64_e32 0x81, v[5:6]
	s_cbranch_execz .LBB58_382
; %bb.379:
	v_dual_add_f32 v7, v8, v8 :: v_dual_mov_b32 v8, 1.0
	v_lshlrev_b64 v[5:6], 1, v[5:6]
	s_mov_b64 s[10:11], 2
	s_mov_b32 s18, 0
	s_delay_alu instid0(VALU_DEP_2)
	v_mov_b32_e32 v16, v7
	.p2align	6
.LBB58_380:                             ; =>This Inner Loop Header: Depth=1
	s_clz_i32_u32 s19, s11
	s_delay_alu instid0(SALU_CYCLE_1) | instskip(NEXT) | instid1(SALU_CYCLE_1)
	s_min_u32 s19, s19, 32
	s_lshl_b64 s[20:21], s[10:11], s19
	s_sub_i32 s19, 32, s19
	s_min_u32 s20, s20, 1
	s_delay_alu instid0(SALU_CYCLE_1) | instskip(SKIP_3) | instid1(SALU_CYCLE_1)
	s_or_b32 s20, s21, s20
	s_add_u32 s10, s10, 2
	v_cvt_f32_u32_e32 v37, s20
	s_addc_u32 s11, s11, 0
	v_cmp_ge_u64_e32 vcc_lo, s[10:11], v[5:6]
	s_delay_alu instid0(VALU_DEP_2) | instskip(SKIP_1) | instid1(VALU_DEP_1)
	v_ldexp_f32 v37, v37, s19
	s_or_b32 s18, vcc_lo, s18
	v_mul_f32_e32 v37, v8, v37
	v_mov_b32_e32 v8, v16
	s_delay_alu instid0(VALU_DEP_2)
	v_fma_f32 v16, v7, v16, -v37
	s_and_not1_b32 exec_lo, exec_lo, s18
	s_cbranch_execnz .LBB58_380
; %bb.381:
	s_or_b32 exec_lo, exec_lo, s18
.LBB58_382:
	s_delay_alu instid0(SALU_CYCLE_1)
	s_or_b32 exec_lo, exec_lo, s17
                                        ; implicit-def: $vgpr5_vgpr6_vgpr7_vgpr8
.LBB58_383:
	s_and_not1_saveexec_b32 s10, s16
; %bb.384:
	v_add_f32_e32 v16, v8, v8
; %bb.385:
	s_or_b32 exec_lo, exec_lo, s10
.LBB58_386:
	s_delay_alu instid0(SALU_CYCLE_1)
	s_or_b32 exec_lo, exec_lo, s14
.LBB58_387:
	s_delay_alu instid0(SALU_CYCLE_1) | instskip(SKIP_3) | instid1(VALU_DEP_1)
	s_or_b32 exec_lo, exec_lo, s13
	s_add_u32 s10, s4, s8
	s_addc_u32 s11, s5, s9
	v_add_co_u32 v7, s8, s10, v55
	v_add_co_ci_u32_e64 v8, null, s11, 0, s8
	s_clause 0x1
	global_store_b128 v55, v[1:4], s[10:11]
	global_store_b128 v56, v[21:24], s[10:11]
	v_add_co_u32 v5, vcc_lo, 0x2000, v7
	v_add_co_ci_u32_e32 v6, vcc_lo, 0, v8, vcc_lo
	v_add_co_u32 v1, vcc_lo, 0x6000, v7
	v_add_co_ci_u32_e32 v2, vcc_lo, 0, v8, vcc_lo
	;; [unrolled: 2-line block ×4, first 2 shown]
	s_clause 0x5
	global_store_b128 v[5:6], v[9:12], off
	global_store_b128 v[1:2], v[25:28], off
	global_store_b128 v53, v[33:36], s[10:11]
	global_store_b128 v54, v[17:20], s[10:11]
	global_store_b128 v[3:4], v[29:32], off
	global_store_b128 v[7:8], v[13:16], off
	s_branch .LBB58_2
.LBB58_388:
	s_clause 0x1
	s_load_b32 s10, s[0:1], 0x24
	s_load_b128 s[16:19], s[0:1], 0x28
	v_dual_mov_b32 v31, v0 :: v_dual_mov_b32 v0, s4
	v_dual_mov_b32 v1, s5 :: v_dual_mov_b32 v2, s6
	v_dual_mov_b32 v3, s7 :: v_dual_mov_b32 v4, s2
	v_dual_mov_b32 v5, s3 :: v_dual_mov_b32 v6, s12
	s_add_u32 s8, s0, 56
	s_addc_u32 s9, s1, 0
	s_mov_b32 s12, s15
	s_getpc_b64 s[0:1]
	s_add_u32 s0, s0, _ZN2at6native25elementwise_kernel_helperILb1ENS0_13BinaryFunctorIfffZZZNS0_12_GLOBAL__N_132hermite_polynomial_h_kernel_cudaERNS_18TensorIteratorBaseEENKUlvE_clEvENKUlvE0_clEvEUlffE_EENS0_6memory8policies11unroll_baseILi512ESt5arrayIPcLm3EE23TrivialOffsetCalculatorILi2EjESG_ILi1EjENSA_12LoadWithCastILi2EEENSA_13StoreWithCastILi1EEELi32ELi1EEEEEvT0_T1_@rel32@lo+4
	s_addc_u32 s1, s1, _ZN2at6native25elementwise_kernel_helperILb1ENS0_13BinaryFunctorIfffZZZNS0_12_GLOBAL__N_132hermite_polynomial_h_kernel_cudaERNS_18TensorIteratorBaseEENKUlvE_clEvENKUlvE0_clEvEUlffE_EENS0_6memory8policies11unroll_baseILi512ESt5arrayIPcLm3EE23TrivialOffsetCalculatorILi2EjESG_ILi1EjENSA_12LoadWithCastILi2EEENSA_13StoreWithCastILi1EEELi32ELi1EEEEEvT0_T1_@rel32@hi+12
	s_waitcnt lgkmcnt(0)
	v_lshrrev_b16 v8, 8, s10
	v_dual_mov_b32 v7, s10 :: v_dual_mov_b32 v10, s17
	v_dual_mov_b32 v9, s16 :: v_dual_mov_b32 v12, s19
	v_mov_b32_e32 v11, s18
	s_swappc_b64 s[30:31], s[0:1]
	s_endpgm
	.section	.rodata,"a",@progbits
	.p2align	6, 0x0
	.amdhsa_kernel _ZN2at6native39vectorized_templated_elementwise_kernelILi4ENS0_13BinaryFunctorIfffZZZNS0_12_GLOBAL__N_132hermite_polynomial_h_kernel_cudaERNS_18TensorIteratorBaseEENKUlvE_clEvENKUlvE0_clEvEUlffE_EESt5arrayIPcLm3EE23TrivialOffsetCalculatorILi2EjESD_ILi1EjENS0_6memory12LoadWithCastILi2EEENSG_13StoreWithCastILi1EEEfJfN3c104HalfEEEEviT0_T1_T2_T3_T4_T5_
		.amdhsa_group_segment_fixed_size 0
		.amdhsa_private_segment_fixed_size 272
		.amdhsa_kernarg_size 312
		.amdhsa_user_sgpr_count 15
		.amdhsa_user_sgpr_dispatch_ptr 0
		.amdhsa_user_sgpr_queue_ptr 0
		.amdhsa_user_sgpr_kernarg_segment_ptr 1
		.amdhsa_user_sgpr_dispatch_id 0
		.amdhsa_user_sgpr_private_segment_size 0
		.amdhsa_wavefront_size32 1
		.amdhsa_uses_dynamic_stack 0
		.amdhsa_enable_private_segment 1
		.amdhsa_system_sgpr_workgroup_id_x 1
		.amdhsa_system_sgpr_workgroup_id_y 0
		.amdhsa_system_sgpr_workgroup_id_z 0
		.amdhsa_system_sgpr_workgroup_info 0
		.amdhsa_system_vgpr_workitem_id 0
		.amdhsa_next_free_vgpr 68
		.amdhsa_next_free_sgpr 77
		.amdhsa_reserve_vcc 1
		.amdhsa_float_round_mode_32 0
		.amdhsa_float_round_mode_16_64 0
		.amdhsa_float_denorm_mode_32 3
		.amdhsa_float_denorm_mode_16_64 3
		.amdhsa_dx10_clamp 1
		.amdhsa_ieee_mode 1
		.amdhsa_fp16_overflow 0
		.amdhsa_workgroup_processor_mode 1
		.amdhsa_memory_ordered 1
		.amdhsa_forward_progress 0
		.amdhsa_shared_vgpr_count 0
		.amdhsa_exception_fp_ieee_invalid_op 0
		.amdhsa_exception_fp_denorm_src 0
		.amdhsa_exception_fp_ieee_div_zero 0
		.amdhsa_exception_fp_ieee_overflow 0
		.amdhsa_exception_fp_ieee_underflow 0
		.amdhsa_exception_fp_ieee_inexact 0
		.amdhsa_exception_int_div_zero 0
	.end_amdhsa_kernel
	.section	.text._ZN2at6native39vectorized_templated_elementwise_kernelILi4ENS0_13BinaryFunctorIfffZZZNS0_12_GLOBAL__N_132hermite_polynomial_h_kernel_cudaERNS_18TensorIteratorBaseEENKUlvE_clEvENKUlvE0_clEvEUlffE_EESt5arrayIPcLm3EE23TrivialOffsetCalculatorILi2EjESD_ILi1EjENS0_6memory12LoadWithCastILi2EEENSG_13StoreWithCastILi1EEEfJfN3c104HalfEEEEviT0_T1_T2_T3_T4_T5_,"axG",@progbits,_ZN2at6native39vectorized_templated_elementwise_kernelILi4ENS0_13BinaryFunctorIfffZZZNS0_12_GLOBAL__N_132hermite_polynomial_h_kernel_cudaERNS_18TensorIteratorBaseEENKUlvE_clEvENKUlvE0_clEvEUlffE_EESt5arrayIPcLm3EE23TrivialOffsetCalculatorILi2EjESD_ILi1EjENS0_6memory12LoadWithCastILi2EEENSG_13StoreWithCastILi1EEEfJfN3c104HalfEEEEviT0_T1_T2_T3_T4_T5_,comdat
.Lfunc_end58:
	.size	_ZN2at6native39vectorized_templated_elementwise_kernelILi4ENS0_13BinaryFunctorIfffZZZNS0_12_GLOBAL__N_132hermite_polynomial_h_kernel_cudaERNS_18TensorIteratorBaseEENKUlvE_clEvENKUlvE0_clEvEUlffE_EESt5arrayIPcLm3EE23TrivialOffsetCalculatorILi2EjESD_ILi1EjENS0_6memory12LoadWithCastILi2EEENSG_13StoreWithCastILi1EEEfJfN3c104HalfEEEEviT0_T1_T2_T3_T4_T5_, .Lfunc_end58-_ZN2at6native39vectorized_templated_elementwise_kernelILi4ENS0_13BinaryFunctorIfffZZZNS0_12_GLOBAL__N_132hermite_polynomial_h_kernel_cudaERNS_18TensorIteratorBaseEENKUlvE_clEvENKUlvE0_clEvEUlffE_EESt5arrayIPcLm3EE23TrivialOffsetCalculatorILi2EjESD_ILi1EjENS0_6memory12LoadWithCastILi2EEENSG_13StoreWithCastILi1EEEfJfN3c104HalfEEEEviT0_T1_T2_T3_T4_T5_
                                        ; -- End function
	.section	.AMDGPU.csdata,"",@progbits
; Kernel info:
; codeLenInByte = 9680
; NumSgprs: 79
; NumVgprs: 68
; ScratchSize: 272
; MemoryBound: 0
; FloatMode: 240
; IeeeMode: 1
; LDSByteSize: 0 bytes/workgroup (compile time only)
; SGPRBlocks: 9
; VGPRBlocks: 8
; NumSGPRsForWavesPerEU: 79
; NumVGPRsForWavesPerEU: 68
; Occupancy: 16
; WaveLimiterHint : 0
; COMPUTE_PGM_RSRC2:SCRATCH_EN: 1
; COMPUTE_PGM_RSRC2:USER_SGPR: 15
; COMPUTE_PGM_RSRC2:TRAP_HANDLER: 0
; COMPUTE_PGM_RSRC2:TGID_X_EN: 1
; COMPUTE_PGM_RSRC2:TGID_Y_EN: 0
; COMPUTE_PGM_RSRC2:TGID_Z_EN: 0
; COMPUTE_PGM_RSRC2:TIDIG_COMP_CNT: 0
	.section	.text._ZN2at6native39vectorized_templated_elementwise_kernelILi2ENS0_13BinaryFunctorIfffZZZNS0_12_GLOBAL__N_132hermite_polynomial_h_kernel_cudaERNS_18TensorIteratorBaseEENKUlvE_clEvENKUlvE0_clEvEUlffE_EESt5arrayIPcLm3EE23TrivialOffsetCalculatorILi2EjESD_ILi1EjENS0_6memory12LoadWithCastILi2EEENSG_13StoreWithCastILi1EEEfJfN3c104HalfEEEEviT0_T1_T2_T3_T4_T5_,"axG",@progbits,_ZN2at6native39vectorized_templated_elementwise_kernelILi2ENS0_13BinaryFunctorIfffZZZNS0_12_GLOBAL__N_132hermite_polynomial_h_kernel_cudaERNS_18TensorIteratorBaseEENKUlvE_clEvENKUlvE0_clEvEUlffE_EESt5arrayIPcLm3EE23TrivialOffsetCalculatorILi2EjESD_ILi1EjENS0_6memory12LoadWithCastILi2EEENSG_13StoreWithCastILi1EEEfJfN3c104HalfEEEEviT0_T1_T2_T3_T4_T5_,comdat
	.globl	_ZN2at6native39vectorized_templated_elementwise_kernelILi2ENS0_13BinaryFunctorIfffZZZNS0_12_GLOBAL__N_132hermite_polynomial_h_kernel_cudaERNS_18TensorIteratorBaseEENKUlvE_clEvENKUlvE0_clEvEUlffE_EESt5arrayIPcLm3EE23TrivialOffsetCalculatorILi2EjESD_ILi1EjENS0_6memory12LoadWithCastILi2EEENSG_13StoreWithCastILi1EEEfJfN3c104HalfEEEEviT0_T1_T2_T3_T4_T5_ ; -- Begin function _ZN2at6native39vectorized_templated_elementwise_kernelILi2ENS0_13BinaryFunctorIfffZZZNS0_12_GLOBAL__N_132hermite_polynomial_h_kernel_cudaERNS_18TensorIteratorBaseEENKUlvE_clEvENKUlvE0_clEvEUlffE_EESt5arrayIPcLm3EE23TrivialOffsetCalculatorILi2EjESD_ILi1EjENS0_6memory12LoadWithCastILi2EEENSG_13StoreWithCastILi1EEEfJfN3c104HalfEEEEviT0_T1_T2_T3_T4_T5_
	.p2align	8
	.type	_ZN2at6native39vectorized_templated_elementwise_kernelILi2ENS0_13BinaryFunctorIfffZZZNS0_12_GLOBAL__N_132hermite_polynomial_h_kernel_cudaERNS_18TensorIteratorBaseEENKUlvE_clEvENKUlvE0_clEvEUlffE_EESt5arrayIPcLm3EE23TrivialOffsetCalculatorILi2EjESD_ILi1EjENS0_6memory12LoadWithCastILi2EEENSG_13StoreWithCastILi1EEEfJfN3c104HalfEEEEviT0_T1_T2_T3_T4_T5_,@function
_ZN2at6native39vectorized_templated_elementwise_kernelILi2ENS0_13BinaryFunctorIfffZZZNS0_12_GLOBAL__N_132hermite_polynomial_h_kernel_cudaERNS_18TensorIteratorBaseEENKUlvE_clEvENKUlvE0_clEvEUlffE_EESt5arrayIPcLm3EE23TrivialOffsetCalculatorILi2EjESD_ILi1EjENS0_6memory12LoadWithCastILi2EEENSG_13StoreWithCastILi1EEEfJfN3c104HalfEEEEviT0_T1_T2_T3_T4_T5_: ; @_ZN2at6native39vectorized_templated_elementwise_kernelILi2ENS0_13BinaryFunctorIfffZZZNS0_12_GLOBAL__N_132hermite_polynomial_h_kernel_cudaERNS_18TensorIteratorBaseEENKUlvE_clEvENKUlvE0_clEvEUlffE_EESt5arrayIPcLm3EE23TrivialOffsetCalculatorILi2EjESD_ILi1EjENS0_6memory12LoadWithCastILi2EEENSG_13StoreWithCastILi1EEEfJfN3c104HalfEEEEviT0_T1_T2_T3_T4_T5_
; %bb.0:
	s_clause 0x3
	s_load_b32 s8, s[0:1], 0x38
	s_load_b32 s9, s[0:1], 0x0
	s_load_b64 s[2:3], s[0:1], 0x18
	s_load_b128 s[4:7], s[0:1], 0x8
	s_not_b32 s10, s15
	s_mov_b32 s32, 0
	s_waitcnt lgkmcnt(0)
	s_add_i32 s8, s8, s10
	s_delay_alu instid0(SALU_CYCLE_1) | instskip(SKIP_2) | instid1(SALU_CYCLE_1)
	s_lshl_b32 s10, s8, 14
	s_mov_b32 s8, -1
	s_sub_i32 s12, s9, s10
	s_cmpk_gt_i32 s12, 0x3fff
	s_cbranch_scc1 .LBB59_3
; %bb.1:
	s_and_b32 vcc_lo, exec_lo, s8
	s_cbranch_vccnz .LBB59_388
.LBB59_2:
	s_nop 0
	s_sendmsg sendmsg(MSG_DEALLOC_VGPRS)
	s_endpgm
.LBB59_3:
	s_ashr_i32 s11, s10, 31
	v_lshlrev_b32_e32 v37, 3, v0
	s_lshl_b64 s[8:9], s[10:11], 2
	v_or_b32_e32 v35, 0x400, v0
	s_add_u32 s16, s6, s8
	s_addc_u32 s17, s7, s9
	v_add_co_u32 v7, s13, s16, v37
	s_delay_alu instid0(VALU_DEP_1) | instskip(SKIP_1) | instid1(VALU_DEP_3)
	v_add_co_ci_u32_e64 v8, null, s17, 0, s13
	v_lshlrev_b32_e32 v40, 3, v35
	v_add_co_u32 v1, vcc_lo, 0x1000, v7
	s_delay_alu instid0(VALU_DEP_3)
	v_add_co_ci_u32_e32 v2, vcc_lo, 0, v8, vcc_lo
	v_add_co_u32 v3, vcc_lo, 0x3000, v7
	v_or_b32_e32 v45, 0x800, v0
	v_add_co_ci_u32_e32 v4, vcc_lo, 0, v8, vcc_lo
	v_or_b32_e32 v47, 0xc00, v0
	s_clause 0x3
	global_load_b64 v[5:6], v37, s[16:17]
	global_load_b64 v[11:12], v[1:2], off
	global_load_b64 v[13:14], v40, s[16:17]
	global_load_b64 v[19:20], v[3:4], off
	v_add_co_u32 v1, vcc_lo, 0x5000, v7
	v_lshlrev_b32_e32 v42, 3, v45
	v_add_co_ci_u32_e32 v2, vcc_lo, 0, v8, vcc_lo
	v_add_co_u32 v3, vcc_lo, 0x7000, v7
	v_lshlrev_b32_e32 v44, 3, v47
	v_or_b32_e32 v49, 0x1000, v0
	v_add_co_ci_u32_e32 v4, vcc_lo, 0, v8, vcc_lo
	v_or_b32_e32 v50, 0x1400, v0
	s_clause 0x3
	global_load_b64 v[23:24], v42, s[16:17]
	global_load_b64 v[27:28], v[1:2], off
	global_load_b64 v[31:32], v44, s[16:17]
	global_load_b64 v[33:34], v[3:4], off
	v_add_co_u32 v1, vcc_lo, 0x9000, v7
	v_lshlrev_b32_e32 v38, 3, v49
	v_add_co_ci_u32_e32 v2, vcc_lo, 0, v8, vcc_lo
	v_add_co_u32 v3, vcc_lo, 0xb000, v7
	v_lshlrev_b32_e32 v39, 3, v50
	v_or_b32_e32 v51, 0x1800, v0
	v_add_co_ci_u32_e32 v4, vcc_lo, 0, v8, vcc_lo
	v_or_b32_e32 v52, 0x1c00, v0
	s_clause 0x3
	global_load_b64 v[29:30], v38, s[16:17]
	global_load_b64 v[25:26], v[1:2], off
	global_load_b64 v[21:22], v39, s[16:17]
	global_load_b64 v[17:18], v[3:4], off
	v_add_co_u32 v1, vcc_lo, 0xd000, v7
	v_lshlrev_b32_e32 v41, 3, v51
	v_add_co_ci_u32_e32 v2, vcc_lo, 0, v8, vcc_lo
	v_lshlrev_b32_e32 v53, 2, v0
	v_add_co_u32 v3, vcc_lo, 0xf000, v7
	s_lshl_b64 s[10:11], s[10:11], 1
	v_lshlrev_b32_e32 v43, 3, v52
	v_add_co_ci_u32_e32 v4, vcc_lo, 0, v8, vcc_lo
	s_add_u32 s10, s2, s10
	s_clause 0x3
	global_load_b64 v[15:16], v41, s[16:17]
	global_load_b64 v[9:10], v[1:2], off
	global_load_b64 v[7:8], v43, s[16:17]
	global_load_b64 v[3:4], v[3:4], off
	s_addc_u32 s11, s3, s11
	v_add_co_u32 v1, s13, s10, v53
	s_delay_alu instid0(VALU_DEP_1) | instskip(SKIP_1) | instid1(VALU_DEP_3)
	v_add_co_ci_u32_e64 v63, null, s11, 0, s13
	v_lshlrev_b32_e32 v54, 2, v35
	v_add_co_u32 v35, vcc_lo, 0x1000, v1
	s_delay_alu instid0(VALU_DEP_3)
	v_add_co_ci_u32_e32 v36, vcc_lo, 0, v63, vcc_lo
	v_lshlrev_b32_e32 v55, 2, v45
	v_add_co_u32 v45, vcc_lo, 0x2000, v1
	v_add_co_ci_u32_e32 v46, vcc_lo, 0, v63, vcc_lo
	v_lshlrev_b32_e32 v60, 2, v47
	v_add_co_u32 v47, vcc_lo, 0x3000, v1
	v_add_co_ci_u32_e32 v48, vcc_lo, 0, v63, vcc_lo
	s_clause 0x7
	global_load_b32 v2, v53, s[10:11]
	global_load_b32 v59, v53, s[10:11] offset:2048
	global_load_b32 v58, v54, s[10:11]
	global_load_b32 v57, v[35:36], off offset:2048
	global_load_b32 v56, v55, s[10:11]
	global_load_b32 v55, v[45:46], off offset:2048
	;; [unrolled: 2-line block ×3, first 2 shown]
	v_add_co_u32 v35, vcc_lo, 0x4000, v1
	v_add_co_ci_u32_e32 v36, vcc_lo, 0, v63, vcc_lo
	v_add_co_u32 v45, vcc_lo, 0x5000, v1
	v_add_co_ci_u32_e32 v46, vcc_lo, 0, v63, vcc_lo
	v_lshlrev_b32_e32 v47, 2, v49
	v_add_co_u32 v60, vcc_lo, 0x6000, v1
	v_lshlrev_b32_e32 v48, 2, v50
	v_add_co_ci_u32_e32 v61, vcc_lo, 0, v63, vcc_lo
	v_add_co_u32 v62, vcc_lo, 0x7000, v1
	v_lshlrev_b32_e32 v64, 2, v51
	v_lshlrev_b32_e32 v65, 2, v52
	v_add_co_ci_u32_e32 v63, vcc_lo, 0, v63, vcc_lo
	s_clause 0x7
	global_load_b32 v52, v47, s[10:11]
	global_load_b32 v51, v[35:36], off offset:2048
	global_load_b32 v50, v48, s[10:11]
	global_load_b32 v49, v[45:46], off offset:2048
	;; [unrolled: 2-line block ×4, first 2 shown]
	s_mov_b32 s13, exec_lo
	s_waitcnt vmcnt(15)
	v_cvt_f32_f16_e32 v1, v2
	v_cmp_class_f16_e64 vcc_lo, v2, 0x1f8
	s_delay_alu instid0(VALU_DEP_2) | instskip(NEXT) | instid1(VALU_DEP_1)
	v_cvt_i32_f32_e32 v1, v1
	v_ashrrev_i32_e32 v35, 31, v1
	s_delay_alu instid0(VALU_DEP_1) | instskip(SKIP_1) | instid1(VALU_DEP_2)
	v_dual_cndmask_b32 v36, -1, v35 :: v_dual_cndmask_b32 v35, -1, v1
	v_mov_b32_e32 v1, 0
	v_cmpx_lt_i64_e32 -1, v[35:36]
	s_cbranch_execz .LBB59_15
; %bb.4:
	v_mov_b32_e32 v1, 1.0
	s_mov_b32 s14, exec_lo
	v_cmpx_lt_i64_e32 0, v[35:36]
	s_cbranch_execz .LBB59_14
; %bb.5:
                                        ; implicit-def: $vgpr1
	s_mov_b32 s10, exec_lo
	v_cmpx_ne_u64_e32 1, v[35:36]
	s_xor_b32 s16, exec_lo, s10
	s_cbranch_execz .LBB59_11
; %bb.6:
	v_mov_b32_e32 v1, 0x7fc00000
	s_mov_b32 s17, exec_lo
	v_cmpx_gt_u64_e32 0x81, v[35:36]
	s_cbranch_execz .LBB59_10
; %bb.7:
	v_dual_add_f32 v60, v5, v5 :: v_dual_mov_b32 v61, 1.0
	v_lshlrev_b64 v[35:36], 1, v[35:36]
	s_mov_b64 s[10:11], 2
	s_mov_b32 s18, 0
	s_delay_alu instid0(VALU_DEP_2)
	v_mov_b32_e32 v1, v60
	.p2align	6
.LBB59_8:                               ; =>This Inner Loop Header: Depth=1
	s_clz_i32_u32 s19, s11
	s_delay_alu instid0(SALU_CYCLE_1) | instskip(NEXT) | instid1(SALU_CYCLE_1)
	s_min_u32 s19, s19, 32
	s_lshl_b64 s[20:21], s[10:11], s19
	s_sub_i32 s19, 32, s19
	s_min_u32 s20, s20, 1
	s_delay_alu instid0(SALU_CYCLE_1) | instskip(SKIP_3) | instid1(SALU_CYCLE_1)
	s_or_b32 s20, s21, s20
	s_add_u32 s10, s10, 2
	v_cvt_f32_u32_e32 v62, s20
	s_addc_u32 s11, s11, 0
	v_cmp_ge_u64_e32 vcc_lo, s[10:11], v[35:36]
	s_delay_alu instid0(VALU_DEP_2) | instskip(SKIP_1) | instid1(VALU_DEP_1)
	v_ldexp_f32 v62, v62, s19
	s_or_b32 s18, vcc_lo, s18
	v_mul_f32_e32 v62, v61, v62
	v_mov_b32_e32 v61, v1
	s_delay_alu instid0(VALU_DEP_2)
	v_fma_f32 v1, v60, v1, -v62
	s_and_not1_b32 exec_lo, exec_lo, s18
	s_cbranch_execnz .LBB59_8
; %bb.9:
	s_or_b32 exec_lo, exec_lo, s18
.LBB59_10:
	s_delay_alu instid0(SALU_CYCLE_1)
	s_or_b32 exec_lo, exec_lo, s17
.LBB59_11:
	s_and_not1_saveexec_b32 s10, s16
; %bb.12:
	v_add_f32_e32 v1, v5, v5
; %bb.13:
	s_or_b32 exec_lo, exec_lo, s10
.LBB59_14:
	s_delay_alu instid0(SALU_CYCLE_1)
	s_or_b32 exec_lo, exec_lo, s14
.LBB59_15:
	s_delay_alu instid0(SALU_CYCLE_1) | instskip(SKIP_2) | instid1(VALU_DEP_1)
	s_or_b32 exec_lo, exec_lo, s13
	v_lshrrev_b32_e32 v2, 16, v2
	s_mov_b32 s13, exec_lo
	v_cvt_f32_f16_e32 v5, v2
	v_cmp_class_f16_e64 vcc_lo, v2, 0x1f8
	v_mov_b32_e32 v2, 0
	s_delay_alu instid0(VALU_DEP_3) | instskip(NEXT) | instid1(VALU_DEP_1)
	v_cvt_i32_f32_e32 v5, v5
	v_ashrrev_i32_e32 v35, 31, v5
	s_delay_alu instid0(VALU_DEP_1) | instskip(NEXT) | instid1(VALU_DEP_1)
	v_dual_cndmask_b32 v36, -1, v35 :: v_dual_cndmask_b32 v35, -1, v5
	v_cmpx_lt_i64_e32 -1, v[35:36]
	s_cbranch_execz .LBB59_27
; %bb.16:
	v_mov_b32_e32 v2, 1.0
	s_mov_b32 s14, exec_lo
	v_cmpx_lt_i64_e32 0, v[35:36]
	s_cbranch_execz .LBB59_26
; %bb.17:
	s_mov_b32 s10, exec_lo
	v_cmpx_ne_u64_e32 1, v[35:36]
	s_xor_b32 s16, exec_lo, s10
	s_cbranch_execz .LBB59_23
; %bb.18:
	v_mov_b32_e32 v2, 0x7fc00000
	s_mov_b32 s17, exec_lo
	v_cmpx_gt_u64_e32 0x81, v[35:36]
	s_cbranch_execz .LBB59_22
; %bb.19:
	v_add_f32_e32 v60, v6, v6
	v_lshlrev_b64 v[5:6], 1, v[35:36]
	v_mov_b32_e32 v35, 1.0
	s_mov_b64 s[10:11], 2
	s_mov_b32 s18, 0
	v_mov_b32_e32 v2, v60
	.p2align	6
.LBB59_20:                              ; =>This Inner Loop Header: Depth=1
	s_clz_i32_u32 s19, s11
	s_delay_alu instid0(SALU_CYCLE_1) | instskip(NEXT) | instid1(SALU_CYCLE_1)
	s_min_u32 s19, s19, 32
	s_lshl_b64 s[20:21], s[10:11], s19
	s_sub_i32 s19, 32, s19
	s_min_u32 s20, s20, 1
	s_delay_alu instid0(SALU_CYCLE_1) | instskip(SKIP_3) | instid1(SALU_CYCLE_1)
	s_or_b32 s20, s21, s20
	s_add_u32 s10, s10, 2
	v_cvt_f32_u32_e32 v36, s20
	s_addc_u32 s11, s11, 0
	v_cmp_ge_u64_e32 vcc_lo, s[10:11], v[5:6]
	s_delay_alu instid0(VALU_DEP_2) | instskip(SKIP_1) | instid1(VALU_DEP_1)
	v_ldexp_f32 v36, v36, s19
	s_or_b32 s18, vcc_lo, s18
	v_dual_mul_f32 v36, v35, v36 :: v_dual_mov_b32 v35, v2
	s_delay_alu instid0(VALU_DEP_1)
	v_fma_f32 v2, v60, v2, -v36
	s_and_not1_b32 exec_lo, exec_lo, s18
	s_cbranch_execnz .LBB59_20
; %bb.21:
	s_or_b32 exec_lo, exec_lo, s18
.LBB59_22:
	s_delay_alu instid0(SALU_CYCLE_1)
	s_or_b32 exec_lo, exec_lo, s17
                                        ; implicit-def: $vgpr5_vgpr6
.LBB59_23:
	s_and_not1_saveexec_b32 s10, s16
; %bb.24:
	v_add_f32_e32 v2, v6, v6
; %bb.25:
	s_or_b32 exec_lo, exec_lo, s10
.LBB59_26:
	s_delay_alu instid0(SALU_CYCLE_1)
	s_or_b32 exec_lo, exec_lo, s14
.LBB59_27:
	s_delay_alu instid0(SALU_CYCLE_1) | instskip(SKIP_4) | instid1(VALU_DEP_2)
	s_or_b32 exec_lo, exec_lo, s13
	s_waitcnt vmcnt(14)
	v_cvt_f32_f16_e32 v5, v59
	v_cmp_class_f16_e64 vcc_lo, v59, 0x1f8
	s_mov_b32 s13, exec_lo
	v_cvt_i32_f32_e32 v5, v5
	s_delay_alu instid0(VALU_DEP_1) | instskip(SKIP_1) | instid1(VALU_DEP_2)
	v_ashrrev_i32_e32 v6, 31, v5
	v_cndmask_b32_e32 v35, -1, v5, vcc_lo
	v_dual_mov_b32 v5, 0 :: v_dual_cndmask_b32 v36, -1, v6
	s_delay_alu instid0(VALU_DEP_1)
	v_cmpx_lt_i64_e32 -1, v[35:36]
	s_cbranch_execz .LBB59_39
; %bb.28:
	v_mov_b32_e32 v5, 1.0
	s_mov_b32 s14, exec_lo
	v_cmpx_lt_i64_e32 0, v[35:36]
	s_cbranch_execz .LBB59_38
; %bb.29:
                                        ; implicit-def: $vgpr5
	s_mov_b32 s10, exec_lo
	v_cmpx_ne_u64_e32 1, v[35:36]
	s_xor_b32 s16, exec_lo, s10
	s_cbranch_execz .LBB59_35
; %bb.30:
	v_mov_b32_e32 v5, 0x7fc00000
	s_mov_b32 s17, exec_lo
	v_cmpx_gt_u64_e32 0x81, v[35:36]
	s_cbranch_execz .LBB59_34
; %bb.31:
	v_add_f32_e32 v6, v11, v11
	v_lshlrev_b64 v[35:36], 1, v[35:36]
	v_mov_b32_e32 v60, 1.0
	s_mov_b64 s[10:11], 2
	s_mov_b32 s18, 0
	v_mov_b32_e32 v5, v6
	.p2align	6
.LBB59_32:                              ; =>This Inner Loop Header: Depth=1
	s_clz_i32_u32 s19, s11
	s_delay_alu instid0(SALU_CYCLE_1) | instskip(NEXT) | instid1(SALU_CYCLE_1)
	s_min_u32 s19, s19, 32
	s_lshl_b64 s[20:21], s[10:11], s19
	s_sub_i32 s19, 32, s19
	s_min_u32 s20, s20, 1
	s_delay_alu instid0(SALU_CYCLE_1) | instskip(SKIP_3) | instid1(SALU_CYCLE_1)
	s_or_b32 s20, s21, s20
	s_add_u32 s10, s10, 2
	v_cvt_f32_u32_e32 v61, s20
	s_addc_u32 s11, s11, 0
	v_cmp_ge_u64_e32 vcc_lo, s[10:11], v[35:36]
	s_delay_alu instid0(VALU_DEP_2) | instskip(SKIP_1) | instid1(VALU_DEP_1)
	v_ldexp_f32 v61, v61, s19
	s_or_b32 s18, vcc_lo, s18
	v_dual_mul_f32 v61, v60, v61 :: v_dual_mov_b32 v60, v5
	s_delay_alu instid0(VALU_DEP_1)
	v_fma_f32 v5, v6, v5, -v61
	s_and_not1_b32 exec_lo, exec_lo, s18
	s_cbranch_execnz .LBB59_32
; %bb.33:
	s_or_b32 exec_lo, exec_lo, s18
.LBB59_34:
	s_delay_alu instid0(SALU_CYCLE_1)
	s_or_b32 exec_lo, exec_lo, s17
.LBB59_35:
	s_and_not1_saveexec_b32 s10, s16
; %bb.36:
	v_add_f32_e32 v5, v11, v11
; %bb.37:
	s_or_b32 exec_lo, exec_lo, s10
.LBB59_38:
	s_delay_alu instid0(SALU_CYCLE_1)
	s_or_b32 exec_lo, exec_lo, s14
.LBB59_39:
	s_delay_alu instid0(SALU_CYCLE_1) | instskip(SKIP_2) | instid1(VALU_DEP_1)
	s_or_b32 exec_lo, exec_lo, s13
	v_lshrrev_b32_e32 v6, 16, v59
	s_mov_b32 s13, exec_lo
	v_cvt_f32_f16_e32 v11, v6
	v_cmp_class_f16_e64 vcc_lo, v6, 0x1f8
	v_mov_b32_e32 v6, 0
	s_delay_alu instid0(VALU_DEP_3) | instskip(NEXT) | instid1(VALU_DEP_1)
	v_cvt_i32_f32_e32 v11, v11
	v_ashrrev_i32_e32 v35, 31, v11
	s_delay_alu instid0(VALU_DEP_1) | instskip(SKIP_1) | instid1(VALU_DEP_1)
	v_cndmask_b32_e32 v36, -1, v35, vcc_lo
	v_cndmask_b32_e32 v35, -1, v11, vcc_lo
	v_cmpx_lt_i64_e32 -1, v[35:36]
	s_cbranch_execz .LBB59_51
; %bb.40:
	v_mov_b32_e32 v6, 1.0
	s_mov_b32 s14, exec_lo
	v_cmpx_lt_i64_e32 0, v[35:36]
	s_cbranch_execz .LBB59_50
; %bb.41:
	s_mov_b32 s10, exec_lo
	v_cmpx_ne_u64_e32 1, v[35:36]
	s_xor_b32 s16, exec_lo, s10
	s_cbranch_execz .LBB59_47
; %bb.42:
	v_mov_b32_e32 v6, 0x7fc00000
	s_mov_b32 s17, exec_lo
	v_cmpx_gt_u64_e32 0x81, v[35:36]
	s_cbranch_execz .LBB59_46
; %bb.43:
	v_add_f32_e32 v59, v12, v12
	v_lshlrev_b64 v[11:12], 1, v[35:36]
	v_mov_b32_e32 v35, 1.0
	s_mov_b64 s[10:11], 2
	s_mov_b32 s18, 0
	v_mov_b32_e32 v6, v59
	.p2align	6
.LBB59_44:                              ; =>This Inner Loop Header: Depth=1
	s_clz_i32_u32 s19, s11
	s_delay_alu instid0(SALU_CYCLE_1) | instskip(NEXT) | instid1(SALU_CYCLE_1)
	s_min_u32 s19, s19, 32
	s_lshl_b64 s[20:21], s[10:11], s19
	s_sub_i32 s19, 32, s19
	s_min_u32 s20, s20, 1
	s_delay_alu instid0(SALU_CYCLE_1) | instskip(SKIP_3) | instid1(SALU_CYCLE_1)
	s_or_b32 s20, s21, s20
	s_add_u32 s10, s10, 2
	v_cvt_f32_u32_e32 v36, s20
	s_addc_u32 s11, s11, 0
	v_cmp_ge_u64_e32 vcc_lo, s[10:11], v[11:12]
	s_delay_alu instid0(VALU_DEP_2) | instskip(SKIP_1) | instid1(VALU_DEP_1)
	v_ldexp_f32 v36, v36, s19
	s_or_b32 s18, vcc_lo, s18
	v_dual_mul_f32 v36, v35, v36 :: v_dual_mov_b32 v35, v6
	s_delay_alu instid0(VALU_DEP_1)
	v_fma_f32 v6, v59, v6, -v36
	s_and_not1_b32 exec_lo, exec_lo, s18
	s_cbranch_execnz .LBB59_44
; %bb.45:
	s_or_b32 exec_lo, exec_lo, s18
.LBB59_46:
	s_delay_alu instid0(SALU_CYCLE_1)
	s_or_b32 exec_lo, exec_lo, s17
                                        ; implicit-def: $vgpr11_vgpr12
.LBB59_47:
	s_and_not1_saveexec_b32 s10, s16
; %bb.48:
	v_add_f32_e32 v6, v12, v12
; %bb.49:
	s_or_b32 exec_lo, exec_lo, s10
.LBB59_50:
	s_delay_alu instid0(SALU_CYCLE_1)
	s_or_b32 exec_lo, exec_lo, s14
.LBB59_51:
	s_delay_alu instid0(SALU_CYCLE_1) | instskip(SKIP_4) | instid1(VALU_DEP_2)
	s_or_b32 exec_lo, exec_lo, s13
	s_waitcnt vmcnt(13)
	v_cvt_f32_f16_e32 v11, v58
	v_cmp_class_f16_e64 vcc_lo, v58, 0x1f8
	s_mov_b32 s13, exec_lo
	v_cvt_i32_f32_e32 v11, v11
	s_delay_alu instid0(VALU_DEP_1) | instskip(SKIP_1) | instid1(VALU_DEP_2)
	v_ashrrev_i32_e32 v12, 31, v11
	v_cndmask_b32_e32 v35, -1, v11, vcc_lo
	v_dual_mov_b32 v11, 0 :: v_dual_cndmask_b32 v36, -1, v12
	s_delay_alu instid0(VALU_DEP_1)
	v_cmpx_lt_i64_e32 -1, v[35:36]
	s_cbranch_execz .LBB59_63
; %bb.52:
	v_mov_b32_e32 v11, 1.0
	s_mov_b32 s14, exec_lo
	v_cmpx_lt_i64_e32 0, v[35:36]
	s_cbranch_execz .LBB59_62
; %bb.53:
                                        ; implicit-def: $vgpr11
	s_mov_b32 s10, exec_lo
	v_cmpx_ne_u64_e32 1, v[35:36]
	s_xor_b32 s16, exec_lo, s10
	s_cbranch_execz .LBB59_59
; %bb.54:
	v_mov_b32_e32 v11, 0x7fc00000
	s_mov_b32 s17, exec_lo
	v_cmpx_gt_u64_e32 0x81, v[35:36]
	s_cbranch_execz .LBB59_58
; %bb.55:
	v_dual_add_f32 v12, v13, v13 :: v_dual_mov_b32 v59, 1.0
	v_lshlrev_b64 v[35:36], 1, v[35:36]
	s_mov_b64 s[10:11], 2
	s_mov_b32 s18, 0
	s_delay_alu instid0(VALU_DEP_2)
	v_mov_b32_e32 v11, v12
	.p2align	6
.LBB59_56:                              ; =>This Inner Loop Header: Depth=1
	s_clz_i32_u32 s19, s11
	s_delay_alu instid0(SALU_CYCLE_1) | instskip(NEXT) | instid1(SALU_CYCLE_1)
	s_min_u32 s19, s19, 32
	s_lshl_b64 s[20:21], s[10:11], s19
	s_sub_i32 s19, 32, s19
	s_min_u32 s20, s20, 1
	s_delay_alu instid0(SALU_CYCLE_1) | instskip(SKIP_3) | instid1(SALU_CYCLE_1)
	s_or_b32 s20, s21, s20
	s_add_u32 s10, s10, 2
	v_cvt_f32_u32_e32 v60, s20
	s_addc_u32 s11, s11, 0
	v_cmp_ge_u64_e32 vcc_lo, s[10:11], v[35:36]
	s_delay_alu instid0(VALU_DEP_2) | instskip(SKIP_1) | instid1(VALU_DEP_1)
	v_ldexp_f32 v60, v60, s19
	s_or_b32 s18, vcc_lo, s18
	v_mul_f32_e32 v60, v59, v60
	v_mov_b32_e32 v59, v11
	s_delay_alu instid0(VALU_DEP_2)
	v_fma_f32 v11, v12, v11, -v60
	s_and_not1_b32 exec_lo, exec_lo, s18
	s_cbranch_execnz .LBB59_56
; %bb.57:
	s_or_b32 exec_lo, exec_lo, s18
.LBB59_58:
	s_delay_alu instid0(SALU_CYCLE_1)
	s_or_b32 exec_lo, exec_lo, s17
.LBB59_59:
	s_and_not1_saveexec_b32 s10, s16
; %bb.60:
	v_add_f32_e32 v11, v13, v13
; %bb.61:
	s_or_b32 exec_lo, exec_lo, s10
.LBB59_62:
	s_delay_alu instid0(SALU_CYCLE_1)
	s_or_b32 exec_lo, exec_lo, s14
.LBB59_63:
	s_delay_alu instid0(SALU_CYCLE_1) | instskip(SKIP_2) | instid1(VALU_DEP_1)
	s_or_b32 exec_lo, exec_lo, s13
	v_lshrrev_b32_e32 v12, 16, v58
	s_mov_b32 s13, exec_lo
	v_cvt_f32_f16_e32 v13, v12
	v_cmp_class_f16_e64 vcc_lo, v12, 0x1f8
	v_mov_b32_e32 v12, 0
	s_delay_alu instid0(VALU_DEP_3) | instskip(NEXT) | instid1(VALU_DEP_1)
	v_cvt_i32_f32_e32 v13, v13
	v_ashrrev_i32_e32 v35, 31, v13
	s_delay_alu instid0(VALU_DEP_1) | instskip(NEXT) | instid1(VALU_DEP_1)
	v_dual_cndmask_b32 v36, -1, v35 :: v_dual_cndmask_b32 v35, -1, v13
	v_cmpx_lt_i64_e32 -1, v[35:36]
	s_cbranch_execz .LBB59_75
; %bb.64:
	v_mov_b32_e32 v12, 1.0
	s_mov_b32 s14, exec_lo
	v_cmpx_lt_i64_e32 0, v[35:36]
	s_cbranch_execz .LBB59_74
; %bb.65:
	s_mov_b32 s10, exec_lo
	v_cmpx_ne_u64_e32 1, v[35:36]
	s_xor_b32 s16, exec_lo, s10
	s_cbranch_execz .LBB59_71
; %bb.66:
	v_mov_b32_e32 v12, 0x7fc00000
	s_mov_b32 s17, exec_lo
	v_cmpx_gt_u64_e32 0x81, v[35:36]
	s_cbranch_execz .LBB59_70
; %bb.67:
	v_add_f32_e32 v58, v14, v14
	v_lshlrev_b64 v[13:14], 1, v[35:36]
	v_mov_b32_e32 v35, 1.0
	s_mov_b64 s[10:11], 2
	s_mov_b32 s18, 0
	v_mov_b32_e32 v12, v58
	.p2align	6
.LBB59_68:                              ; =>This Inner Loop Header: Depth=1
	s_clz_i32_u32 s19, s11
	s_delay_alu instid0(SALU_CYCLE_1) | instskip(NEXT) | instid1(SALU_CYCLE_1)
	s_min_u32 s19, s19, 32
	s_lshl_b64 s[20:21], s[10:11], s19
	s_sub_i32 s19, 32, s19
	s_min_u32 s20, s20, 1
	s_delay_alu instid0(SALU_CYCLE_1) | instskip(SKIP_3) | instid1(SALU_CYCLE_1)
	s_or_b32 s20, s21, s20
	s_add_u32 s10, s10, 2
	v_cvt_f32_u32_e32 v36, s20
	s_addc_u32 s11, s11, 0
	v_cmp_ge_u64_e32 vcc_lo, s[10:11], v[13:14]
	s_delay_alu instid0(VALU_DEP_2) | instskip(SKIP_1) | instid1(VALU_DEP_1)
	v_ldexp_f32 v36, v36, s19
	s_or_b32 s18, vcc_lo, s18
	v_dual_mul_f32 v36, v35, v36 :: v_dual_mov_b32 v35, v12
	s_delay_alu instid0(VALU_DEP_1)
	v_fma_f32 v12, v58, v12, -v36
	s_and_not1_b32 exec_lo, exec_lo, s18
	s_cbranch_execnz .LBB59_68
; %bb.69:
	s_or_b32 exec_lo, exec_lo, s18
.LBB59_70:
	s_delay_alu instid0(SALU_CYCLE_1)
	s_or_b32 exec_lo, exec_lo, s17
                                        ; implicit-def: $vgpr13_vgpr14
.LBB59_71:
	s_and_not1_saveexec_b32 s10, s16
; %bb.72:
	v_add_f32_e32 v12, v14, v14
; %bb.73:
	s_or_b32 exec_lo, exec_lo, s10
.LBB59_74:
	s_delay_alu instid0(SALU_CYCLE_1)
	s_or_b32 exec_lo, exec_lo, s14
.LBB59_75:
	s_delay_alu instid0(SALU_CYCLE_1) | instskip(SKIP_4) | instid1(VALU_DEP_2)
	s_or_b32 exec_lo, exec_lo, s13
	s_waitcnt vmcnt(12)
	v_cvt_f32_f16_e32 v13, v57
	v_cmp_class_f16_e64 vcc_lo, v57, 0x1f8
	s_mov_b32 s13, exec_lo
	v_cvt_i32_f32_e32 v13, v13
	s_delay_alu instid0(VALU_DEP_1) | instskip(SKIP_1) | instid1(VALU_DEP_2)
	v_ashrrev_i32_e32 v14, 31, v13
	v_cndmask_b32_e32 v35, -1, v13, vcc_lo
	v_dual_mov_b32 v13, 0 :: v_dual_cndmask_b32 v36, -1, v14
	s_delay_alu instid0(VALU_DEP_1)
	v_cmpx_lt_i64_e32 -1, v[35:36]
	s_cbranch_execz .LBB59_87
; %bb.76:
	v_mov_b32_e32 v13, 1.0
	s_mov_b32 s14, exec_lo
	v_cmpx_lt_i64_e32 0, v[35:36]
	s_cbranch_execz .LBB59_86
; %bb.77:
                                        ; implicit-def: $vgpr13
	s_mov_b32 s10, exec_lo
	v_cmpx_ne_u64_e32 1, v[35:36]
	s_xor_b32 s16, exec_lo, s10
	s_cbranch_execz .LBB59_83
; %bb.78:
	v_mov_b32_e32 v13, 0x7fc00000
	s_mov_b32 s17, exec_lo
	v_cmpx_gt_u64_e32 0x81, v[35:36]
	s_cbranch_execz .LBB59_82
; %bb.79:
	v_add_f32_e32 v14, v19, v19
	v_lshlrev_b64 v[35:36], 1, v[35:36]
	v_mov_b32_e32 v58, 1.0
	s_mov_b64 s[10:11], 2
	s_mov_b32 s18, 0
	v_mov_b32_e32 v13, v14
	.p2align	6
.LBB59_80:                              ; =>This Inner Loop Header: Depth=1
	s_clz_i32_u32 s19, s11
	s_delay_alu instid0(SALU_CYCLE_1) | instskip(NEXT) | instid1(SALU_CYCLE_1)
	s_min_u32 s19, s19, 32
	s_lshl_b64 s[20:21], s[10:11], s19
	s_sub_i32 s19, 32, s19
	s_min_u32 s20, s20, 1
	s_delay_alu instid0(SALU_CYCLE_1) | instskip(SKIP_3) | instid1(SALU_CYCLE_1)
	s_or_b32 s20, s21, s20
	s_add_u32 s10, s10, 2
	v_cvt_f32_u32_e32 v59, s20
	s_addc_u32 s11, s11, 0
	v_cmp_ge_u64_e32 vcc_lo, s[10:11], v[35:36]
	s_delay_alu instid0(VALU_DEP_2) | instskip(SKIP_1) | instid1(VALU_DEP_1)
	v_ldexp_f32 v59, v59, s19
	s_or_b32 s18, vcc_lo, s18
	v_dual_mul_f32 v59, v58, v59 :: v_dual_mov_b32 v58, v13
	s_delay_alu instid0(VALU_DEP_1)
	v_fma_f32 v13, v14, v13, -v59
	s_and_not1_b32 exec_lo, exec_lo, s18
	s_cbranch_execnz .LBB59_80
; %bb.81:
	s_or_b32 exec_lo, exec_lo, s18
.LBB59_82:
	s_delay_alu instid0(SALU_CYCLE_1)
	s_or_b32 exec_lo, exec_lo, s17
.LBB59_83:
	s_and_not1_saveexec_b32 s10, s16
; %bb.84:
	v_add_f32_e32 v13, v19, v19
; %bb.85:
	s_or_b32 exec_lo, exec_lo, s10
.LBB59_86:
	s_delay_alu instid0(SALU_CYCLE_1)
	s_or_b32 exec_lo, exec_lo, s14
.LBB59_87:
	s_delay_alu instid0(SALU_CYCLE_1) | instskip(SKIP_2) | instid1(VALU_DEP_1)
	s_or_b32 exec_lo, exec_lo, s13
	v_lshrrev_b32_e32 v14, 16, v57
	s_mov_b32 s13, exec_lo
	v_cvt_f32_f16_e32 v19, v14
	v_cmp_class_f16_e64 vcc_lo, v14, 0x1f8
	v_mov_b32_e32 v14, 0
	s_delay_alu instid0(VALU_DEP_3) | instskip(NEXT) | instid1(VALU_DEP_1)
	v_cvt_i32_f32_e32 v19, v19
	v_ashrrev_i32_e32 v35, 31, v19
	s_delay_alu instid0(VALU_DEP_1) | instskip(SKIP_1) | instid1(VALU_DEP_1)
	v_cndmask_b32_e32 v36, -1, v35, vcc_lo
	v_cndmask_b32_e32 v35, -1, v19, vcc_lo
	v_cmpx_lt_i64_e32 -1, v[35:36]
	s_cbranch_execz .LBB59_99
; %bb.88:
	v_mov_b32_e32 v14, 1.0
	s_mov_b32 s14, exec_lo
	v_cmpx_lt_i64_e32 0, v[35:36]
	s_cbranch_execz .LBB59_98
; %bb.89:
	s_mov_b32 s10, exec_lo
	v_cmpx_ne_u64_e32 1, v[35:36]
	s_xor_b32 s16, exec_lo, s10
	s_cbranch_execz .LBB59_95
; %bb.90:
	v_mov_b32_e32 v14, 0x7fc00000
	s_mov_b32 s17, exec_lo
	v_cmpx_gt_u64_e32 0x81, v[35:36]
	s_cbranch_execz .LBB59_94
; %bb.91:
	v_add_f32_e32 v57, v20, v20
	v_lshlrev_b64 v[19:20], 1, v[35:36]
	v_mov_b32_e32 v35, 1.0
	s_mov_b64 s[10:11], 2
	s_mov_b32 s18, 0
	v_mov_b32_e32 v14, v57
	.p2align	6
.LBB59_92:                              ; =>This Inner Loop Header: Depth=1
	s_clz_i32_u32 s19, s11
	s_delay_alu instid0(SALU_CYCLE_1) | instskip(NEXT) | instid1(SALU_CYCLE_1)
	s_min_u32 s19, s19, 32
	s_lshl_b64 s[20:21], s[10:11], s19
	s_sub_i32 s19, 32, s19
	s_min_u32 s20, s20, 1
	s_delay_alu instid0(SALU_CYCLE_1) | instskip(SKIP_3) | instid1(SALU_CYCLE_1)
	s_or_b32 s20, s21, s20
	s_add_u32 s10, s10, 2
	v_cvt_f32_u32_e32 v36, s20
	s_addc_u32 s11, s11, 0
	v_cmp_ge_u64_e32 vcc_lo, s[10:11], v[19:20]
	s_delay_alu instid0(VALU_DEP_2) | instskip(SKIP_1) | instid1(VALU_DEP_1)
	v_ldexp_f32 v36, v36, s19
	s_or_b32 s18, vcc_lo, s18
	v_dual_mul_f32 v36, v35, v36 :: v_dual_mov_b32 v35, v14
	s_delay_alu instid0(VALU_DEP_1)
	v_fma_f32 v14, v57, v14, -v36
	s_and_not1_b32 exec_lo, exec_lo, s18
	s_cbranch_execnz .LBB59_92
; %bb.93:
	s_or_b32 exec_lo, exec_lo, s18
.LBB59_94:
	s_delay_alu instid0(SALU_CYCLE_1)
	s_or_b32 exec_lo, exec_lo, s17
                                        ; implicit-def: $vgpr19_vgpr20
.LBB59_95:
	s_and_not1_saveexec_b32 s10, s16
; %bb.96:
	v_add_f32_e32 v14, v20, v20
; %bb.97:
	s_or_b32 exec_lo, exec_lo, s10
.LBB59_98:
	s_delay_alu instid0(SALU_CYCLE_1)
	s_or_b32 exec_lo, exec_lo, s14
.LBB59_99:
	s_delay_alu instid0(SALU_CYCLE_1) | instskip(SKIP_4) | instid1(VALU_DEP_2)
	s_or_b32 exec_lo, exec_lo, s13
	s_waitcnt vmcnt(11)
	v_cvt_f32_f16_e32 v19, v56
	v_cmp_class_f16_e64 vcc_lo, v56, 0x1f8
	s_mov_b32 s13, exec_lo
	v_cvt_i32_f32_e32 v19, v19
	s_delay_alu instid0(VALU_DEP_1) | instskip(SKIP_1) | instid1(VALU_DEP_2)
	v_ashrrev_i32_e32 v20, 31, v19
	v_cndmask_b32_e32 v35, -1, v19, vcc_lo
	v_dual_mov_b32 v19, 0 :: v_dual_cndmask_b32 v36, -1, v20
	s_delay_alu instid0(VALU_DEP_1)
	v_cmpx_lt_i64_e32 -1, v[35:36]
	s_cbranch_execz .LBB59_111
; %bb.100:
	v_mov_b32_e32 v19, 1.0
	s_mov_b32 s14, exec_lo
	v_cmpx_lt_i64_e32 0, v[35:36]
	s_cbranch_execz .LBB59_110
; %bb.101:
                                        ; implicit-def: $vgpr19
	s_mov_b32 s10, exec_lo
	v_cmpx_ne_u64_e32 1, v[35:36]
	s_xor_b32 s16, exec_lo, s10
	s_cbranch_execz .LBB59_107
; %bb.102:
	v_mov_b32_e32 v19, 0x7fc00000
	s_mov_b32 s17, exec_lo
	v_cmpx_gt_u64_e32 0x81, v[35:36]
	s_cbranch_execz .LBB59_106
; %bb.103:
	v_dual_add_f32 v20, v23, v23 :: v_dual_mov_b32 v57, 1.0
	v_lshlrev_b64 v[35:36], 1, v[35:36]
	s_mov_b64 s[10:11], 2
	s_mov_b32 s18, 0
	s_delay_alu instid0(VALU_DEP_2)
	v_mov_b32_e32 v19, v20
	.p2align	6
.LBB59_104:                             ; =>This Inner Loop Header: Depth=1
	s_clz_i32_u32 s19, s11
	s_delay_alu instid0(SALU_CYCLE_1) | instskip(NEXT) | instid1(SALU_CYCLE_1)
	s_min_u32 s19, s19, 32
	s_lshl_b64 s[20:21], s[10:11], s19
	s_sub_i32 s19, 32, s19
	s_min_u32 s20, s20, 1
	s_delay_alu instid0(SALU_CYCLE_1) | instskip(SKIP_3) | instid1(SALU_CYCLE_1)
	s_or_b32 s20, s21, s20
	s_add_u32 s10, s10, 2
	v_cvt_f32_u32_e32 v58, s20
	s_addc_u32 s11, s11, 0
	v_cmp_ge_u64_e32 vcc_lo, s[10:11], v[35:36]
	s_delay_alu instid0(VALU_DEP_2) | instskip(SKIP_1) | instid1(VALU_DEP_1)
	v_ldexp_f32 v58, v58, s19
	s_or_b32 s18, vcc_lo, s18
	v_dual_mul_f32 v58, v57, v58 :: v_dual_mov_b32 v57, v19
	s_delay_alu instid0(VALU_DEP_1)
	v_fma_f32 v19, v20, v19, -v58
	s_and_not1_b32 exec_lo, exec_lo, s18
	s_cbranch_execnz .LBB59_104
; %bb.105:
	s_or_b32 exec_lo, exec_lo, s18
.LBB59_106:
	s_delay_alu instid0(SALU_CYCLE_1)
	s_or_b32 exec_lo, exec_lo, s17
.LBB59_107:
	s_and_not1_saveexec_b32 s10, s16
; %bb.108:
	v_add_f32_e32 v19, v23, v23
; %bb.109:
	s_or_b32 exec_lo, exec_lo, s10
.LBB59_110:
	s_delay_alu instid0(SALU_CYCLE_1)
	s_or_b32 exec_lo, exec_lo, s14
.LBB59_111:
	s_delay_alu instid0(SALU_CYCLE_1) | instskip(SKIP_2) | instid1(VALU_DEP_1)
	s_or_b32 exec_lo, exec_lo, s13
	v_lshrrev_b32_e32 v20, 16, v56
	s_mov_b32 s13, exec_lo
	v_cvt_f32_f16_e32 v23, v20
	v_cmp_class_f16_e64 vcc_lo, v20, 0x1f8
	v_mov_b32_e32 v20, 0
	s_delay_alu instid0(VALU_DEP_3) | instskip(NEXT) | instid1(VALU_DEP_1)
	v_cvt_i32_f32_e32 v23, v23
	v_ashrrev_i32_e32 v35, 31, v23
	s_delay_alu instid0(VALU_DEP_1) | instskip(SKIP_1) | instid1(VALU_DEP_1)
	v_cndmask_b32_e32 v36, -1, v35, vcc_lo
	v_cndmask_b32_e32 v35, -1, v23, vcc_lo
	v_cmpx_lt_i64_e32 -1, v[35:36]
	s_cbranch_execz .LBB59_123
; %bb.112:
	v_mov_b32_e32 v20, 1.0
	s_mov_b32 s14, exec_lo
	v_cmpx_lt_i64_e32 0, v[35:36]
	s_cbranch_execz .LBB59_122
; %bb.113:
	s_mov_b32 s10, exec_lo
	v_cmpx_ne_u64_e32 1, v[35:36]
	s_xor_b32 s16, exec_lo, s10
	s_cbranch_execz .LBB59_119
; %bb.114:
	v_mov_b32_e32 v20, 0x7fc00000
	s_mov_b32 s17, exec_lo
	v_cmpx_gt_u64_e32 0x81, v[35:36]
	s_cbranch_execz .LBB59_118
; %bb.115:
	v_add_f32_e32 v56, v24, v24
	v_lshlrev_b64 v[23:24], 1, v[35:36]
	v_mov_b32_e32 v35, 1.0
	s_mov_b64 s[10:11], 2
	s_mov_b32 s18, 0
	v_mov_b32_e32 v20, v56
	.p2align	6
.LBB59_116:                             ; =>This Inner Loop Header: Depth=1
	s_clz_i32_u32 s19, s11
	s_delay_alu instid0(SALU_CYCLE_1) | instskip(NEXT) | instid1(SALU_CYCLE_1)
	s_min_u32 s19, s19, 32
	s_lshl_b64 s[20:21], s[10:11], s19
	s_sub_i32 s19, 32, s19
	s_min_u32 s20, s20, 1
	s_delay_alu instid0(SALU_CYCLE_1) | instskip(SKIP_3) | instid1(SALU_CYCLE_1)
	s_or_b32 s20, s21, s20
	s_add_u32 s10, s10, 2
	v_cvt_f32_u32_e32 v36, s20
	s_addc_u32 s11, s11, 0
	v_cmp_ge_u64_e32 vcc_lo, s[10:11], v[23:24]
	s_delay_alu instid0(VALU_DEP_2) | instskip(SKIP_1) | instid1(VALU_DEP_1)
	v_ldexp_f32 v36, v36, s19
	s_or_b32 s18, vcc_lo, s18
	v_dual_mul_f32 v36, v35, v36 :: v_dual_mov_b32 v35, v20
	s_delay_alu instid0(VALU_DEP_1)
	v_fma_f32 v20, v56, v20, -v36
	s_and_not1_b32 exec_lo, exec_lo, s18
	s_cbranch_execnz .LBB59_116
; %bb.117:
	s_or_b32 exec_lo, exec_lo, s18
.LBB59_118:
	s_delay_alu instid0(SALU_CYCLE_1)
	s_or_b32 exec_lo, exec_lo, s17
                                        ; implicit-def: $vgpr23_vgpr24
.LBB59_119:
	s_and_not1_saveexec_b32 s10, s16
; %bb.120:
	v_add_f32_e32 v20, v24, v24
; %bb.121:
	s_or_b32 exec_lo, exec_lo, s10
.LBB59_122:
	s_delay_alu instid0(SALU_CYCLE_1)
	s_or_b32 exec_lo, exec_lo, s14
.LBB59_123:
	s_delay_alu instid0(SALU_CYCLE_1) | instskip(SKIP_4) | instid1(VALU_DEP_2)
	s_or_b32 exec_lo, exec_lo, s13
	s_waitcnt vmcnt(10)
	v_cvt_f32_f16_e32 v23, v55
	v_cmp_class_f16_e64 vcc_lo, v55, 0x1f8
	s_mov_b32 s13, exec_lo
	v_cvt_i32_f32_e32 v23, v23
	s_delay_alu instid0(VALU_DEP_1) | instskip(SKIP_1) | instid1(VALU_DEP_2)
	v_ashrrev_i32_e32 v24, 31, v23
	v_cndmask_b32_e32 v35, -1, v23, vcc_lo
	v_dual_mov_b32 v23, 0 :: v_dual_cndmask_b32 v36, -1, v24
	s_delay_alu instid0(VALU_DEP_1)
	v_cmpx_lt_i64_e32 -1, v[35:36]
	s_cbranch_execz .LBB59_135
; %bb.124:
	v_mov_b32_e32 v23, 1.0
	s_mov_b32 s14, exec_lo
	v_cmpx_lt_i64_e32 0, v[35:36]
	s_cbranch_execz .LBB59_134
; %bb.125:
                                        ; implicit-def: $vgpr23
	s_mov_b32 s10, exec_lo
	v_cmpx_ne_u64_e32 1, v[35:36]
	s_xor_b32 s16, exec_lo, s10
	s_cbranch_execz .LBB59_131
; %bb.126:
	v_mov_b32_e32 v23, 0x7fc00000
	s_mov_b32 s17, exec_lo
	v_cmpx_gt_u64_e32 0x81, v[35:36]
	s_cbranch_execz .LBB59_130
; %bb.127:
	v_add_f32_e32 v24, v27, v27
	v_lshlrev_b64 v[35:36], 1, v[35:36]
	v_mov_b32_e32 v56, 1.0
	s_mov_b64 s[10:11], 2
	s_mov_b32 s18, 0
	v_mov_b32_e32 v23, v24
	.p2align	6
.LBB59_128:                             ; =>This Inner Loop Header: Depth=1
	s_clz_i32_u32 s19, s11
	s_delay_alu instid0(SALU_CYCLE_1) | instskip(NEXT) | instid1(SALU_CYCLE_1)
	s_min_u32 s19, s19, 32
	s_lshl_b64 s[20:21], s[10:11], s19
	s_sub_i32 s19, 32, s19
	s_min_u32 s20, s20, 1
	s_delay_alu instid0(SALU_CYCLE_1) | instskip(SKIP_3) | instid1(SALU_CYCLE_1)
	s_or_b32 s20, s21, s20
	s_add_u32 s10, s10, 2
	v_cvt_f32_u32_e32 v57, s20
	s_addc_u32 s11, s11, 0
	v_cmp_ge_u64_e32 vcc_lo, s[10:11], v[35:36]
	s_delay_alu instid0(VALU_DEP_2) | instskip(SKIP_1) | instid1(VALU_DEP_1)
	v_ldexp_f32 v57, v57, s19
	s_or_b32 s18, vcc_lo, s18
	v_dual_mul_f32 v57, v56, v57 :: v_dual_mov_b32 v56, v23
	s_delay_alu instid0(VALU_DEP_1)
	v_fma_f32 v23, v24, v23, -v57
	s_and_not1_b32 exec_lo, exec_lo, s18
	s_cbranch_execnz .LBB59_128
; %bb.129:
	s_or_b32 exec_lo, exec_lo, s18
.LBB59_130:
	s_delay_alu instid0(SALU_CYCLE_1)
	s_or_b32 exec_lo, exec_lo, s17
.LBB59_131:
	s_and_not1_saveexec_b32 s10, s16
; %bb.132:
	v_add_f32_e32 v23, v27, v27
; %bb.133:
	s_or_b32 exec_lo, exec_lo, s10
.LBB59_134:
	s_delay_alu instid0(SALU_CYCLE_1)
	s_or_b32 exec_lo, exec_lo, s14
.LBB59_135:
	s_delay_alu instid0(SALU_CYCLE_1) | instskip(SKIP_2) | instid1(VALU_DEP_1)
	s_or_b32 exec_lo, exec_lo, s13
	v_lshrrev_b32_e32 v24, 16, v55
	s_mov_b32 s13, exec_lo
	v_cvt_f32_f16_e32 v27, v24
	v_cmp_class_f16_e64 vcc_lo, v24, 0x1f8
	v_mov_b32_e32 v24, 0
	s_delay_alu instid0(VALU_DEP_3) | instskip(NEXT) | instid1(VALU_DEP_1)
	v_cvt_i32_f32_e32 v27, v27
	v_ashrrev_i32_e32 v35, 31, v27
	s_delay_alu instid0(VALU_DEP_1) | instskip(SKIP_1) | instid1(VALU_DEP_1)
	v_cndmask_b32_e32 v36, -1, v35, vcc_lo
	v_cndmask_b32_e32 v35, -1, v27, vcc_lo
	v_cmpx_lt_i64_e32 -1, v[35:36]
	s_cbranch_execz .LBB59_147
; %bb.136:
	v_mov_b32_e32 v24, 1.0
	s_mov_b32 s14, exec_lo
	v_cmpx_lt_i64_e32 0, v[35:36]
	s_cbranch_execz .LBB59_146
; %bb.137:
	s_mov_b32 s10, exec_lo
	v_cmpx_ne_u64_e32 1, v[35:36]
	s_xor_b32 s16, exec_lo, s10
	s_cbranch_execz .LBB59_143
; %bb.138:
	v_mov_b32_e32 v24, 0x7fc00000
	s_mov_b32 s17, exec_lo
	v_cmpx_gt_u64_e32 0x81, v[35:36]
	s_cbranch_execz .LBB59_142
; %bb.139:
	v_add_f32_e32 v55, v28, v28
	v_lshlrev_b64 v[27:28], 1, v[35:36]
	v_mov_b32_e32 v35, 1.0
	s_mov_b64 s[10:11], 2
	s_mov_b32 s18, 0
	v_mov_b32_e32 v24, v55
	.p2align	6
.LBB59_140:                             ; =>This Inner Loop Header: Depth=1
	s_clz_i32_u32 s19, s11
	s_delay_alu instid0(SALU_CYCLE_1) | instskip(NEXT) | instid1(SALU_CYCLE_1)
	s_min_u32 s19, s19, 32
	s_lshl_b64 s[20:21], s[10:11], s19
	s_sub_i32 s19, 32, s19
	s_min_u32 s20, s20, 1
	s_delay_alu instid0(SALU_CYCLE_1) | instskip(SKIP_3) | instid1(SALU_CYCLE_1)
	s_or_b32 s20, s21, s20
	s_add_u32 s10, s10, 2
	v_cvt_f32_u32_e32 v36, s20
	s_addc_u32 s11, s11, 0
	v_cmp_ge_u64_e32 vcc_lo, s[10:11], v[27:28]
	s_delay_alu instid0(VALU_DEP_2) | instskip(SKIP_1) | instid1(VALU_DEP_1)
	v_ldexp_f32 v36, v36, s19
	s_or_b32 s18, vcc_lo, s18
	v_dual_mul_f32 v36, v35, v36 :: v_dual_mov_b32 v35, v24
	s_delay_alu instid0(VALU_DEP_1)
	v_fma_f32 v24, v55, v24, -v36
	s_and_not1_b32 exec_lo, exec_lo, s18
	s_cbranch_execnz .LBB59_140
; %bb.141:
	s_or_b32 exec_lo, exec_lo, s18
.LBB59_142:
	s_delay_alu instid0(SALU_CYCLE_1)
	s_or_b32 exec_lo, exec_lo, s17
                                        ; implicit-def: $vgpr27_vgpr28
.LBB59_143:
	s_and_not1_saveexec_b32 s10, s16
; %bb.144:
	v_add_f32_e32 v24, v28, v28
; %bb.145:
	s_or_b32 exec_lo, exec_lo, s10
.LBB59_146:
	s_delay_alu instid0(SALU_CYCLE_1)
	s_or_b32 exec_lo, exec_lo, s14
.LBB59_147:
	s_delay_alu instid0(SALU_CYCLE_1) | instskip(SKIP_4) | instid1(VALU_DEP_2)
	s_or_b32 exec_lo, exec_lo, s13
	s_waitcnt vmcnt(9)
	v_cvt_f32_f16_e32 v27, v54
	v_cmp_class_f16_e64 vcc_lo, v54, 0x1f8
	s_mov_b32 s13, exec_lo
	v_cvt_i32_f32_e32 v27, v27
	s_delay_alu instid0(VALU_DEP_1) | instskip(SKIP_1) | instid1(VALU_DEP_2)
	v_ashrrev_i32_e32 v28, 31, v27
	v_cndmask_b32_e32 v35, -1, v27, vcc_lo
	v_dual_mov_b32 v27, 0 :: v_dual_cndmask_b32 v36, -1, v28
	s_delay_alu instid0(VALU_DEP_1)
	v_cmpx_lt_i64_e32 -1, v[35:36]
	s_cbranch_execz .LBB59_159
; %bb.148:
	v_mov_b32_e32 v27, 1.0
	s_mov_b32 s14, exec_lo
	v_cmpx_lt_i64_e32 0, v[35:36]
	s_cbranch_execz .LBB59_158
; %bb.149:
                                        ; implicit-def: $vgpr27
	s_mov_b32 s10, exec_lo
	v_cmpx_ne_u64_e32 1, v[35:36]
	s_xor_b32 s16, exec_lo, s10
	s_cbranch_execz .LBB59_155
; %bb.150:
	v_mov_b32_e32 v27, 0x7fc00000
	s_mov_b32 s17, exec_lo
	v_cmpx_gt_u64_e32 0x81, v[35:36]
	s_cbranch_execz .LBB59_154
; %bb.151:
	v_dual_add_f32 v28, v31, v31 :: v_dual_mov_b32 v55, 1.0
	v_lshlrev_b64 v[35:36], 1, v[35:36]
	s_mov_b64 s[10:11], 2
	s_mov_b32 s18, 0
	s_delay_alu instid0(VALU_DEP_2)
	v_mov_b32_e32 v27, v28
	.p2align	6
.LBB59_152:                             ; =>This Inner Loop Header: Depth=1
	s_clz_i32_u32 s19, s11
	s_delay_alu instid0(SALU_CYCLE_1) | instskip(NEXT) | instid1(SALU_CYCLE_1)
	s_min_u32 s19, s19, 32
	s_lshl_b64 s[20:21], s[10:11], s19
	s_sub_i32 s19, 32, s19
	s_min_u32 s20, s20, 1
	s_delay_alu instid0(SALU_CYCLE_1) | instskip(SKIP_3) | instid1(SALU_CYCLE_1)
	s_or_b32 s20, s21, s20
	s_add_u32 s10, s10, 2
	v_cvt_f32_u32_e32 v56, s20
	s_addc_u32 s11, s11, 0
	v_cmp_ge_u64_e32 vcc_lo, s[10:11], v[35:36]
	s_delay_alu instid0(VALU_DEP_2) | instskip(SKIP_1) | instid1(VALU_DEP_1)
	v_ldexp_f32 v56, v56, s19
	s_or_b32 s18, vcc_lo, s18
	v_mul_f32_e32 v56, v55, v56
	v_mov_b32_e32 v55, v27
	s_delay_alu instid0(VALU_DEP_2)
	v_fma_f32 v27, v28, v27, -v56
	s_and_not1_b32 exec_lo, exec_lo, s18
	s_cbranch_execnz .LBB59_152
; %bb.153:
	s_or_b32 exec_lo, exec_lo, s18
.LBB59_154:
	s_delay_alu instid0(SALU_CYCLE_1)
	s_or_b32 exec_lo, exec_lo, s17
.LBB59_155:
	s_and_not1_saveexec_b32 s10, s16
; %bb.156:
	v_add_f32_e32 v27, v31, v31
; %bb.157:
	s_or_b32 exec_lo, exec_lo, s10
.LBB59_158:
	s_delay_alu instid0(SALU_CYCLE_1)
	s_or_b32 exec_lo, exec_lo, s14
.LBB59_159:
	s_delay_alu instid0(SALU_CYCLE_1) | instskip(SKIP_2) | instid1(VALU_DEP_1)
	s_or_b32 exec_lo, exec_lo, s13
	v_lshrrev_b32_e32 v28, 16, v54
	s_mov_b32 s13, exec_lo
	v_cvt_f32_f16_e32 v31, v28
	v_cmp_class_f16_e64 vcc_lo, v28, 0x1f8
	v_mov_b32_e32 v28, 0
	s_delay_alu instid0(VALU_DEP_3) | instskip(NEXT) | instid1(VALU_DEP_1)
	v_cvt_i32_f32_e32 v31, v31
	v_ashrrev_i32_e32 v35, 31, v31
	s_delay_alu instid0(VALU_DEP_1) | instskip(SKIP_1) | instid1(VALU_DEP_1)
	v_cndmask_b32_e32 v36, -1, v35, vcc_lo
	v_cndmask_b32_e32 v35, -1, v31, vcc_lo
	v_cmpx_lt_i64_e32 -1, v[35:36]
	s_cbranch_execz .LBB59_171
; %bb.160:
	v_mov_b32_e32 v28, 1.0
	s_mov_b32 s14, exec_lo
	v_cmpx_lt_i64_e32 0, v[35:36]
	s_cbranch_execz .LBB59_170
; %bb.161:
	s_mov_b32 s10, exec_lo
	v_cmpx_ne_u64_e32 1, v[35:36]
	s_xor_b32 s16, exec_lo, s10
	s_cbranch_execz .LBB59_167
; %bb.162:
	v_mov_b32_e32 v28, 0x7fc00000
	s_mov_b32 s17, exec_lo
	v_cmpx_gt_u64_e32 0x81, v[35:36]
	s_cbranch_execz .LBB59_166
; %bb.163:
	v_add_f32_e32 v54, v32, v32
	v_lshlrev_b64 v[31:32], 1, v[35:36]
	v_mov_b32_e32 v35, 1.0
	s_mov_b64 s[10:11], 2
	s_mov_b32 s18, 0
	v_mov_b32_e32 v28, v54
	.p2align	6
.LBB59_164:                             ; =>This Inner Loop Header: Depth=1
	s_clz_i32_u32 s19, s11
	s_delay_alu instid0(SALU_CYCLE_1) | instskip(NEXT) | instid1(SALU_CYCLE_1)
	s_min_u32 s19, s19, 32
	s_lshl_b64 s[20:21], s[10:11], s19
	s_sub_i32 s19, 32, s19
	s_min_u32 s20, s20, 1
	s_delay_alu instid0(SALU_CYCLE_1) | instskip(SKIP_3) | instid1(SALU_CYCLE_1)
	s_or_b32 s20, s21, s20
	s_add_u32 s10, s10, 2
	v_cvt_f32_u32_e32 v36, s20
	s_addc_u32 s11, s11, 0
	v_cmp_ge_u64_e32 vcc_lo, s[10:11], v[31:32]
	s_delay_alu instid0(VALU_DEP_2) | instskip(SKIP_1) | instid1(VALU_DEP_1)
	v_ldexp_f32 v36, v36, s19
	s_or_b32 s18, vcc_lo, s18
	v_dual_mul_f32 v36, v35, v36 :: v_dual_mov_b32 v35, v28
	s_delay_alu instid0(VALU_DEP_1)
	v_fma_f32 v28, v54, v28, -v36
	s_and_not1_b32 exec_lo, exec_lo, s18
	s_cbranch_execnz .LBB59_164
; %bb.165:
	s_or_b32 exec_lo, exec_lo, s18
.LBB59_166:
	s_delay_alu instid0(SALU_CYCLE_1)
	s_or_b32 exec_lo, exec_lo, s17
                                        ; implicit-def: $vgpr31_vgpr32
.LBB59_167:
	s_and_not1_saveexec_b32 s10, s16
; %bb.168:
	v_add_f32_e32 v28, v32, v32
; %bb.169:
	s_or_b32 exec_lo, exec_lo, s10
.LBB59_170:
	s_delay_alu instid0(SALU_CYCLE_1)
	s_or_b32 exec_lo, exec_lo, s14
.LBB59_171:
	s_delay_alu instid0(SALU_CYCLE_1) | instskip(SKIP_4) | instid1(VALU_DEP_2)
	s_or_b32 exec_lo, exec_lo, s13
	s_waitcnt vmcnt(8)
	v_cvt_f32_f16_e32 v31, v53
	v_cmp_class_f16_e64 vcc_lo, v53, 0x1f8
	s_mov_b32 s13, exec_lo
	v_cvt_i32_f32_e32 v31, v31
	s_delay_alu instid0(VALU_DEP_1) | instskip(SKIP_1) | instid1(VALU_DEP_2)
	v_ashrrev_i32_e32 v32, 31, v31
	v_cndmask_b32_e32 v35, -1, v31, vcc_lo
	v_dual_mov_b32 v31, 0 :: v_dual_cndmask_b32 v36, -1, v32
	s_delay_alu instid0(VALU_DEP_1)
	v_cmpx_lt_i64_e32 -1, v[35:36]
	s_cbranch_execz .LBB59_183
; %bb.172:
	v_mov_b32_e32 v31, 1.0
	s_mov_b32 s14, exec_lo
	v_cmpx_lt_i64_e32 0, v[35:36]
	s_cbranch_execz .LBB59_182
; %bb.173:
                                        ; implicit-def: $vgpr31
	s_mov_b32 s10, exec_lo
	v_cmpx_ne_u64_e32 1, v[35:36]
	s_xor_b32 s16, exec_lo, s10
	s_cbranch_execz .LBB59_179
; %bb.174:
	v_mov_b32_e32 v31, 0x7fc00000
	s_mov_b32 s17, exec_lo
	v_cmpx_gt_u64_e32 0x81, v[35:36]
	s_cbranch_execz .LBB59_178
; %bb.175:
	v_add_f32_e32 v32, v33, v33
	v_lshlrev_b64 v[35:36], 1, v[35:36]
	v_mov_b32_e32 v54, 1.0
	s_mov_b64 s[10:11], 2
	s_mov_b32 s18, 0
	v_mov_b32_e32 v31, v32
	.p2align	6
.LBB59_176:                             ; =>This Inner Loop Header: Depth=1
	s_clz_i32_u32 s19, s11
	s_delay_alu instid0(SALU_CYCLE_1) | instskip(NEXT) | instid1(SALU_CYCLE_1)
	s_min_u32 s19, s19, 32
	s_lshl_b64 s[20:21], s[10:11], s19
	s_sub_i32 s19, 32, s19
	s_min_u32 s20, s20, 1
	s_delay_alu instid0(SALU_CYCLE_1) | instskip(SKIP_3) | instid1(SALU_CYCLE_1)
	s_or_b32 s20, s21, s20
	s_add_u32 s10, s10, 2
	v_cvt_f32_u32_e32 v55, s20
	s_addc_u32 s11, s11, 0
	v_cmp_ge_u64_e32 vcc_lo, s[10:11], v[35:36]
	s_delay_alu instid0(VALU_DEP_2) | instskip(SKIP_1) | instid1(VALU_DEP_1)
	v_ldexp_f32 v55, v55, s19
	s_or_b32 s18, vcc_lo, s18
	v_dual_mul_f32 v55, v54, v55 :: v_dual_mov_b32 v54, v31
	s_delay_alu instid0(VALU_DEP_1)
	v_fma_f32 v31, v32, v31, -v55
	s_and_not1_b32 exec_lo, exec_lo, s18
	s_cbranch_execnz .LBB59_176
; %bb.177:
	s_or_b32 exec_lo, exec_lo, s18
.LBB59_178:
	s_delay_alu instid0(SALU_CYCLE_1)
	s_or_b32 exec_lo, exec_lo, s17
.LBB59_179:
	s_and_not1_saveexec_b32 s10, s16
; %bb.180:
	v_add_f32_e32 v31, v33, v33
; %bb.181:
	s_or_b32 exec_lo, exec_lo, s10
.LBB59_182:
	s_delay_alu instid0(SALU_CYCLE_1)
	s_or_b32 exec_lo, exec_lo, s14
.LBB59_183:
	s_delay_alu instid0(SALU_CYCLE_1) | instskip(SKIP_2) | instid1(VALU_DEP_1)
	s_or_b32 exec_lo, exec_lo, s13
	v_lshrrev_b32_e32 v32, 16, v53
	s_mov_b32 s13, exec_lo
	v_cvt_f32_f16_e32 v33, v32
	v_cmp_class_f16_e64 vcc_lo, v32, 0x1f8
	v_mov_b32_e32 v32, 0
	s_delay_alu instid0(VALU_DEP_3) | instskip(NEXT) | instid1(VALU_DEP_1)
	v_cvt_i32_f32_e32 v33, v33
	v_ashrrev_i32_e32 v35, 31, v33
	s_delay_alu instid0(VALU_DEP_1) | instskip(NEXT) | instid1(VALU_DEP_1)
	v_dual_cndmask_b32 v36, -1, v35 :: v_dual_cndmask_b32 v35, -1, v33
	v_cmpx_lt_i64_e32 -1, v[35:36]
	s_cbranch_execz .LBB59_195
; %bb.184:
	v_mov_b32_e32 v32, 1.0
	s_mov_b32 s14, exec_lo
	v_cmpx_lt_i64_e32 0, v[35:36]
	s_cbranch_execz .LBB59_194
; %bb.185:
	s_mov_b32 s10, exec_lo
	v_cmpx_ne_u64_e32 1, v[35:36]
	s_xor_b32 s16, exec_lo, s10
	s_cbranch_execz .LBB59_191
; %bb.186:
	v_mov_b32_e32 v32, 0x7fc00000
	s_mov_b32 s17, exec_lo
	v_cmpx_gt_u64_e32 0x81, v[35:36]
	s_cbranch_execz .LBB59_190
; %bb.187:
	v_add_f32_e32 v53, v34, v34
	v_lshlrev_b64 v[33:34], 1, v[35:36]
	v_mov_b32_e32 v35, 1.0
	s_mov_b64 s[10:11], 2
	s_mov_b32 s18, 0
	v_mov_b32_e32 v32, v53
	.p2align	6
.LBB59_188:                             ; =>This Inner Loop Header: Depth=1
	s_clz_i32_u32 s19, s11
	s_delay_alu instid0(SALU_CYCLE_1) | instskip(NEXT) | instid1(SALU_CYCLE_1)
	s_min_u32 s19, s19, 32
	s_lshl_b64 s[20:21], s[10:11], s19
	s_sub_i32 s19, 32, s19
	s_min_u32 s20, s20, 1
	s_delay_alu instid0(SALU_CYCLE_1) | instskip(SKIP_3) | instid1(SALU_CYCLE_1)
	s_or_b32 s20, s21, s20
	s_add_u32 s10, s10, 2
	v_cvt_f32_u32_e32 v36, s20
	s_addc_u32 s11, s11, 0
	v_cmp_ge_u64_e32 vcc_lo, s[10:11], v[33:34]
	s_delay_alu instid0(VALU_DEP_2) | instskip(SKIP_1) | instid1(VALU_DEP_1)
	v_ldexp_f32 v36, v36, s19
	s_or_b32 s18, vcc_lo, s18
	v_dual_mul_f32 v36, v35, v36 :: v_dual_mov_b32 v35, v32
	s_delay_alu instid0(VALU_DEP_1)
	v_fma_f32 v32, v53, v32, -v36
	s_and_not1_b32 exec_lo, exec_lo, s18
	s_cbranch_execnz .LBB59_188
; %bb.189:
	s_or_b32 exec_lo, exec_lo, s18
.LBB59_190:
	s_delay_alu instid0(SALU_CYCLE_1)
	s_or_b32 exec_lo, exec_lo, s17
                                        ; implicit-def: $vgpr33_vgpr34
.LBB59_191:
	s_and_not1_saveexec_b32 s10, s16
; %bb.192:
	v_add_f32_e32 v32, v34, v34
; %bb.193:
	s_or_b32 exec_lo, exec_lo, s10
.LBB59_194:
	s_delay_alu instid0(SALU_CYCLE_1)
	s_or_b32 exec_lo, exec_lo, s14
.LBB59_195:
	s_delay_alu instid0(SALU_CYCLE_1) | instskip(SKIP_4) | instid1(VALU_DEP_2)
	s_or_b32 exec_lo, exec_lo, s13
	s_waitcnt vmcnt(7)
	v_cvt_f32_f16_e32 v33, v52
	v_cmp_class_f16_e64 vcc_lo, v52, 0x1f8
	s_mov_b32 s13, exec_lo
	v_cvt_i32_f32_e32 v33, v33
	s_delay_alu instid0(VALU_DEP_1) | instskip(NEXT) | instid1(VALU_DEP_1)
	v_ashrrev_i32_e32 v34, 31, v33
	v_dual_cndmask_b32 v35, -1, v34 :: v_dual_cndmask_b32 v34, -1, v33
	v_mov_b32_e32 v33, 0
	s_delay_alu instid0(VALU_DEP_2)
	v_cmpx_lt_i64_e32 -1, v[34:35]
	s_cbranch_execz .LBB59_207
; %bb.196:
	v_mov_b32_e32 v33, 1.0
	s_mov_b32 s14, exec_lo
	v_cmpx_lt_i64_e32 0, v[34:35]
	s_cbranch_execz .LBB59_206
; %bb.197:
                                        ; implicit-def: $vgpr33
	s_mov_b32 s10, exec_lo
	v_cmpx_ne_u64_e32 1, v[34:35]
	s_xor_b32 s16, exec_lo, s10
	s_cbranch_execz .LBB59_203
; %bb.198:
	v_mov_b32_e32 v33, 0x7fc00000
	s_mov_b32 s17, exec_lo
	v_cmpx_gt_u64_e32 0x81, v[34:35]
	s_cbranch_execz .LBB59_202
; %bb.199:
	v_dual_add_f32 v36, v29, v29 :: v_dual_mov_b32 v53, 1.0
	v_lshlrev_b64 v[34:35], 1, v[34:35]
	s_mov_b64 s[10:11], 2
	s_mov_b32 s18, 0
	s_delay_alu instid0(VALU_DEP_2)
	v_mov_b32_e32 v33, v36
	.p2align	6
.LBB59_200:                             ; =>This Inner Loop Header: Depth=1
	s_clz_i32_u32 s19, s11
	s_delay_alu instid0(SALU_CYCLE_1) | instskip(NEXT) | instid1(SALU_CYCLE_1)
	s_min_u32 s19, s19, 32
	s_lshl_b64 s[20:21], s[10:11], s19
	s_sub_i32 s19, 32, s19
	s_min_u32 s20, s20, 1
	s_delay_alu instid0(SALU_CYCLE_1) | instskip(SKIP_3) | instid1(SALU_CYCLE_1)
	s_or_b32 s20, s21, s20
	s_add_u32 s10, s10, 2
	v_cvt_f32_u32_e32 v54, s20
	s_addc_u32 s11, s11, 0
	v_cmp_ge_u64_e32 vcc_lo, s[10:11], v[34:35]
	s_delay_alu instid0(VALU_DEP_2) | instskip(SKIP_1) | instid1(VALU_DEP_1)
	v_ldexp_f32 v54, v54, s19
	s_or_b32 s18, vcc_lo, s18
	v_mul_f32_e32 v54, v53, v54
	v_mov_b32_e32 v53, v33
	s_delay_alu instid0(VALU_DEP_2)
	v_fma_f32 v33, v36, v33, -v54
	s_and_not1_b32 exec_lo, exec_lo, s18
	s_cbranch_execnz .LBB59_200
; %bb.201:
	s_or_b32 exec_lo, exec_lo, s18
.LBB59_202:
	s_delay_alu instid0(SALU_CYCLE_1)
	s_or_b32 exec_lo, exec_lo, s17
.LBB59_203:
	s_and_not1_saveexec_b32 s10, s16
; %bb.204:
	v_add_f32_e32 v33, v29, v29
; %bb.205:
	s_or_b32 exec_lo, exec_lo, s10
.LBB59_206:
	s_delay_alu instid0(SALU_CYCLE_1)
	s_or_b32 exec_lo, exec_lo, s14
.LBB59_207:
	s_delay_alu instid0(SALU_CYCLE_1) | instskip(SKIP_2) | instid1(VALU_DEP_1)
	s_or_b32 exec_lo, exec_lo, s13
	v_lshrrev_b32_e32 v29, 16, v52
	s_mov_b32 s13, exec_lo
	v_cvt_f32_f16_e32 v34, v29
	v_cmp_class_f16_e64 vcc_lo, v29, 0x1f8
	s_delay_alu instid0(VALU_DEP_2) | instskip(NEXT) | instid1(VALU_DEP_1)
	v_cvt_i32_f32_e32 v34, v34
	v_ashrrev_i32_e32 v35, 31, v34
	s_delay_alu instid0(VALU_DEP_1) | instskip(SKIP_1) | instid1(VALU_DEP_2)
	v_dual_cndmask_b32 v36, -1, v35 :: v_dual_cndmask_b32 v35, -1, v34
	v_mov_b32_e32 v34, 0
	v_cmpx_lt_i64_e32 -1, v[35:36]
	s_cbranch_execz .LBB59_219
; %bb.208:
	v_mov_b32_e32 v34, 1.0
	s_mov_b32 s14, exec_lo
	v_cmpx_lt_i64_e32 0, v[35:36]
	s_cbranch_execz .LBB59_218
; %bb.209:
	s_mov_b32 s10, exec_lo
	v_cmpx_ne_u64_e32 1, v[35:36]
	s_xor_b32 s16, exec_lo, s10
	s_cbranch_execz .LBB59_215
; %bb.210:
	v_mov_b32_e32 v34, 0x7fc00000
	s_mov_b32 s17, exec_lo
	v_cmpx_gt_u64_e32 0x81, v[35:36]
	s_cbranch_execz .LBB59_214
; %bb.211:
	v_add_f32_e32 v52, v30, v30
	v_lshlrev_b64 v[29:30], 1, v[35:36]
	v_mov_b32_e32 v35, 1.0
	s_mov_b64 s[10:11], 2
	s_mov_b32 s18, 0
	v_mov_b32_e32 v34, v52
	.p2align	6
.LBB59_212:                             ; =>This Inner Loop Header: Depth=1
	s_clz_i32_u32 s19, s11
	s_delay_alu instid0(SALU_CYCLE_1) | instskip(NEXT) | instid1(SALU_CYCLE_1)
	s_min_u32 s19, s19, 32
	s_lshl_b64 s[20:21], s[10:11], s19
	s_sub_i32 s19, 32, s19
	s_min_u32 s20, s20, 1
	s_delay_alu instid0(SALU_CYCLE_1) | instskip(SKIP_3) | instid1(SALU_CYCLE_1)
	s_or_b32 s20, s21, s20
	s_add_u32 s10, s10, 2
	v_cvt_f32_u32_e32 v36, s20
	s_addc_u32 s11, s11, 0
	v_cmp_ge_u64_e32 vcc_lo, s[10:11], v[29:30]
	s_delay_alu instid0(VALU_DEP_2) | instskip(SKIP_1) | instid1(VALU_DEP_1)
	v_ldexp_f32 v36, v36, s19
	s_or_b32 s18, vcc_lo, s18
	v_dual_mul_f32 v36, v35, v36 :: v_dual_mov_b32 v35, v34
	s_delay_alu instid0(VALU_DEP_1)
	v_fma_f32 v34, v52, v34, -v36
	s_and_not1_b32 exec_lo, exec_lo, s18
	s_cbranch_execnz .LBB59_212
; %bb.213:
	s_or_b32 exec_lo, exec_lo, s18
.LBB59_214:
	s_delay_alu instid0(SALU_CYCLE_1)
	s_or_b32 exec_lo, exec_lo, s17
                                        ; implicit-def: $vgpr29_vgpr30
.LBB59_215:
	s_and_not1_saveexec_b32 s10, s16
; %bb.216:
	v_add_f32_e32 v34, v30, v30
; %bb.217:
	s_or_b32 exec_lo, exec_lo, s10
.LBB59_218:
	s_delay_alu instid0(SALU_CYCLE_1)
	s_or_b32 exec_lo, exec_lo, s14
.LBB59_219:
	s_delay_alu instid0(SALU_CYCLE_1) | instskip(SKIP_4) | instid1(VALU_DEP_2)
	s_or_b32 exec_lo, exec_lo, s13
	s_waitcnt vmcnt(6)
	v_cvt_f32_f16_e32 v29, v51
	v_cmp_class_f16_e64 vcc_lo, v51, 0x1f8
	s_mov_b32 s13, exec_lo
	v_cvt_i32_f32_e32 v29, v29
	s_delay_alu instid0(VALU_DEP_1) | instskip(SKIP_1) | instid1(VALU_DEP_2)
	v_ashrrev_i32_e32 v30, 31, v29
	v_cndmask_b32_e32 v35, -1, v29, vcc_lo
	v_dual_mov_b32 v29, 0 :: v_dual_cndmask_b32 v36, -1, v30
	s_delay_alu instid0(VALU_DEP_1)
	v_cmpx_lt_i64_e32 -1, v[35:36]
	s_cbranch_execz .LBB59_231
; %bb.220:
	v_mov_b32_e32 v29, 1.0
	s_mov_b32 s14, exec_lo
	v_cmpx_lt_i64_e32 0, v[35:36]
	s_cbranch_execz .LBB59_230
; %bb.221:
                                        ; implicit-def: $vgpr29
	s_mov_b32 s10, exec_lo
	v_cmpx_ne_u64_e32 1, v[35:36]
	s_xor_b32 s16, exec_lo, s10
	s_cbranch_execz .LBB59_227
; %bb.222:
	v_mov_b32_e32 v29, 0x7fc00000
	s_mov_b32 s17, exec_lo
	v_cmpx_gt_u64_e32 0x81, v[35:36]
	s_cbranch_execz .LBB59_226
; %bb.223:
	v_add_f32_e32 v30, v25, v25
	v_lshlrev_b64 v[35:36], 1, v[35:36]
	v_mov_b32_e32 v52, 1.0
	s_mov_b64 s[10:11], 2
	s_mov_b32 s18, 0
	v_mov_b32_e32 v29, v30
	.p2align	6
.LBB59_224:                             ; =>This Inner Loop Header: Depth=1
	s_clz_i32_u32 s19, s11
	s_delay_alu instid0(SALU_CYCLE_1) | instskip(NEXT) | instid1(SALU_CYCLE_1)
	s_min_u32 s19, s19, 32
	s_lshl_b64 s[20:21], s[10:11], s19
	s_sub_i32 s19, 32, s19
	s_min_u32 s20, s20, 1
	s_delay_alu instid0(SALU_CYCLE_1) | instskip(SKIP_3) | instid1(SALU_CYCLE_1)
	s_or_b32 s20, s21, s20
	s_add_u32 s10, s10, 2
	v_cvt_f32_u32_e32 v53, s20
	s_addc_u32 s11, s11, 0
	v_cmp_ge_u64_e32 vcc_lo, s[10:11], v[35:36]
	s_delay_alu instid0(VALU_DEP_2) | instskip(SKIP_1) | instid1(VALU_DEP_1)
	v_ldexp_f32 v53, v53, s19
	s_or_b32 s18, vcc_lo, s18
	v_dual_mul_f32 v53, v52, v53 :: v_dual_mov_b32 v52, v29
	s_delay_alu instid0(VALU_DEP_1)
	v_fma_f32 v29, v30, v29, -v53
	s_and_not1_b32 exec_lo, exec_lo, s18
	s_cbranch_execnz .LBB59_224
; %bb.225:
	s_or_b32 exec_lo, exec_lo, s18
.LBB59_226:
	s_delay_alu instid0(SALU_CYCLE_1)
	s_or_b32 exec_lo, exec_lo, s17
.LBB59_227:
	s_and_not1_saveexec_b32 s10, s16
; %bb.228:
	v_add_f32_e32 v29, v25, v25
; %bb.229:
	s_or_b32 exec_lo, exec_lo, s10
.LBB59_230:
	s_delay_alu instid0(SALU_CYCLE_1)
	s_or_b32 exec_lo, exec_lo, s14
.LBB59_231:
	s_delay_alu instid0(SALU_CYCLE_1) | instskip(SKIP_2) | instid1(VALU_DEP_1)
	s_or_b32 exec_lo, exec_lo, s13
	v_lshrrev_b32_e32 v25, 16, v51
	s_mov_b32 s13, exec_lo
	v_cvt_f32_f16_e32 v30, v25
	v_cmp_class_f16_e64 vcc_lo, v25, 0x1f8
	s_delay_alu instid0(VALU_DEP_2) | instskip(NEXT) | instid1(VALU_DEP_1)
	v_cvt_i32_f32_e32 v30, v30
	v_ashrrev_i32_e32 v35, 31, v30
	s_delay_alu instid0(VALU_DEP_1) | instskip(SKIP_1) | instid1(VALU_DEP_2)
	v_dual_cndmask_b32 v36, -1, v35 :: v_dual_cndmask_b32 v35, -1, v30
	v_mov_b32_e32 v30, 0
	v_cmpx_lt_i64_e32 -1, v[35:36]
	s_cbranch_execz .LBB59_243
; %bb.232:
	v_mov_b32_e32 v30, 1.0
	s_mov_b32 s14, exec_lo
	v_cmpx_lt_i64_e32 0, v[35:36]
	s_cbranch_execz .LBB59_242
; %bb.233:
	s_mov_b32 s10, exec_lo
	v_cmpx_ne_u64_e32 1, v[35:36]
	s_xor_b32 s16, exec_lo, s10
	s_cbranch_execz .LBB59_239
; %bb.234:
	v_mov_b32_e32 v30, 0x7fc00000
	s_mov_b32 s17, exec_lo
	v_cmpx_gt_u64_e32 0x81, v[35:36]
	s_cbranch_execz .LBB59_238
; %bb.235:
	v_add_f32_e32 v51, v26, v26
	v_lshlrev_b64 v[25:26], 1, v[35:36]
	v_mov_b32_e32 v35, 1.0
	s_mov_b64 s[10:11], 2
	s_mov_b32 s18, 0
	v_mov_b32_e32 v30, v51
	.p2align	6
.LBB59_236:                             ; =>This Inner Loop Header: Depth=1
	s_clz_i32_u32 s19, s11
	s_delay_alu instid0(SALU_CYCLE_1) | instskip(NEXT) | instid1(SALU_CYCLE_1)
	s_min_u32 s19, s19, 32
	s_lshl_b64 s[20:21], s[10:11], s19
	s_sub_i32 s19, 32, s19
	s_min_u32 s20, s20, 1
	s_delay_alu instid0(SALU_CYCLE_1) | instskip(SKIP_3) | instid1(SALU_CYCLE_1)
	s_or_b32 s20, s21, s20
	s_add_u32 s10, s10, 2
	v_cvt_f32_u32_e32 v36, s20
	s_addc_u32 s11, s11, 0
	v_cmp_ge_u64_e32 vcc_lo, s[10:11], v[25:26]
	s_delay_alu instid0(VALU_DEP_2) | instskip(SKIP_1) | instid1(VALU_DEP_1)
	v_ldexp_f32 v36, v36, s19
	s_or_b32 s18, vcc_lo, s18
	v_dual_mul_f32 v36, v35, v36 :: v_dual_mov_b32 v35, v30
	s_delay_alu instid0(VALU_DEP_1)
	v_fma_f32 v30, v51, v30, -v36
	s_and_not1_b32 exec_lo, exec_lo, s18
	s_cbranch_execnz .LBB59_236
; %bb.237:
	s_or_b32 exec_lo, exec_lo, s18
.LBB59_238:
	s_delay_alu instid0(SALU_CYCLE_1)
	s_or_b32 exec_lo, exec_lo, s17
                                        ; implicit-def: $vgpr25_vgpr26
.LBB59_239:
	s_and_not1_saveexec_b32 s10, s16
; %bb.240:
	v_add_f32_e32 v30, v26, v26
; %bb.241:
	s_or_b32 exec_lo, exec_lo, s10
.LBB59_242:
	s_delay_alu instid0(SALU_CYCLE_1)
	s_or_b32 exec_lo, exec_lo, s14
.LBB59_243:
	s_delay_alu instid0(SALU_CYCLE_1) | instskip(SKIP_4) | instid1(VALU_DEP_2)
	s_or_b32 exec_lo, exec_lo, s13
	s_waitcnt vmcnt(5)
	v_cvt_f32_f16_e32 v25, v50
	v_cmp_class_f16_e64 vcc_lo, v50, 0x1f8
	s_mov_b32 s13, exec_lo
	v_cvt_i32_f32_e32 v25, v25
	s_delay_alu instid0(VALU_DEP_1) | instskip(SKIP_1) | instid1(VALU_DEP_2)
	v_ashrrev_i32_e32 v26, 31, v25
	v_cndmask_b32_e32 v35, -1, v25, vcc_lo
	v_dual_mov_b32 v25, 0 :: v_dual_cndmask_b32 v36, -1, v26
	s_delay_alu instid0(VALU_DEP_1)
	v_cmpx_lt_i64_e32 -1, v[35:36]
	s_cbranch_execz .LBB59_255
; %bb.244:
	v_mov_b32_e32 v25, 1.0
	s_mov_b32 s14, exec_lo
	v_cmpx_lt_i64_e32 0, v[35:36]
	s_cbranch_execz .LBB59_254
; %bb.245:
                                        ; implicit-def: $vgpr25
	s_mov_b32 s10, exec_lo
	v_cmpx_ne_u64_e32 1, v[35:36]
	s_xor_b32 s16, exec_lo, s10
	s_cbranch_execz .LBB59_251
; %bb.246:
	v_mov_b32_e32 v25, 0x7fc00000
	s_mov_b32 s17, exec_lo
	v_cmpx_gt_u64_e32 0x81, v[35:36]
	s_cbranch_execz .LBB59_250
; %bb.247:
	v_dual_add_f32 v26, v21, v21 :: v_dual_mov_b32 v51, 1.0
	v_lshlrev_b64 v[35:36], 1, v[35:36]
	s_mov_b64 s[10:11], 2
	s_mov_b32 s18, 0
	s_delay_alu instid0(VALU_DEP_2)
	v_mov_b32_e32 v25, v26
	.p2align	6
.LBB59_248:                             ; =>This Inner Loop Header: Depth=1
	s_clz_i32_u32 s19, s11
	s_delay_alu instid0(SALU_CYCLE_1) | instskip(NEXT) | instid1(SALU_CYCLE_1)
	s_min_u32 s19, s19, 32
	s_lshl_b64 s[20:21], s[10:11], s19
	s_sub_i32 s19, 32, s19
	s_min_u32 s20, s20, 1
	s_delay_alu instid0(SALU_CYCLE_1) | instskip(SKIP_3) | instid1(SALU_CYCLE_1)
	s_or_b32 s20, s21, s20
	s_add_u32 s10, s10, 2
	v_cvt_f32_u32_e32 v52, s20
	s_addc_u32 s11, s11, 0
	v_cmp_ge_u64_e32 vcc_lo, s[10:11], v[35:36]
	s_delay_alu instid0(VALU_DEP_2) | instskip(SKIP_1) | instid1(VALU_DEP_1)
	v_ldexp_f32 v52, v52, s19
	s_or_b32 s18, vcc_lo, s18
	v_dual_mul_f32 v52, v51, v52 :: v_dual_mov_b32 v51, v25
	s_delay_alu instid0(VALU_DEP_1)
	v_fma_f32 v25, v26, v25, -v52
	s_and_not1_b32 exec_lo, exec_lo, s18
	s_cbranch_execnz .LBB59_248
; %bb.249:
	s_or_b32 exec_lo, exec_lo, s18
.LBB59_250:
	s_delay_alu instid0(SALU_CYCLE_1)
	s_or_b32 exec_lo, exec_lo, s17
.LBB59_251:
	s_and_not1_saveexec_b32 s10, s16
; %bb.252:
	v_add_f32_e32 v25, v21, v21
; %bb.253:
	s_or_b32 exec_lo, exec_lo, s10
.LBB59_254:
	s_delay_alu instid0(SALU_CYCLE_1)
	s_or_b32 exec_lo, exec_lo, s14
.LBB59_255:
	s_delay_alu instid0(SALU_CYCLE_1) | instskip(SKIP_2) | instid1(VALU_DEP_1)
	s_or_b32 exec_lo, exec_lo, s13
	v_lshrrev_b32_e32 v21, 16, v50
	s_mov_b32 s13, exec_lo
	v_cvt_f32_f16_e32 v26, v21
	v_cmp_class_f16_e64 vcc_lo, v21, 0x1f8
	s_delay_alu instid0(VALU_DEP_2) | instskip(NEXT) | instid1(VALU_DEP_1)
	v_cvt_i32_f32_e32 v26, v26
	v_ashrrev_i32_e32 v35, 31, v26
	s_delay_alu instid0(VALU_DEP_1) | instskip(SKIP_1) | instid1(VALU_DEP_2)
	v_dual_cndmask_b32 v36, -1, v35 :: v_dual_cndmask_b32 v35, -1, v26
	v_mov_b32_e32 v26, 0
	v_cmpx_lt_i64_e32 -1, v[35:36]
	s_cbranch_execz .LBB59_267
; %bb.256:
	v_mov_b32_e32 v26, 1.0
	s_mov_b32 s14, exec_lo
	v_cmpx_lt_i64_e32 0, v[35:36]
	s_cbranch_execz .LBB59_266
; %bb.257:
	s_mov_b32 s10, exec_lo
	v_cmpx_ne_u64_e32 1, v[35:36]
	s_xor_b32 s16, exec_lo, s10
	s_cbranch_execz .LBB59_263
; %bb.258:
	v_mov_b32_e32 v26, 0x7fc00000
	s_mov_b32 s17, exec_lo
	v_cmpx_gt_u64_e32 0x81, v[35:36]
	s_cbranch_execz .LBB59_262
; %bb.259:
	v_add_f32_e32 v50, v22, v22
	v_lshlrev_b64 v[21:22], 1, v[35:36]
	v_mov_b32_e32 v35, 1.0
	s_mov_b64 s[10:11], 2
	s_mov_b32 s18, 0
	v_mov_b32_e32 v26, v50
	.p2align	6
.LBB59_260:                             ; =>This Inner Loop Header: Depth=1
	s_clz_i32_u32 s19, s11
	s_delay_alu instid0(SALU_CYCLE_1) | instskip(NEXT) | instid1(SALU_CYCLE_1)
	s_min_u32 s19, s19, 32
	s_lshl_b64 s[20:21], s[10:11], s19
	s_sub_i32 s19, 32, s19
	s_min_u32 s20, s20, 1
	s_delay_alu instid0(SALU_CYCLE_1) | instskip(SKIP_3) | instid1(SALU_CYCLE_1)
	s_or_b32 s20, s21, s20
	s_add_u32 s10, s10, 2
	v_cvt_f32_u32_e32 v36, s20
	s_addc_u32 s11, s11, 0
	v_cmp_ge_u64_e32 vcc_lo, s[10:11], v[21:22]
	s_delay_alu instid0(VALU_DEP_2) | instskip(SKIP_1) | instid1(VALU_DEP_1)
	v_ldexp_f32 v36, v36, s19
	s_or_b32 s18, vcc_lo, s18
	v_dual_mul_f32 v36, v35, v36 :: v_dual_mov_b32 v35, v26
	s_delay_alu instid0(VALU_DEP_1)
	v_fma_f32 v26, v50, v26, -v36
	s_and_not1_b32 exec_lo, exec_lo, s18
	s_cbranch_execnz .LBB59_260
; %bb.261:
	s_or_b32 exec_lo, exec_lo, s18
.LBB59_262:
	s_delay_alu instid0(SALU_CYCLE_1)
	s_or_b32 exec_lo, exec_lo, s17
                                        ; implicit-def: $vgpr21_vgpr22
.LBB59_263:
	s_and_not1_saveexec_b32 s10, s16
; %bb.264:
	v_add_f32_e32 v26, v22, v22
; %bb.265:
	s_or_b32 exec_lo, exec_lo, s10
.LBB59_266:
	s_delay_alu instid0(SALU_CYCLE_1)
	s_or_b32 exec_lo, exec_lo, s14
.LBB59_267:
	s_delay_alu instid0(SALU_CYCLE_1) | instskip(SKIP_4) | instid1(VALU_DEP_2)
	s_or_b32 exec_lo, exec_lo, s13
	s_waitcnt vmcnt(4)
	v_cvt_f32_f16_e32 v21, v49
	v_cmp_class_f16_e64 vcc_lo, v49, 0x1f8
	s_mov_b32 s13, exec_lo
	v_cvt_i32_f32_e32 v21, v21
	s_delay_alu instid0(VALU_DEP_1) | instskip(SKIP_1) | instid1(VALU_DEP_2)
	v_ashrrev_i32_e32 v22, 31, v21
	v_cndmask_b32_e32 v35, -1, v21, vcc_lo
	v_dual_mov_b32 v21, 0 :: v_dual_cndmask_b32 v36, -1, v22
	s_delay_alu instid0(VALU_DEP_1)
	v_cmpx_lt_i64_e32 -1, v[35:36]
	s_cbranch_execz .LBB59_279
; %bb.268:
	v_mov_b32_e32 v21, 1.0
	s_mov_b32 s14, exec_lo
	v_cmpx_lt_i64_e32 0, v[35:36]
	s_cbranch_execz .LBB59_278
; %bb.269:
                                        ; implicit-def: $vgpr21
	s_mov_b32 s10, exec_lo
	v_cmpx_ne_u64_e32 1, v[35:36]
	s_xor_b32 s16, exec_lo, s10
	s_cbranch_execz .LBB59_275
; %bb.270:
	v_mov_b32_e32 v21, 0x7fc00000
	s_mov_b32 s17, exec_lo
	v_cmpx_gt_u64_e32 0x81, v[35:36]
	s_cbranch_execz .LBB59_274
; %bb.271:
	v_add_f32_e32 v22, v17, v17
	v_lshlrev_b64 v[35:36], 1, v[35:36]
	v_mov_b32_e32 v50, 1.0
	s_mov_b64 s[10:11], 2
	s_mov_b32 s18, 0
	v_mov_b32_e32 v21, v22
	.p2align	6
.LBB59_272:                             ; =>This Inner Loop Header: Depth=1
	s_clz_i32_u32 s19, s11
	s_delay_alu instid0(SALU_CYCLE_1) | instskip(NEXT) | instid1(SALU_CYCLE_1)
	s_min_u32 s19, s19, 32
	s_lshl_b64 s[20:21], s[10:11], s19
	s_sub_i32 s19, 32, s19
	s_min_u32 s20, s20, 1
	s_delay_alu instid0(SALU_CYCLE_1) | instskip(SKIP_3) | instid1(SALU_CYCLE_1)
	s_or_b32 s20, s21, s20
	s_add_u32 s10, s10, 2
	v_cvt_f32_u32_e32 v51, s20
	s_addc_u32 s11, s11, 0
	v_cmp_ge_u64_e32 vcc_lo, s[10:11], v[35:36]
	s_delay_alu instid0(VALU_DEP_2) | instskip(SKIP_1) | instid1(VALU_DEP_1)
	v_ldexp_f32 v51, v51, s19
	s_or_b32 s18, vcc_lo, s18
	v_dual_mul_f32 v51, v50, v51 :: v_dual_mov_b32 v50, v21
	s_delay_alu instid0(VALU_DEP_1)
	v_fma_f32 v21, v22, v21, -v51
	s_and_not1_b32 exec_lo, exec_lo, s18
	s_cbranch_execnz .LBB59_272
; %bb.273:
	s_or_b32 exec_lo, exec_lo, s18
.LBB59_274:
	s_delay_alu instid0(SALU_CYCLE_1)
	s_or_b32 exec_lo, exec_lo, s17
.LBB59_275:
	s_and_not1_saveexec_b32 s10, s16
; %bb.276:
	v_add_f32_e32 v21, v17, v17
; %bb.277:
	s_or_b32 exec_lo, exec_lo, s10
.LBB59_278:
	s_delay_alu instid0(SALU_CYCLE_1)
	s_or_b32 exec_lo, exec_lo, s14
.LBB59_279:
	s_delay_alu instid0(SALU_CYCLE_1) | instskip(SKIP_2) | instid1(VALU_DEP_1)
	s_or_b32 exec_lo, exec_lo, s13
	v_lshrrev_b32_e32 v17, 16, v49
	s_mov_b32 s13, exec_lo
	v_cvt_f32_f16_e32 v22, v17
	v_cmp_class_f16_e64 vcc_lo, v17, 0x1f8
	s_delay_alu instid0(VALU_DEP_2) | instskip(NEXT) | instid1(VALU_DEP_1)
	v_cvt_i32_f32_e32 v22, v22
	v_ashrrev_i32_e32 v35, 31, v22
	s_delay_alu instid0(VALU_DEP_1) | instskip(SKIP_1) | instid1(VALU_DEP_2)
	v_dual_cndmask_b32 v36, -1, v35 :: v_dual_cndmask_b32 v35, -1, v22
	v_mov_b32_e32 v22, 0
	v_cmpx_lt_i64_e32 -1, v[35:36]
	s_cbranch_execz .LBB59_291
; %bb.280:
	v_mov_b32_e32 v22, 1.0
	s_mov_b32 s14, exec_lo
	v_cmpx_lt_i64_e32 0, v[35:36]
	s_cbranch_execz .LBB59_290
; %bb.281:
	s_mov_b32 s10, exec_lo
	v_cmpx_ne_u64_e32 1, v[35:36]
	s_xor_b32 s16, exec_lo, s10
	s_cbranch_execz .LBB59_287
; %bb.282:
	v_mov_b32_e32 v22, 0x7fc00000
	s_mov_b32 s17, exec_lo
	v_cmpx_gt_u64_e32 0x81, v[35:36]
	s_cbranch_execz .LBB59_286
; %bb.283:
	v_add_f32_e32 v49, v18, v18
	v_lshlrev_b64 v[17:18], 1, v[35:36]
	v_mov_b32_e32 v35, 1.0
	s_mov_b64 s[10:11], 2
	s_mov_b32 s18, 0
	v_mov_b32_e32 v22, v49
	.p2align	6
.LBB59_284:                             ; =>This Inner Loop Header: Depth=1
	s_clz_i32_u32 s19, s11
	s_delay_alu instid0(SALU_CYCLE_1) | instskip(NEXT) | instid1(SALU_CYCLE_1)
	s_min_u32 s19, s19, 32
	s_lshl_b64 s[20:21], s[10:11], s19
	s_sub_i32 s19, 32, s19
	s_min_u32 s20, s20, 1
	s_delay_alu instid0(SALU_CYCLE_1) | instskip(SKIP_3) | instid1(SALU_CYCLE_1)
	s_or_b32 s20, s21, s20
	s_add_u32 s10, s10, 2
	v_cvt_f32_u32_e32 v36, s20
	s_addc_u32 s11, s11, 0
	v_cmp_ge_u64_e32 vcc_lo, s[10:11], v[17:18]
	s_delay_alu instid0(VALU_DEP_2) | instskip(SKIP_1) | instid1(VALU_DEP_1)
	v_ldexp_f32 v36, v36, s19
	s_or_b32 s18, vcc_lo, s18
	v_dual_mul_f32 v36, v35, v36 :: v_dual_mov_b32 v35, v22
	s_delay_alu instid0(VALU_DEP_1)
	v_fma_f32 v22, v49, v22, -v36
	s_and_not1_b32 exec_lo, exec_lo, s18
	s_cbranch_execnz .LBB59_284
; %bb.285:
	s_or_b32 exec_lo, exec_lo, s18
.LBB59_286:
	s_delay_alu instid0(SALU_CYCLE_1)
	s_or_b32 exec_lo, exec_lo, s17
                                        ; implicit-def: $vgpr17_vgpr18
.LBB59_287:
	s_and_not1_saveexec_b32 s10, s16
; %bb.288:
	v_add_f32_e32 v22, v18, v18
; %bb.289:
	s_or_b32 exec_lo, exec_lo, s10
.LBB59_290:
	s_delay_alu instid0(SALU_CYCLE_1)
	s_or_b32 exec_lo, exec_lo, s14
.LBB59_291:
	s_delay_alu instid0(SALU_CYCLE_1) | instskip(SKIP_4) | instid1(VALU_DEP_2)
	s_or_b32 exec_lo, exec_lo, s13
	s_waitcnt vmcnt(3)
	v_cvt_f32_f16_e32 v17, v48
	v_cmp_class_f16_e64 vcc_lo, v48, 0x1f8
	s_mov_b32 s13, exec_lo
	v_cvt_i32_f32_e32 v17, v17
	s_delay_alu instid0(VALU_DEP_1) | instskip(SKIP_1) | instid1(VALU_DEP_2)
	v_ashrrev_i32_e32 v18, 31, v17
	v_cndmask_b32_e32 v35, -1, v17, vcc_lo
	v_dual_mov_b32 v17, 0 :: v_dual_cndmask_b32 v36, -1, v18
	s_delay_alu instid0(VALU_DEP_1)
	v_cmpx_lt_i64_e32 -1, v[35:36]
	s_cbranch_execz .LBB59_303
; %bb.292:
	v_mov_b32_e32 v17, 1.0
	s_mov_b32 s14, exec_lo
	v_cmpx_lt_i64_e32 0, v[35:36]
	s_cbranch_execz .LBB59_302
; %bb.293:
                                        ; implicit-def: $vgpr17
	s_mov_b32 s10, exec_lo
	v_cmpx_ne_u64_e32 1, v[35:36]
	s_xor_b32 s16, exec_lo, s10
	s_cbranch_execz .LBB59_299
; %bb.294:
	v_mov_b32_e32 v17, 0x7fc00000
	s_mov_b32 s17, exec_lo
	v_cmpx_gt_u64_e32 0x81, v[35:36]
	s_cbranch_execz .LBB59_298
; %bb.295:
	v_dual_add_f32 v18, v15, v15 :: v_dual_mov_b32 v49, 1.0
	v_lshlrev_b64 v[35:36], 1, v[35:36]
	s_mov_b64 s[10:11], 2
	s_mov_b32 s18, 0
	s_delay_alu instid0(VALU_DEP_2)
	v_mov_b32_e32 v17, v18
	.p2align	6
.LBB59_296:                             ; =>This Inner Loop Header: Depth=1
	s_clz_i32_u32 s19, s11
	s_delay_alu instid0(SALU_CYCLE_1) | instskip(NEXT) | instid1(SALU_CYCLE_1)
	s_min_u32 s19, s19, 32
	s_lshl_b64 s[20:21], s[10:11], s19
	s_sub_i32 s19, 32, s19
	s_min_u32 s20, s20, 1
	s_delay_alu instid0(SALU_CYCLE_1) | instskip(SKIP_3) | instid1(SALU_CYCLE_1)
	s_or_b32 s20, s21, s20
	s_add_u32 s10, s10, 2
	v_cvt_f32_u32_e32 v50, s20
	s_addc_u32 s11, s11, 0
	v_cmp_ge_u64_e32 vcc_lo, s[10:11], v[35:36]
	s_delay_alu instid0(VALU_DEP_2) | instskip(SKIP_1) | instid1(VALU_DEP_1)
	v_ldexp_f32 v50, v50, s19
	s_or_b32 s18, vcc_lo, s18
	v_mul_f32_e32 v50, v49, v50
	v_mov_b32_e32 v49, v17
	s_delay_alu instid0(VALU_DEP_2)
	v_fma_f32 v17, v18, v17, -v50
	s_and_not1_b32 exec_lo, exec_lo, s18
	s_cbranch_execnz .LBB59_296
; %bb.297:
	s_or_b32 exec_lo, exec_lo, s18
.LBB59_298:
	s_delay_alu instid0(SALU_CYCLE_1)
	s_or_b32 exec_lo, exec_lo, s17
.LBB59_299:
	s_and_not1_saveexec_b32 s10, s16
; %bb.300:
	v_add_f32_e32 v17, v15, v15
; %bb.301:
	s_or_b32 exec_lo, exec_lo, s10
.LBB59_302:
	s_delay_alu instid0(SALU_CYCLE_1)
	s_or_b32 exec_lo, exec_lo, s14
.LBB59_303:
	s_delay_alu instid0(SALU_CYCLE_1) | instskip(SKIP_2) | instid1(VALU_DEP_1)
	s_or_b32 exec_lo, exec_lo, s13
	v_lshrrev_b32_e32 v15, 16, v48
	s_mov_b32 s13, exec_lo
	v_cvt_f32_f16_e32 v18, v15
	v_cmp_class_f16_e64 vcc_lo, v15, 0x1f8
	s_delay_alu instid0(VALU_DEP_2) | instskip(NEXT) | instid1(VALU_DEP_1)
	v_cvt_i32_f32_e32 v18, v18
	v_ashrrev_i32_e32 v35, 31, v18
	s_delay_alu instid0(VALU_DEP_1) | instskip(SKIP_1) | instid1(VALU_DEP_2)
	v_dual_cndmask_b32 v36, -1, v35 :: v_dual_cndmask_b32 v35, -1, v18
	v_mov_b32_e32 v18, 0
	v_cmpx_lt_i64_e32 -1, v[35:36]
	s_cbranch_execz .LBB59_315
; %bb.304:
	v_mov_b32_e32 v18, 1.0
	s_mov_b32 s14, exec_lo
	v_cmpx_lt_i64_e32 0, v[35:36]
	s_cbranch_execz .LBB59_314
; %bb.305:
	s_mov_b32 s10, exec_lo
	v_cmpx_ne_u64_e32 1, v[35:36]
	s_xor_b32 s16, exec_lo, s10
	s_cbranch_execz .LBB59_311
; %bb.306:
	v_mov_b32_e32 v18, 0x7fc00000
	s_mov_b32 s17, exec_lo
	v_cmpx_gt_u64_e32 0x81, v[35:36]
	s_cbranch_execz .LBB59_310
; %bb.307:
	v_add_f32_e32 v48, v16, v16
	v_lshlrev_b64 v[15:16], 1, v[35:36]
	v_mov_b32_e32 v35, 1.0
	s_mov_b64 s[10:11], 2
	s_mov_b32 s18, 0
	v_mov_b32_e32 v18, v48
	.p2align	6
.LBB59_308:                             ; =>This Inner Loop Header: Depth=1
	s_clz_i32_u32 s19, s11
	s_delay_alu instid0(SALU_CYCLE_1) | instskip(NEXT) | instid1(SALU_CYCLE_1)
	s_min_u32 s19, s19, 32
	s_lshl_b64 s[20:21], s[10:11], s19
	s_sub_i32 s19, 32, s19
	s_min_u32 s20, s20, 1
	s_delay_alu instid0(SALU_CYCLE_1) | instskip(SKIP_3) | instid1(SALU_CYCLE_1)
	s_or_b32 s20, s21, s20
	s_add_u32 s10, s10, 2
	v_cvt_f32_u32_e32 v36, s20
	s_addc_u32 s11, s11, 0
	v_cmp_ge_u64_e32 vcc_lo, s[10:11], v[15:16]
	s_delay_alu instid0(VALU_DEP_2) | instskip(SKIP_1) | instid1(VALU_DEP_1)
	v_ldexp_f32 v36, v36, s19
	s_or_b32 s18, vcc_lo, s18
	v_dual_mul_f32 v36, v35, v36 :: v_dual_mov_b32 v35, v18
	s_delay_alu instid0(VALU_DEP_1)
	v_fma_f32 v18, v48, v18, -v36
	s_and_not1_b32 exec_lo, exec_lo, s18
	s_cbranch_execnz .LBB59_308
; %bb.309:
	s_or_b32 exec_lo, exec_lo, s18
.LBB59_310:
	s_delay_alu instid0(SALU_CYCLE_1)
	s_or_b32 exec_lo, exec_lo, s17
                                        ; implicit-def: $vgpr15_vgpr16
.LBB59_311:
	s_and_not1_saveexec_b32 s10, s16
; %bb.312:
	v_add_f32_e32 v18, v16, v16
; %bb.313:
	s_or_b32 exec_lo, exec_lo, s10
.LBB59_314:
	s_delay_alu instid0(SALU_CYCLE_1)
	s_or_b32 exec_lo, exec_lo, s14
.LBB59_315:
	s_delay_alu instid0(SALU_CYCLE_1) | instskip(SKIP_4) | instid1(VALU_DEP_2)
	s_or_b32 exec_lo, exec_lo, s13
	s_waitcnt vmcnt(2)
	v_cvt_f32_f16_e32 v15, v47
	v_cmp_class_f16_e64 vcc_lo, v47, 0x1f8
	s_mov_b32 s13, exec_lo
	v_cvt_i32_f32_e32 v15, v15
	s_delay_alu instid0(VALU_DEP_1) | instskip(SKIP_1) | instid1(VALU_DEP_2)
	v_ashrrev_i32_e32 v16, 31, v15
	v_cndmask_b32_e32 v35, -1, v15, vcc_lo
	v_dual_mov_b32 v15, 0 :: v_dual_cndmask_b32 v36, -1, v16
	s_delay_alu instid0(VALU_DEP_1)
	v_cmpx_lt_i64_e32 -1, v[35:36]
	s_cbranch_execz .LBB59_327
; %bb.316:
	v_mov_b32_e32 v15, 1.0
	s_mov_b32 s14, exec_lo
	v_cmpx_lt_i64_e32 0, v[35:36]
	s_cbranch_execz .LBB59_326
; %bb.317:
                                        ; implicit-def: $vgpr15
	s_mov_b32 s10, exec_lo
	v_cmpx_ne_u64_e32 1, v[35:36]
	s_xor_b32 s16, exec_lo, s10
	s_cbranch_execz .LBB59_323
; %bb.318:
	v_mov_b32_e32 v15, 0x7fc00000
	s_mov_b32 s17, exec_lo
	v_cmpx_gt_u64_e32 0x81, v[35:36]
	s_cbranch_execz .LBB59_322
; %bb.319:
	v_add_f32_e32 v16, v9, v9
	v_lshlrev_b64 v[35:36], 1, v[35:36]
	v_mov_b32_e32 v48, 1.0
	s_mov_b64 s[10:11], 2
	s_mov_b32 s18, 0
	v_mov_b32_e32 v15, v16
	.p2align	6
.LBB59_320:                             ; =>This Inner Loop Header: Depth=1
	s_clz_i32_u32 s19, s11
	s_delay_alu instid0(SALU_CYCLE_1) | instskip(NEXT) | instid1(SALU_CYCLE_1)
	s_min_u32 s19, s19, 32
	s_lshl_b64 s[20:21], s[10:11], s19
	s_sub_i32 s19, 32, s19
	s_min_u32 s20, s20, 1
	s_delay_alu instid0(SALU_CYCLE_1) | instskip(SKIP_3) | instid1(SALU_CYCLE_1)
	s_or_b32 s20, s21, s20
	s_add_u32 s10, s10, 2
	v_cvt_f32_u32_e32 v49, s20
	s_addc_u32 s11, s11, 0
	v_cmp_ge_u64_e32 vcc_lo, s[10:11], v[35:36]
	s_delay_alu instid0(VALU_DEP_2) | instskip(SKIP_1) | instid1(VALU_DEP_1)
	v_ldexp_f32 v49, v49, s19
	s_or_b32 s18, vcc_lo, s18
	v_dual_mul_f32 v49, v48, v49 :: v_dual_mov_b32 v48, v15
	s_delay_alu instid0(VALU_DEP_1)
	v_fma_f32 v15, v16, v15, -v49
	s_and_not1_b32 exec_lo, exec_lo, s18
	s_cbranch_execnz .LBB59_320
; %bb.321:
	s_or_b32 exec_lo, exec_lo, s18
.LBB59_322:
	s_delay_alu instid0(SALU_CYCLE_1)
	s_or_b32 exec_lo, exec_lo, s17
.LBB59_323:
	s_and_not1_saveexec_b32 s10, s16
; %bb.324:
	v_add_f32_e32 v15, v9, v9
; %bb.325:
	s_or_b32 exec_lo, exec_lo, s10
.LBB59_326:
	s_delay_alu instid0(SALU_CYCLE_1)
	s_or_b32 exec_lo, exec_lo, s14
.LBB59_327:
	s_delay_alu instid0(SALU_CYCLE_1) | instskip(SKIP_2) | instid1(VALU_DEP_1)
	s_or_b32 exec_lo, exec_lo, s13
	v_lshrrev_b32_e32 v9, 16, v47
	s_mov_b32 s13, exec_lo
	v_cvt_f32_f16_e32 v16, v9
	v_cmp_class_f16_e64 vcc_lo, v9, 0x1f8
	s_delay_alu instid0(VALU_DEP_2) | instskip(NEXT) | instid1(VALU_DEP_1)
	v_cvt_i32_f32_e32 v16, v16
	v_ashrrev_i32_e32 v35, 31, v16
	s_delay_alu instid0(VALU_DEP_1) | instskip(SKIP_1) | instid1(VALU_DEP_2)
	v_dual_cndmask_b32 v36, -1, v35 :: v_dual_cndmask_b32 v35, -1, v16
	v_mov_b32_e32 v16, 0
	v_cmpx_lt_i64_e32 -1, v[35:36]
	s_cbranch_execz .LBB59_339
; %bb.328:
	v_mov_b32_e32 v16, 1.0
	s_mov_b32 s14, exec_lo
	v_cmpx_lt_i64_e32 0, v[35:36]
	s_cbranch_execz .LBB59_338
; %bb.329:
	s_mov_b32 s10, exec_lo
	v_cmpx_ne_u64_e32 1, v[35:36]
	s_xor_b32 s16, exec_lo, s10
	s_cbranch_execz .LBB59_335
; %bb.330:
	v_mov_b32_e32 v16, 0x7fc00000
	s_mov_b32 s17, exec_lo
	v_cmpx_gt_u64_e32 0x81, v[35:36]
	s_cbranch_execz .LBB59_334
; %bb.331:
	v_add_f32_e32 v47, v10, v10
	v_lshlrev_b64 v[9:10], 1, v[35:36]
	v_mov_b32_e32 v35, 1.0
	s_mov_b64 s[10:11], 2
	s_mov_b32 s18, 0
	v_mov_b32_e32 v16, v47
	.p2align	6
.LBB59_332:                             ; =>This Inner Loop Header: Depth=1
	s_clz_i32_u32 s19, s11
	s_delay_alu instid0(SALU_CYCLE_1) | instskip(NEXT) | instid1(SALU_CYCLE_1)
	s_min_u32 s19, s19, 32
	s_lshl_b64 s[20:21], s[10:11], s19
	s_sub_i32 s19, 32, s19
	s_min_u32 s20, s20, 1
	s_delay_alu instid0(SALU_CYCLE_1) | instskip(SKIP_3) | instid1(SALU_CYCLE_1)
	s_or_b32 s20, s21, s20
	s_add_u32 s10, s10, 2
	v_cvt_f32_u32_e32 v36, s20
	s_addc_u32 s11, s11, 0
	v_cmp_ge_u64_e32 vcc_lo, s[10:11], v[9:10]
	s_delay_alu instid0(VALU_DEP_2) | instskip(SKIP_1) | instid1(VALU_DEP_1)
	v_ldexp_f32 v36, v36, s19
	s_or_b32 s18, vcc_lo, s18
	v_dual_mul_f32 v36, v35, v36 :: v_dual_mov_b32 v35, v16
	s_delay_alu instid0(VALU_DEP_1)
	v_fma_f32 v16, v47, v16, -v36
	s_and_not1_b32 exec_lo, exec_lo, s18
	s_cbranch_execnz .LBB59_332
; %bb.333:
	s_or_b32 exec_lo, exec_lo, s18
.LBB59_334:
	s_delay_alu instid0(SALU_CYCLE_1)
	s_or_b32 exec_lo, exec_lo, s17
                                        ; implicit-def: $vgpr9_vgpr10
.LBB59_335:
	s_and_not1_saveexec_b32 s10, s16
; %bb.336:
	v_add_f32_e32 v16, v10, v10
; %bb.337:
	s_or_b32 exec_lo, exec_lo, s10
.LBB59_338:
	s_delay_alu instid0(SALU_CYCLE_1)
	s_or_b32 exec_lo, exec_lo, s14
.LBB59_339:
	s_delay_alu instid0(SALU_CYCLE_1) | instskip(SKIP_4) | instid1(VALU_DEP_2)
	s_or_b32 exec_lo, exec_lo, s13
	s_waitcnt vmcnt(1)
	v_cvt_f32_f16_e32 v9, v46
	v_cmp_class_f16_e64 vcc_lo, v46, 0x1f8
	s_mov_b32 s13, exec_lo
	v_cvt_i32_f32_e32 v9, v9
	s_delay_alu instid0(VALU_DEP_1) | instskip(SKIP_1) | instid1(VALU_DEP_2)
	v_ashrrev_i32_e32 v10, 31, v9
	v_cndmask_b32_e32 v35, -1, v9, vcc_lo
	v_dual_mov_b32 v9, 0 :: v_dual_cndmask_b32 v36, -1, v10
	s_delay_alu instid0(VALU_DEP_1)
	v_cmpx_lt_i64_e32 -1, v[35:36]
	s_cbranch_execz .LBB59_351
; %bb.340:
	v_mov_b32_e32 v9, 1.0
	s_mov_b32 s14, exec_lo
	v_cmpx_lt_i64_e32 0, v[35:36]
	s_cbranch_execz .LBB59_350
; %bb.341:
                                        ; implicit-def: $vgpr9
	s_mov_b32 s10, exec_lo
	v_cmpx_ne_u64_e32 1, v[35:36]
	s_xor_b32 s16, exec_lo, s10
	s_cbranch_execz .LBB59_347
; %bb.342:
	v_mov_b32_e32 v9, 0x7fc00000
	s_mov_b32 s17, exec_lo
	v_cmpx_gt_u64_e32 0x81, v[35:36]
	s_cbranch_execz .LBB59_346
; %bb.343:
	v_dual_add_f32 v10, v7, v7 :: v_dual_mov_b32 v47, 1.0
	v_lshlrev_b64 v[35:36], 1, v[35:36]
	s_mov_b64 s[10:11], 2
	s_mov_b32 s18, 0
	s_delay_alu instid0(VALU_DEP_2)
	v_mov_b32_e32 v9, v10
	.p2align	6
.LBB59_344:                             ; =>This Inner Loop Header: Depth=1
	s_clz_i32_u32 s19, s11
	s_delay_alu instid0(SALU_CYCLE_1) | instskip(NEXT) | instid1(SALU_CYCLE_1)
	s_min_u32 s19, s19, 32
	s_lshl_b64 s[20:21], s[10:11], s19
	s_sub_i32 s19, 32, s19
	s_min_u32 s20, s20, 1
	s_delay_alu instid0(SALU_CYCLE_1) | instskip(SKIP_3) | instid1(SALU_CYCLE_1)
	s_or_b32 s20, s21, s20
	s_add_u32 s10, s10, 2
	v_cvt_f32_u32_e32 v48, s20
	s_addc_u32 s11, s11, 0
	v_cmp_ge_u64_e32 vcc_lo, s[10:11], v[35:36]
	s_delay_alu instid0(VALU_DEP_2) | instskip(SKIP_1) | instid1(VALU_DEP_1)
	v_ldexp_f32 v48, v48, s19
	s_or_b32 s18, vcc_lo, s18
	v_dual_mul_f32 v48, v47, v48 :: v_dual_mov_b32 v47, v9
	s_delay_alu instid0(VALU_DEP_1)
	v_fma_f32 v9, v10, v9, -v48
	s_and_not1_b32 exec_lo, exec_lo, s18
	s_cbranch_execnz .LBB59_344
; %bb.345:
	s_or_b32 exec_lo, exec_lo, s18
.LBB59_346:
	s_delay_alu instid0(SALU_CYCLE_1)
	s_or_b32 exec_lo, exec_lo, s17
.LBB59_347:
	s_and_not1_saveexec_b32 s10, s16
; %bb.348:
	v_add_f32_e32 v9, v7, v7
; %bb.349:
	s_or_b32 exec_lo, exec_lo, s10
.LBB59_350:
	s_delay_alu instid0(SALU_CYCLE_1)
	s_or_b32 exec_lo, exec_lo, s14
.LBB59_351:
	s_delay_alu instid0(SALU_CYCLE_1) | instskip(SKIP_2) | instid1(VALU_DEP_1)
	s_or_b32 exec_lo, exec_lo, s13
	v_lshrrev_b32_e32 v7, 16, v46
	s_mov_b32 s13, exec_lo
	v_cvt_f32_f16_e32 v10, v7
	v_cmp_class_f16_e64 vcc_lo, v7, 0x1f8
	s_delay_alu instid0(VALU_DEP_2) | instskip(NEXT) | instid1(VALU_DEP_1)
	v_cvt_i32_f32_e32 v10, v10
	v_ashrrev_i32_e32 v35, 31, v10
	s_delay_alu instid0(VALU_DEP_1) | instskip(SKIP_1) | instid1(VALU_DEP_2)
	v_dual_cndmask_b32 v36, -1, v35 :: v_dual_cndmask_b32 v35, -1, v10
	v_mov_b32_e32 v10, 0
	v_cmpx_lt_i64_e32 -1, v[35:36]
	s_cbranch_execz .LBB59_363
; %bb.352:
	v_mov_b32_e32 v10, 1.0
	s_mov_b32 s14, exec_lo
	v_cmpx_lt_i64_e32 0, v[35:36]
	s_cbranch_execz .LBB59_362
; %bb.353:
	s_mov_b32 s10, exec_lo
	v_cmpx_ne_u64_e32 1, v[35:36]
	s_xor_b32 s16, exec_lo, s10
	s_cbranch_execz .LBB59_359
; %bb.354:
	v_mov_b32_e32 v10, 0x7fc00000
	s_mov_b32 s17, exec_lo
	v_cmpx_gt_u64_e32 0x81, v[35:36]
	s_cbranch_execz .LBB59_358
; %bb.355:
	v_add_f32_e32 v46, v8, v8
	v_lshlrev_b64 v[7:8], 1, v[35:36]
	v_mov_b32_e32 v35, 1.0
	s_mov_b64 s[10:11], 2
	s_mov_b32 s18, 0
	v_mov_b32_e32 v10, v46
	.p2align	6
.LBB59_356:                             ; =>This Inner Loop Header: Depth=1
	s_clz_i32_u32 s19, s11
	s_delay_alu instid0(SALU_CYCLE_1) | instskip(NEXT) | instid1(SALU_CYCLE_1)
	s_min_u32 s19, s19, 32
	s_lshl_b64 s[20:21], s[10:11], s19
	s_sub_i32 s19, 32, s19
	s_min_u32 s20, s20, 1
	s_delay_alu instid0(SALU_CYCLE_1) | instskip(SKIP_3) | instid1(SALU_CYCLE_1)
	s_or_b32 s20, s21, s20
	s_add_u32 s10, s10, 2
	v_cvt_f32_u32_e32 v36, s20
	s_addc_u32 s11, s11, 0
	v_cmp_ge_u64_e32 vcc_lo, s[10:11], v[7:8]
	s_delay_alu instid0(VALU_DEP_2) | instskip(SKIP_1) | instid1(VALU_DEP_1)
	v_ldexp_f32 v36, v36, s19
	s_or_b32 s18, vcc_lo, s18
	v_dual_mul_f32 v36, v35, v36 :: v_dual_mov_b32 v35, v10
	s_delay_alu instid0(VALU_DEP_1)
	v_fma_f32 v10, v46, v10, -v36
	s_and_not1_b32 exec_lo, exec_lo, s18
	s_cbranch_execnz .LBB59_356
; %bb.357:
	s_or_b32 exec_lo, exec_lo, s18
.LBB59_358:
	s_delay_alu instid0(SALU_CYCLE_1)
	s_or_b32 exec_lo, exec_lo, s17
                                        ; implicit-def: $vgpr7_vgpr8
.LBB59_359:
	s_and_not1_saveexec_b32 s10, s16
; %bb.360:
	v_add_f32_e32 v10, v8, v8
; %bb.361:
	s_or_b32 exec_lo, exec_lo, s10
.LBB59_362:
	s_delay_alu instid0(SALU_CYCLE_1)
	s_or_b32 exec_lo, exec_lo, s14
.LBB59_363:
	s_delay_alu instid0(SALU_CYCLE_1) | instskip(SKIP_4) | instid1(VALU_DEP_2)
	s_or_b32 exec_lo, exec_lo, s13
	s_waitcnt vmcnt(0)
	v_cvt_f32_f16_e32 v7, v45
	v_cmp_class_f16_e64 vcc_lo, v45, 0x1f8
	s_mov_b32 s13, exec_lo
	v_cvt_i32_f32_e32 v7, v7
	s_delay_alu instid0(VALU_DEP_1) | instskip(SKIP_1) | instid1(VALU_DEP_2)
	v_ashrrev_i32_e32 v8, 31, v7
	v_cndmask_b32_e32 v35, -1, v7, vcc_lo
	v_dual_mov_b32 v7, 0 :: v_dual_cndmask_b32 v36, -1, v8
	s_delay_alu instid0(VALU_DEP_1)
	v_cmpx_lt_i64_e32 -1, v[35:36]
	s_cbranch_execz .LBB59_375
; %bb.364:
	v_mov_b32_e32 v7, 1.0
	s_mov_b32 s14, exec_lo
	v_cmpx_lt_i64_e32 0, v[35:36]
	s_cbranch_execz .LBB59_374
; %bb.365:
                                        ; implicit-def: $vgpr7
	s_mov_b32 s10, exec_lo
	v_cmpx_ne_u64_e32 1, v[35:36]
	s_xor_b32 s16, exec_lo, s10
	s_cbranch_execz .LBB59_371
; %bb.366:
	v_mov_b32_e32 v7, 0x7fc00000
	s_mov_b32 s17, exec_lo
	v_cmpx_gt_u64_e32 0x81, v[35:36]
	s_cbranch_execz .LBB59_370
; %bb.367:
	v_add_f32_e32 v8, v3, v3
	v_lshlrev_b64 v[35:36], 1, v[35:36]
	v_mov_b32_e32 v46, 1.0
	s_mov_b64 s[10:11], 2
	s_mov_b32 s18, 0
	v_mov_b32_e32 v7, v8
	.p2align	6
.LBB59_368:                             ; =>This Inner Loop Header: Depth=1
	s_clz_i32_u32 s19, s11
	s_delay_alu instid0(SALU_CYCLE_1) | instskip(NEXT) | instid1(SALU_CYCLE_1)
	s_min_u32 s19, s19, 32
	s_lshl_b64 s[20:21], s[10:11], s19
	s_sub_i32 s19, 32, s19
	s_min_u32 s20, s20, 1
	s_delay_alu instid0(SALU_CYCLE_1) | instskip(SKIP_3) | instid1(SALU_CYCLE_1)
	s_or_b32 s20, s21, s20
	s_add_u32 s10, s10, 2
	v_cvt_f32_u32_e32 v47, s20
	s_addc_u32 s11, s11, 0
	v_cmp_ge_u64_e32 vcc_lo, s[10:11], v[35:36]
	s_delay_alu instid0(VALU_DEP_2) | instskip(SKIP_1) | instid1(VALU_DEP_1)
	v_ldexp_f32 v47, v47, s19
	s_or_b32 s18, vcc_lo, s18
	v_dual_mul_f32 v47, v46, v47 :: v_dual_mov_b32 v46, v7
	s_delay_alu instid0(VALU_DEP_1)
	v_fma_f32 v7, v8, v7, -v47
	s_and_not1_b32 exec_lo, exec_lo, s18
	s_cbranch_execnz .LBB59_368
; %bb.369:
	s_or_b32 exec_lo, exec_lo, s18
.LBB59_370:
	s_delay_alu instid0(SALU_CYCLE_1)
	s_or_b32 exec_lo, exec_lo, s17
.LBB59_371:
	s_and_not1_saveexec_b32 s10, s16
; %bb.372:
	v_add_f32_e32 v7, v3, v3
; %bb.373:
	s_or_b32 exec_lo, exec_lo, s10
.LBB59_374:
	s_delay_alu instid0(SALU_CYCLE_1)
	s_or_b32 exec_lo, exec_lo, s14
.LBB59_375:
	s_delay_alu instid0(SALU_CYCLE_1) | instskip(SKIP_2) | instid1(VALU_DEP_1)
	s_or_b32 exec_lo, exec_lo, s13
	v_lshrrev_b32_e32 v3, 16, v45
	s_mov_b32 s13, exec_lo
	v_cvt_f32_f16_e32 v8, v3
	v_cmp_class_f16_e64 vcc_lo, v3, 0x1f8
	s_delay_alu instid0(VALU_DEP_2) | instskip(NEXT) | instid1(VALU_DEP_1)
	v_cvt_i32_f32_e32 v8, v8
	v_ashrrev_i32_e32 v35, 31, v8
	s_delay_alu instid0(VALU_DEP_1) | instskip(SKIP_1) | instid1(VALU_DEP_2)
	v_dual_cndmask_b32 v36, -1, v35 :: v_dual_cndmask_b32 v35, -1, v8
	v_mov_b32_e32 v8, 0
	v_cmpx_lt_i64_e32 -1, v[35:36]
	s_cbranch_execz .LBB59_387
; %bb.376:
	v_mov_b32_e32 v8, 1.0
	s_mov_b32 s14, exec_lo
	v_cmpx_lt_i64_e32 0, v[35:36]
	s_cbranch_execz .LBB59_386
; %bb.377:
	s_mov_b32 s10, exec_lo
	v_cmpx_ne_u64_e32 1, v[35:36]
	s_xor_b32 s16, exec_lo, s10
	s_cbranch_execz .LBB59_383
; %bb.378:
	v_mov_b32_e32 v8, 0x7fc00000
	s_mov_b32 s17, exec_lo
	v_cmpx_gt_u64_e32 0x81, v[35:36]
	s_cbranch_execz .LBB59_382
; %bb.379:
	v_add_f32_e32 v45, v4, v4
	v_lshlrev_b64 v[3:4], 1, v[35:36]
	v_mov_b32_e32 v35, 1.0
	s_mov_b64 s[10:11], 2
	s_mov_b32 s18, 0
	v_mov_b32_e32 v8, v45
	.p2align	6
.LBB59_380:                             ; =>This Inner Loop Header: Depth=1
	s_clz_i32_u32 s19, s11
	s_delay_alu instid0(SALU_CYCLE_1) | instskip(NEXT) | instid1(SALU_CYCLE_1)
	s_min_u32 s19, s19, 32
	s_lshl_b64 s[20:21], s[10:11], s19
	s_sub_i32 s19, 32, s19
	s_min_u32 s20, s20, 1
	s_delay_alu instid0(SALU_CYCLE_1) | instskip(SKIP_3) | instid1(SALU_CYCLE_1)
	s_or_b32 s20, s21, s20
	s_add_u32 s10, s10, 2
	v_cvt_f32_u32_e32 v36, s20
	s_addc_u32 s11, s11, 0
	v_cmp_ge_u64_e32 vcc_lo, s[10:11], v[3:4]
	s_delay_alu instid0(VALU_DEP_2) | instskip(SKIP_1) | instid1(VALU_DEP_1)
	v_ldexp_f32 v36, v36, s19
	s_or_b32 s18, vcc_lo, s18
	v_dual_mul_f32 v36, v35, v36 :: v_dual_mov_b32 v35, v8
	s_delay_alu instid0(VALU_DEP_1)
	v_fma_f32 v8, v45, v8, -v36
	s_and_not1_b32 exec_lo, exec_lo, s18
	s_cbranch_execnz .LBB59_380
; %bb.381:
	s_or_b32 exec_lo, exec_lo, s18
.LBB59_382:
	s_delay_alu instid0(SALU_CYCLE_1)
	s_or_b32 exec_lo, exec_lo, s17
                                        ; implicit-def: $vgpr3_vgpr4
.LBB59_383:
	s_and_not1_saveexec_b32 s10, s16
; %bb.384:
	v_add_f32_e32 v8, v4, v4
; %bb.385:
	s_or_b32 exec_lo, exec_lo, s10
.LBB59_386:
	s_delay_alu instid0(SALU_CYCLE_1)
	s_or_b32 exec_lo, exec_lo, s14
.LBB59_387:
	s_delay_alu instid0(SALU_CYCLE_1) | instskip(SKIP_3) | instid1(VALU_DEP_1)
	s_or_b32 exec_lo, exec_lo, s13
	s_add_u32 s10, s4, s8
	s_addc_u32 s11, s5, s9
	v_add_co_u32 v49, s8, s10, v37
	v_add_co_ci_u32_e64 v50, null, s11, 0, s8
	s_delay_alu instid0(VALU_DEP_2) | instskip(NEXT) | instid1(VALU_DEP_2)
	v_add_co_u32 v3, vcc_lo, 0x1000, v49
	v_add_co_ci_u32_e32 v4, vcc_lo, 0, v50, vcc_lo
	v_add_co_u32 v35, vcc_lo, 0x3000, v49
	v_add_co_ci_u32_e32 v36, vcc_lo, 0, v50, vcc_lo
	;; [unrolled: 2-line block ×4, first 2 shown]
	s_clause 0x7
	global_store_b64 v37, v[1:2], s[10:11]
	global_store_b64 v40, v[11:12], s[10:11]
	global_store_b64 v42, v[19:20], s[10:11]
	global_store_b64 v44, v[27:28], s[10:11]
	global_store_b64 v[3:4], v[5:6], off
	global_store_b64 v[35:36], v[13:14], off
	;; [unrolled: 1-line block ×4, first 2 shown]
	v_add_co_u32 v1, vcc_lo, 0x9000, v49
	v_add_co_ci_u32_e32 v2, vcc_lo, 0, v50, vcc_lo
	v_add_co_u32 v3, vcc_lo, 0xb000, v49
	v_add_co_ci_u32_e32 v4, vcc_lo, 0, v50, vcc_lo
	;; [unrolled: 2-line block ×4, first 2 shown]
	s_clause 0x7
	global_store_b64 v38, v[33:34], s[10:11]
	global_store_b64 v39, v[25:26], s[10:11]
	;; [unrolled: 1-line block ×4, first 2 shown]
	global_store_b64 v[1:2], v[29:30], off
	global_store_b64 v[3:4], v[21:22], off
	;; [unrolled: 1-line block ×4, first 2 shown]
	s_branch .LBB59_2
.LBB59_388:
	s_clause 0x1
	s_load_b32 s10, s[0:1], 0x24
	s_load_b128 s[16:19], s[0:1], 0x28
	v_dual_mov_b32 v31, v0 :: v_dual_mov_b32 v0, s4
	v_dual_mov_b32 v1, s5 :: v_dual_mov_b32 v2, s6
	;; [unrolled: 1-line block ×4, first 2 shown]
	s_add_u32 s8, s0, 56
	s_addc_u32 s9, s1, 0
	s_mov_b32 s12, s15
	s_getpc_b64 s[0:1]
	s_add_u32 s0, s0, _ZN2at6native25elementwise_kernel_helperILb1ENS0_13BinaryFunctorIfffZZZNS0_12_GLOBAL__N_132hermite_polynomial_h_kernel_cudaERNS_18TensorIteratorBaseEENKUlvE_clEvENKUlvE0_clEvEUlffE_EENS0_6memory8policies11unroll_baseILi512ESt5arrayIPcLm3EE23TrivialOffsetCalculatorILi2EjESG_ILi1EjENSA_12LoadWithCastILi2EEENSA_13StoreWithCastILi1EEELi32ELi1EEEEEvT0_T1_@rel32@lo+4
	s_addc_u32 s1, s1, _ZN2at6native25elementwise_kernel_helperILb1ENS0_13BinaryFunctorIfffZZZNS0_12_GLOBAL__N_132hermite_polynomial_h_kernel_cudaERNS_18TensorIteratorBaseEENKUlvE_clEvENKUlvE0_clEvEUlffE_EENS0_6memory8policies11unroll_baseILi512ESt5arrayIPcLm3EE23TrivialOffsetCalculatorILi2EjESG_ILi1EjENSA_12LoadWithCastILi2EEENSA_13StoreWithCastILi1EEELi32ELi1EEEEEvT0_T1_@rel32@hi+12
	s_waitcnt lgkmcnt(0)
	v_lshrrev_b16 v8, 8, s10
	v_dual_mov_b32 v7, s10 :: v_dual_mov_b32 v10, s17
	v_dual_mov_b32 v9, s16 :: v_dual_mov_b32 v12, s19
	v_mov_b32_e32 v11, s18
	s_swappc_b64 s[30:31], s[0:1]
	s_endpgm
	.section	.rodata,"a",@progbits
	.p2align	6, 0x0
	.amdhsa_kernel _ZN2at6native39vectorized_templated_elementwise_kernelILi2ENS0_13BinaryFunctorIfffZZZNS0_12_GLOBAL__N_132hermite_polynomial_h_kernel_cudaERNS_18TensorIteratorBaseEENKUlvE_clEvENKUlvE0_clEvEUlffE_EESt5arrayIPcLm3EE23TrivialOffsetCalculatorILi2EjESD_ILi1EjENS0_6memory12LoadWithCastILi2EEENSG_13StoreWithCastILi1EEEfJfN3c104HalfEEEEviT0_T1_T2_T3_T4_T5_
		.amdhsa_group_segment_fixed_size 0
		.amdhsa_private_segment_fixed_size 272
		.amdhsa_kernarg_size 312
		.amdhsa_user_sgpr_count 15
		.amdhsa_user_sgpr_dispatch_ptr 0
		.amdhsa_user_sgpr_queue_ptr 0
		.amdhsa_user_sgpr_kernarg_segment_ptr 1
		.amdhsa_user_sgpr_dispatch_id 0
		.amdhsa_user_sgpr_private_segment_size 0
		.amdhsa_wavefront_size32 1
		.amdhsa_uses_dynamic_stack 0
		.amdhsa_enable_private_segment 1
		.amdhsa_system_sgpr_workgroup_id_x 1
		.amdhsa_system_sgpr_workgroup_id_y 0
		.amdhsa_system_sgpr_workgroup_id_z 0
		.amdhsa_system_sgpr_workgroup_info 0
		.amdhsa_system_vgpr_workitem_id 0
		.amdhsa_next_free_vgpr 68
		.amdhsa_next_free_sgpr 77
		.amdhsa_reserve_vcc 1
		.amdhsa_float_round_mode_32 0
		.amdhsa_float_round_mode_16_64 0
		.amdhsa_float_denorm_mode_32 3
		.amdhsa_float_denorm_mode_16_64 3
		.amdhsa_dx10_clamp 1
		.amdhsa_ieee_mode 1
		.amdhsa_fp16_overflow 0
		.amdhsa_workgroup_processor_mode 1
		.amdhsa_memory_ordered 1
		.amdhsa_forward_progress 0
		.amdhsa_shared_vgpr_count 0
		.amdhsa_exception_fp_ieee_invalid_op 0
		.amdhsa_exception_fp_denorm_src 0
		.amdhsa_exception_fp_ieee_div_zero 0
		.amdhsa_exception_fp_ieee_overflow 0
		.amdhsa_exception_fp_ieee_underflow 0
		.amdhsa_exception_fp_ieee_inexact 0
		.amdhsa_exception_int_div_zero 0
	.end_amdhsa_kernel
	.section	.text._ZN2at6native39vectorized_templated_elementwise_kernelILi2ENS0_13BinaryFunctorIfffZZZNS0_12_GLOBAL__N_132hermite_polynomial_h_kernel_cudaERNS_18TensorIteratorBaseEENKUlvE_clEvENKUlvE0_clEvEUlffE_EESt5arrayIPcLm3EE23TrivialOffsetCalculatorILi2EjESD_ILi1EjENS0_6memory12LoadWithCastILi2EEENSG_13StoreWithCastILi1EEEfJfN3c104HalfEEEEviT0_T1_T2_T3_T4_T5_,"axG",@progbits,_ZN2at6native39vectorized_templated_elementwise_kernelILi2ENS0_13BinaryFunctorIfffZZZNS0_12_GLOBAL__N_132hermite_polynomial_h_kernel_cudaERNS_18TensorIteratorBaseEENKUlvE_clEvENKUlvE0_clEvEUlffE_EESt5arrayIPcLm3EE23TrivialOffsetCalculatorILi2EjESD_ILi1EjENS0_6memory12LoadWithCastILi2EEENSG_13StoreWithCastILi1EEEfJfN3c104HalfEEEEviT0_T1_T2_T3_T4_T5_,comdat
.Lfunc_end59:
	.size	_ZN2at6native39vectorized_templated_elementwise_kernelILi2ENS0_13BinaryFunctorIfffZZZNS0_12_GLOBAL__N_132hermite_polynomial_h_kernel_cudaERNS_18TensorIteratorBaseEENKUlvE_clEvENKUlvE0_clEvEUlffE_EESt5arrayIPcLm3EE23TrivialOffsetCalculatorILi2EjESD_ILi1EjENS0_6memory12LoadWithCastILi2EEENSG_13StoreWithCastILi1EEEfJfN3c104HalfEEEEviT0_T1_T2_T3_T4_T5_, .Lfunc_end59-_ZN2at6native39vectorized_templated_elementwise_kernelILi2ENS0_13BinaryFunctorIfffZZZNS0_12_GLOBAL__N_132hermite_polynomial_h_kernel_cudaERNS_18TensorIteratorBaseEENKUlvE_clEvENKUlvE0_clEvEUlffE_EESt5arrayIPcLm3EE23TrivialOffsetCalculatorILi2EjESD_ILi1EjENS0_6memory12LoadWithCastILi2EEENSG_13StoreWithCastILi1EEEfJfN3c104HalfEEEEviT0_T1_T2_T3_T4_T5_
                                        ; -- End function
	.section	.AMDGPU.csdata,"",@progbits
; Kernel info:
; codeLenInByte = 10096
; NumSgprs: 79
; NumVgprs: 68
; ScratchSize: 272
; MemoryBound: 0
; FloatMode: 240
; IeeeMode: 1
; LDSByteSize: 0 bytes/workgroup (compile time only)
; SGPRBlocks: 9
; VGPRBlocks: 8
; NumSGPRsForWavesPerEU: 79
; NumVGPRsForWavesPerEU: 68
; Occupancy: 16
; WaveLimiterHint : 0
; COMPUTE_PGM_RSRC2:SCRATCH_EN: 1
; COMPUTE_PGM_RSRC2:USER_SGPR: 15
; COMPUTE_PGM_RSRC2:TRAP_HANDLER: 0
; COMPUTE_PGM_RSRC2:TGID_X_EN: 1
; COMPUTE_PGM_RSRC2:TGID_Y_EN: 0
; COMPUTE_PGM_RSRC2:TGID_Z_EN: 0
; COMPUTE_PGM_RSRC2:TIDIG_COMP_CNT: 0
	.section	.text._ZN2at6native39vectorized_templated_elementwise_kernelILi8ENS0_13BinaryFunctorIfffZZZNS0_12_GLOBAL__N_132hermite_polynomial_h_kernel_cudaERNS_18TensorIteratorBaseEENKUlvE_clEvENKUlvE0_clEvEUlffE_EESt5arrayIPcLm3EE23TrivialOffsetCalculatorILi2EjESD_ILi1EjENS0_6memory12LoadWithCastILi2EEENSG_13StoreWithCastILi1EEEfJN3c104HalfEfEEEviT0_T1_T2_T3_T4_T5_,"axG",@progbits,_ZN2at6native39vectorized_templated_elementwise_kernelILi8ENS0_13BinaryFunctorIfffZZZNS0_12_GLOBAL__N_132hermite_polynomial_h_kernel_cudaERNS_18TensorIteratorBaseEENKUlvE_clEvENKUlvE0_clEvEUlffE_EESt5arrayIPcLm3EE23TrivialOffsetCalculatorILi2EjESD_ILi1EjENS0_6memory12LoadWithCastILi2EEENSG_13StoreWithCastILi1EEEfJN3c104HalfEfEEEviT0_T1_T2_T3_T4_T5_,comdat
	.globl	_ZN2at6native39vectorized_templated_elementwise_kernelILi8ENS0_13BinaryFunctorIfffZZZNS0_12_GLOBAL__N_132hermite_polynomial_h_kernel_cudaERNS_18TensorIteratorBaseEENKUlvE_clEvENKUlvE0_clEvEUlffE_EESt5arrayIPcLm3EE23TrivialOffsetCalculatorILi2EjESD_ILi1EjENS0_6memory12LoadWithCastILi2EEENSG_13StoreWithCastILi1EEEfJN3c104HalfEfEEEviT0_T1_T2_T3_T4_T5_ ; -- Begin function _ZN2at6native39vectorized_templated_elementwise_kernelILi8ENS0_13BinaryFunctorIfffZZZNS0_12_GLOBAL__N_132hermite_polynomial_h_kernel_cudaERNS_18TensorIteratorBaseEENKUlvE_clEvENKUlvE0_clEvEUlffE_EESt5arrayIPcLm3EE23TrivialOffsetCalculatorILi2EjESD_ILi1EjENS0_6memory12LoadWithCastILi2EEENSG_13StoreWithCastILi1EEEfJN3c104HalfEfEEEviT0_T1_T2_T3_T4_T5_
	.p2align	8
	.type	_ZN2at6native39vectorized_templated_elementwise_kernelILi8ENS0_13BinaryFunctorIfffZZZNS0_12_GLOBAL__N_132hermite_polynomial_h_kernel_cudaERNS_18TensorIteratorBaseEENKUlvE_clEvENKUlvE0_clEvEUlffE_EESt5arrayIPcLm3EE23TrivialOffsetCalculatorILi2EjESD_ILi1EjENS0_6memory12LoadWithCastILi2EEENSG_13StoreWithCastILi1EEEfJN3c104HalfEfEEEviT0_T1_T2_T3_T4_T5_,@function
_ZN2at6native39vectorized_templated_elementwise_kernelILi8ENS0_13BinaryFunctorIfffZZZNS0_12_GLOBAL__N_132hermite_polynomial_h_kernel_cudaERNS_18TensorIteratorBaseEENKUlvE_clEvENKUlvE0_clEvEUlffE_EESt5arrayIPcLm3EE23TrivialOffsetCalculatorILi2EjESD_ILi1EjENS0_6memory12LoadWithCastILi2EEENSG_13StoreWithCastILi1EEEfJN3c104HalfEfEEEviT0_T1_T2_T3_T4_T5_: ; @_ZN2at6native39vectorized_templated_elementwise_kernelILi8ENS0_13BinaryFunctorIfffZZZNS0_12_GLOBAL__N_132hermite_polynomial_h_kernel_cudaERNS_18TensorIteratorBaseEENKUlvE_clEvENKUlvE0_clEvEUlffE_EESt5arrayIPcLm3EE23TrivialOffsetCalculatorILi2EjESD_ILi1EjENS0_6memory12LoadWithCastILi2EEENSG_13StoreWithCastILi1EEEfJN3c104HalfEfEEEviT0_T1_T2_T3_T4_T5_
; %bb.0:
	s_clause 0x3
	s_load_b32 s8, s[0:1], 0x38
	s_load_b32 s9, s[0:1], 0x0
	s_load_b64 s[2:3], s[0:1], 0x18
	s_load_b128 s[4:7], s[0:1], 0x8
	s_not_b32 s10, s15
	s_mov_b32 s32, 0
	s_waitcnt lgkmcnt(0)
	s_add_i32 s8, s8, s10
	s_delay_alu instid0(SALU_CYCLE_1) | instskip(NEXT) | instid1(SALU_CYCLE_1)
	s_lshl_b32 s8, s8, 14
	s_sub_i32 s12, s9, s8
	s_mov_b32 s9, -1
	s_cmpk_gt_i32 s12, 0x3fff
	s_cbranch_scc1 .LBB60_3
; %bb.1:
	s_and_b32 vcc_lo, exec_lo, s9
	s_cbranch_vccnz .LBB60_388
.LBB60_2:
	s_nop 0
	s_sendmsg sendmsg(MSG_DEALLOC_VGPRS)
	s_endpgm
.LBB60_3:
	s_ashr_i32 s9, s8, 31
	v_lshlrev_b32_e32 v52, 5, v0
	s_lshl_b64 s[10:11], s[8:9], 1
	v_lshlrev_b32_e32 v17, 4, v0
	s_add_u32 s10, s6, s10
	s_addc_u32 s11, s7, s11
	s_lshl_b64 s[8:9], s[8:9], 2
	v_or_b32_e32 v5, 0x400, v0
	s_add_u32 s16, s2, s8
	s_addc_u32 s17, s3, s9
	v_add_co_u32 v7, s13, s10, v17
	s_clause 0x1
	global_load_b128 v[1:4], v52, s[16:17]
	global_load_b128 v[13:16], v52, s[16:17] offset:16
	v_add_co_ci_u32_e64 v8, null, s11, 0, s13
	v_lshlrev_b32_e32 v18, 4, v5
	v_lshlrev_b32_e32 v51, 5, v5
	v_add_co_u32 v5, vcc_lo, 0x2000, v7
	v_add_co_u32 v11, s13, s16, v52
	v_add_co_ci_u32_e32 v6, vcc_lo, 0, v8, vcc_lo
	v_add_co_ci_u32_e64 v12, null, s17, 0, s13
	v_add_co_u32 v7, vcc_lo, 0x6000, v7
	v_add_co_ci_u32_e32 v8, vcc_lo, 0, v8, vcc_lo
	v_add_co_u32 v9, vcc_lo, 0x4000, v11
	s_delay_alu instid0(VALU_DEP_4)
	v_add_co_ci_u32_e32 v10, vcc_lo, 0, v12, vcc_lo
	v_add_co_u32 v11, vcc_lo, 0xc000, v11
	v_add_co_ci_u32_e32 v12, vcc_lo, 0, v12, vcc_lo
	s_clause 0x1
	global_load_b128 v[29:32], v51, s[16:17] offset:16
	global_load_b128 v[37:40], v51, s[16:17]
	s_mov_b32 s13, exec_lo
	s_waitcnt vmcnt(3)
	v_trunc_f32_e32 v49, v1
	s_delay_alu instid0(VALU_DEP_1) | instskip(NEXT) | instid1(VALU_DEP_1)
	v_mul_f32_e64 v50, 0x2f800000, |v49|
	v_floor_f32_e32 v50, v50
	s_delay_alu instid0(VALU_DEP_1) | instskip(SKIP_2) | instid1(VALU_DEP_3)
	v_fma_f32 v53, 0xcf800000, v50, |v49|
	v_ashrrev_i32_e32 v49, 31, v49
	v_cvt_u32_f32_e32 v50, v50
	v_cvt_u32_f32_e32 v53, v53
	s_delay_alu instid0(VALU_DEP_2) | instskip(NEXT) | instid1(VALU_DEP_2)
	v_xor_b32_e32 v50, v50, v49
	v_xor_b32_e32 v53, v53, v49
	s_delay_alu instid0(VALU_DEP_1) | instskip(NEXT) | instid1(VALU_DEP_3)
	v_sub_co_u32 v53, vcc_lo, v53, v49
	v_sub_co_ci_u32_e32 v49, vcc_lo, v50, v49, vcc_lo
	v_cmp_class_f32_e64 vcc_lo, v1, 0x1f8
	s_delay_alu instid0(VALU_DEP_2)
	v_dual_mov_b32 v1, 0 :: v_dual_cndmask_b32 v50, -1, v49
	s_clause 0x3
	global_load_b128 v[45:48], v17, s[10:11]
	global_load_b128 v[41:44], v[5:6], off
	global_load_b128 v[25:28], v18, s[10:11]
	global_load_b128 v[5:8], v[7:8], off
	s_clause 0x3
	global_load_b128 v[21:24], v[9:10], off
	global_load_b128 v[33:36], v[9:10], off offset:16
	global_load_b128 v[17:20], v[11:12], off
	global_load_b128 v[9:12], v[11:12], off offset:16
	v_cndmask_b32_e32 v49, -1, v53, vcc_lo
	s_delay_alu instid0(VALU_DEP_1)
	v_cmpx_lt_i64_e32 -1, v[49:50]
	s_cbranch_execz .LBB60_15
; %bb.4:
	v_mov_b32_e32 v1, 1.0
	s_mov_b32 s14, exec_lo
	v_cmpx_lt_i64_e32 0, v[49:50]
	s_cbranch_execz .LBB60_14
; %bb.5:
	s_waitcnt vmcnt(7)
	v_cvt_f32_f16_e32 v53, v45
                                        ; implicit-def: $vgpr1
	s_mov_b32 s10, exec_lo
	v_cmpx_ne_u64_e32 1, v[49:50]
	s_xor_b32 s16, exec_lo, s10
	s_cbranch_execz .LBB60_11
; %bb.6:
	v_mov_b32_e32 v1, 0x7fc00000
	s_mov_b32 s17, exec_lo
	v_cmpx_gt_u64_e32 0x81, v[49:50]
	s_cbranch_execz .LBB60_10
; %bb.7:
	v_dual_add_f32 v53, v53, v53 :: v_dual_mov_b32 v54, 1.0
	v_lshlrev_b64 v[49:50], 1, v[49:50]
	s_mov_b64 s[10:11], 2
	s_mov_b32 s18, 0
	s_delay_alu instid0(VALU_DEP_2)
	v_mov_b32_e32 v1, v53
	.p2align	6
.LBB60_8:                               ; =>This Inner Loop Header: Depth=1
	s_clz_i32_u32 s19, s11
	s_delay_alu instid0(SALU_CYCLE_1) | instskip(NEXT) | instid1(SALU_CYCLE_1)
	s_min_u32 s19, s19, 32
	s_lshl_b64 s[20:21], s[10:11], s19
	s_sub_i32 s19, 32, s19
	s_min_u32 s20, s20, 1
	s_delay_alu instid0(SALU_CYCLE_1) | instskip(SKIP_3) | instid1(SALU_CYCLE_1)
	s_or_b32 s20, s21, s20
	s_add_u32 s10, s10, 2
	v_cvt_f32_u32_e32 v55, s20
	s_addc_u32 s11, s11, 0
	v_cmp_ge_u64_e32 vcc_lo, s[10:11], v[49:50]
	s_delay_alu instid0(VALU_DEP_2) | instskip(SKIP_1) | instid1(VALU_DEP_1)
	v_ldexp_f32 v55, v55, s19
	s_or_b32 s18, vcc_lo, s18
	v_dual_mul_f32 v55, v54, v55 :: v_dual_mov_b32 v54, v1
	s_delay_alu instid0(VALU_DEP_1)
	v_fma_f32 v1, v53, v1, -v55
	s_and_not1_b32 exec_lo, exec_lo, s18
	s_cbranch_execnz .LBB60_8
; %bb.9:
	s_or_b32 exec_lo, exec_lo, s18
.LBB60_10:
	s_delay_alu instid0(SALU_CYCLE_1)
	s_or_b32 exec_lo, exec_lo, s17
                                        ; implicit-def: $vgpr53
.LBB60_11:
	s_and_not1_saveexec_b32 s10, s16
; %bb.12:
	v_add_f32_e32 v1, v53, v53
; %bb.13:
	s_or_b32 exec_lo, exec_lo, s10
.LBB60_14:
	s_delay_alu instid0(SALU_CYCLE_1)
	s_or_b32 exec_lo, exec_lo, s14
.LBB60_15:
	s_delay_alu instid0(SALU_CYCLE_1) | instskip(SKIP_2) | instid1(VALU_DEP_1)
	s_or_b32 exec_lo, exec_lo, s13
	v_trunc_f32_e32 v49, v2
	s_mov_b32 s13, exec_lo
	v_mul_f32_e64 v50, 0x2f800000, |v49|
	s_delay_alu instid0(VALU_DEP_1) | instskip(NEXT) | instid1(VALU_DEP_1)
	v_floor_f32_e32 v50, v50
	v_fma_f32 v53, 0xcf800000, v50, |v49|
	v_ashrrev_i32_e32 v49, 31, v49
	v_cvt_u32_f32_e32 v50, v50
	s_delay_alu instid0(VALU_DEP_3) | instskip(NEXT) | instid1(VALU_DEP_2)
	v_cvt_u32_f32_e32 v53, v53
	v_xor_b32_e32 v50, v50, v49
	s_delay_alu instid0(VALU_DEP_2) | instskip(NEXT) | instid1(VALU_DEP_1)
	v_xor_b32_e32 v53, v53, v49
	v_sub_co_u32 v53, vcc_lo, v53, v49
	s_delay_alu instid0(VALU_DEP_3) | instskip(SKIP_2) | instid1(VALU_DEP_3)
	v_sub_co_ci_u32_e32 v49, vcc_lo, v50, v49, vcc_lo
	v_cmp_class_f32_e64 vcc_lo, v2, 0x1f8
	v_mov_b32_e32 v2, 0
	v_cndmask_b32_e32 v50, -1, v49, vcc_lo
	v_cndmask_b32_e32 v49, -1, v53, vcc_lo
	s_delay_alu instid0(VALU_DEP_1)
	v_cmpx_lt_i64_e32 -1, v[49:50]
	s_cbranch_execz .LBB60_27
; %bb.16:
	v_mov_b32_e32 v2, 1.0
	s_mov_b32 s14, exec_lo
	v_cmpx_lt_i64_e32 0, v[49:50]
	s_cbranch_execz .LBB60_26
; %bb.17:
	s_waitcnt vmcnt(7)
	v_lshrrev_b32_e32 v2, 16, v45
	s_mov_b32 s10, exec_lo
	s_delay_alu instid0(VALU_DEP_1)
	v_cvt_f32_f16_e32 v45, v2
	v_cmpx_ne_u64_e32 1, v[49:50]
	s_xor_b32 s16, exec_lo, s10
	s_cbranch_execz .LBB60_23
; %bb.18:
	v_mov_b32_e32 v2, 0x7fc00000
	s_mov_b32 s17, exec_lo
	v_cmpx_gt_u64_e32 0x81, v[49:50]
	s_cbranch_execz .LBB60_22
; %bb.19:
	v_add_f32_e32 v45, v45, v45
	v_lshlrev_b64 v[49:50], 1, v[49:50]
	v_mov_b32_e32 v53, 1.0
	s_mov_b64 s[10:11], 2
	s_mov_b32 s18, 0
	v_mov_b32_e32 v2, v45
	.p2align	6
.LBB60_20:                              ; =>This Inner Loop Header: Depth=1
	s_clz_i32_u32 s19, s11
	s_delay_alu instid0(SALU_CYCLE_1) | instskip(NEXT) | instid1(SALU_CYCLE_1)
	s_min_u32 s19, s19, 32
	s_lshl_b64 s[20:21], s[10:11], s19
	s_sub_i32 s19, 32, s19
	s_min_u32 s20, s20, 1
	s_delay_alu instid0(SALU_CYCLE_1) | instskip(SKIP_3) | instid1(SALU_CYCLE_1)
	s_or_b32 s20, s21, s20
	s_add_u32 s10, s10, 2
	v_cvt_f32_u32_e32 v54, s20
	s_addc_u32 s11, s11, 0
	v_cmp_ge_u64_e32 vcc_lo, s[10:11], v[49:50]
	s_delay_alu instid0(VALU_DEP_2) | instskip(SKIP_1) | instid1(VALU_DEP_1)
	v_ldexp_f32 v54, v54, s19
	s_or_b32 s18, vcc_lo, s18
	v_dual_mul_f32 v54, v53, v54 :: v_dual_mov_b32 v53, v2
	s_delay_alu instid0(VALU_DEP_1)
	v_fma_f32 v2, v45, v2, -v54
	s_and_not1_b32 exec_lo, exec_lo, s18
	s_cbranch_execnz .LBB60_20
; %bb.21:
	s_or_b32 exec_lo, exec_lo, s18
.LBB60_22:
	s_delay_alu instid0(SALU_CYCLE_1)
	s_or_b32 exec_lo, exec_lo, s17
                                        ; implicit-def: $vgpr45
.LBB60_23:
	s_and_not1_saveexec_b32 s10, s16
; %bb.24:
	v_add_f32_e32 v2, v45, v45
; %bb.25:
	s_or_b32 exec_lo, exec_lo, s10
.LBB60_26:
	s_delay_alu instid0(SALU_CYCLE_1)
	s_or_b32 exec_lo, exec_lo, s14
.LBB60_27:
	s_delay_alu instid0(SALU_CYCLE_1) | instskip(SKIP_3) | instid1(VALU_DEP_1)
	s_or_b32 exec_lo, exec_lo, s13
	s_waitcnt vmcnt(7)
	v_trunc_f32_e32 v45, v3
	s_mov_b32 s13, exec_lo
	v_mul_f32_e64 v49, 0x2f800000, |v45|
	s_delay_alu instid0(VALU_DEP_1) | instskip(NEXT) | instid1(VALU_DEP_1)
	v_floor_f32_e32 v49, v49
	v_fma_f32 v50, 0xcf800000, v49, |v45|
	v_ashrrev_i32_e32 v45, 31, v45
	v_cvt_u32_f32_e32 v49, v49
	s_delay_alu instid0(VALU_DEP_3) | instskip(NEXT) | instid1(VALU_DEP_2)
	v_cvt_u32_f32_e32 v50, v50
	v_xor_b32_e32 v49, v49, v45
	s_delay_alu instid0(VALU_DEP_2) | instskip(NEXT) | instid1(VALU_DEP_1)
	v_xor_b32_e32 v50, v50, v45
	v_sub_co_u32 v53, vcc_lo, v50, v45
	s_delay_alu instid0(VALU_DEP_3) | instskip(SKIP_1) | instid1(VALU_DEP_2)
	v_sub_co_ci_u32_e32 v45, vcc_lo, v49, v45, vcc_lo
	v_cmp_class_f32_e64 vcc_lo, v3, 0x1f8
	v_dual_mov_b32 v3, 0 :: v_dual_cndmask_b32 v50, -1, v45
	s_delay_alu instid0(VALU_DEP_4) | instskip(NEXT) | instid1(VALU_DEP_1)
	v_cndmask_b32_e32 v49, -1, v53, vcc_lo
	v_cmpx_lt_i64_e32 -1, v[49:50]
	s_cbranch_execz .LBB60_39
; %bb.28:
	v_mov_b32_e32 v3, 1.0
	s_mov_b32 s14, exec_lo
	v_cmpx_lt_i64_e32 0, v[49:50]
	s_cbranch_execz .LBB60_38
; %bb.29:
	v_cvt_f32_f16_e32 v45, v46
	s_mov_b32 s10, exec_lo
	v_cmpx_ne_u64_e32 1, v[49:50]
	s_xor_b32 s16, exec_lo, s10
	s_cbranch_execz .LBB60_35
; %bb.30:
	v_mov_b32_e32 v3, 0x7fc00000
	s_mov_b32 s17, exec_lo
	v_cmpx_gt_u64_e32 0x81, v[49:50]
	s_cbranch_execz .LBB60_34
; %bb.31:
	v_add_f32_e32 v45, v45, v45
	v_lshlrev_b64 v[49:50], 1, v[49:50]
	v_mov_b32_e32 v53, 1.0
	s_mov_b64 s[10:11], 2
	s_mov_b32 s18, 0
	v_mov_b32_e32 v3, v45
	.p2align	6
.LBB60_32:                              ; =>This Inner Loop Header: Depth=1
	s_clz_i32_u32 s19, s11
	s_delay_alu instid0(SALU_CYCLE_1) | instskip(NEXT) | instid1(SALU_CYCLE_1)
	s_min_u32 s19, s19, 32
	s_lshl_b64 s[20:21], s[10:11], s19
	s_sub_i32 s19, 32, s19
	s_min_u32 s20, s20, 1
	s_delay_alu instid0(SALU_CYCLE_1) | instskip(SKIP_3) | instid1(SALU_CYCLE_1)
	s_or_b32 s20, s21, s20
	s_add_u32 s10, s10, 2
	v_cvt_f32_u32_e32 v54, s20
	s_addc_u32 s11, s11, 0
	v_cmp_ge_u64_e32 vcc_lo, s[10:11], v[49:50]
	s_delay_alu instid0(VALU_DEP_2) | instskip(SKIP_1) | instid1(VALU_DEP_1)
	v_ldexp_f32 v54, v54, s19
	s_or_b32 s18, vcc_lo, s18
	v_dual_mul_f32 v54, v53, v54 :: v_dual_mov_b32 v53, v3
	s_delay_alu instid0(VALU_DEP_1)
	v_fma_f32 v3, v45, v3, -v54
	s_and_not1_b32 exec_lo, exec_lo, s18
	s_cbranch_execnz .LBB60_32
; %bb.33:
	s_or_b32 exec_lo, exec_lo, s18
.LBB60_34:
	s_delay_alu instid0(SALU_CYCLE_1)
	s_or_b32 exec_lo, exec_lo, s17
                                        ; implicit-def: $vgpr45
.LBB60_35:
	s_and_not1_saveexec_b32 s10, s16
; %bb.36:
	v_add_f32_e32 v3, v45, v45
; %bb.37:
	s_or_b32 exec_lo, exec_lo, s10
.LBB60_38:
	s_delay_alu instid0(SALU_CYCLE_1)
	s_or_b32 exec_lo, exec_lo, s14
.LBB60_39:
	s_delay_alu instid0(SALU_CYCLE_1) | instskip(SKIP_2) | instid1(VALU_DEP_1)
	s_or_b32 exec_lo, exec_lo, s13
	v_trunc_f32_e32 v45, v4
	s_mov_b32 s13, exec_lo
	v_mul_f32_e64 v49, 0x2f800000, |v45|
	s_delay_alu instid0(VALU_DEP_1) | instskip(NEXT) | instid1(VALU_DEP_1)
	v_floor_f32_e32 v49, v49
	v_fma_f32 v50, 0xcf800000, v49, |v45|
	v_ashrrev_i32_e32 v45, 31, v45
	v_cvt_u32_f32_e32 v49, v49
	s_delay_alu instid0(VALU_DEP_3) | instskip(NEXT) | instid1(VALU_DEP_2)
	v_cvt_u32_f32_e32 v50, v50
	v_xor_b32_e32 v49, v49, v45
	s_delay_alu instid0(VALU_DEP_2) | instskip(NEXT) | instid1(VALU_DEP_1)
	v_xor_b32_e32 v50, v50, v45
	v_sub_co_u32 v53, vcc_lo, v50, v45
	s_delay_alu instid0(VALU_DEP_3) | instskip(SKIP_2) | instid1(VALU_DEP_3)
	v_sub_co_ci_u32_e32 v45, vcc_lo, v49, v45, vcc_lo
	v_cmp_class_f32_e64 vcc_lo, v4, 0x1f8
	v_mov_b32_e32 v4, 0
	v_cndmask_b32_e32 v50, -1, v45, vcc_lo
	v_cndmask_b32_e32 v49, -1, v53, vcc_lo
	s_delay_alu instid0(VALU_DEP_1)
	v_cmpx_lt_i64_e32 -1, v[49:50]
	s_cbranch_execz .LBB60_51
; %bb.40:
	v_mov_b32_e32 v4, 1.0
	s_mov_b32 s14, exec_lo
	v_cmpx_lt_i64_e32 0, v[49:50]
	s_cbranch_execz .LBB60_50
; %bb.41:
	v_lshrrev_b32_e32 v4, 16, v46
	s_mov_b32 s10, exec_lo
	s_delay_alu instid0(VALU_DEP_1)
	v_cvt_f32_f16_e32 v45, v4
	v_cmpx_ne_u64_e32 1, v[49:50]
	s_xor_b32 s16, exec_lo, s10
	s_cbranch_execz .LBB60_47
; %bb.42:
	v_mov_b32_e32 v4, 0x7fc00000
	s_mov_b32 s17, exec_lo
	v_cmpx_gt_u64_e32 0x81, v[49:50]
	s_cbranch_execz .LBB60_46
; %bb.43:
	v_add_f32_e32 v53, v45, v45
	v_lshlrev_b64 v[45:46], 1, v[49:50]
	v_mov_b32_e32 v49, 1.0
	s_mov_b64 s[10:11], 2
	s_mov_b32 s18, 0
	v_mov_b32_e32 v4, v53
	.p2align	6
.LBB60_44:                              ; =>This Inner Loop Header: Depth=1
	s_clz_i32_u32 s19, s11
	s_delay_alu instid0(SALU_CYCLE_1) | instskip(NEXT) | instid1(SALU_CYCLE_1)
	s_min_u32 s19, s19, 32
	s_lshl_b64 s[20:21], s[10:11], s19
	s_sub_i32 s19, 32, s19
	s_min_u32 s20, s20, 1
	s_delay_alu instid0(SALU_CYCLE_1) | instskip(SKIP_3) | instid1(SALU_CYCLE_1)
	s_or_b32 s20, s21, s20
	s_add_u32 s10, s10, 2
	v_cvt_f32_u32_e32 v50, s20
	s_addc_u32 s11, s11, 0
	v_cmp_ge_u64_e32 vcc_lo, s[10:11], v[45:46]
	s_delay_alu instid0(VALU_DEP_2) | instskip(SKIP_1) | instid1(VALU_DEP_1)
	v_ldexp_f32 v50, v50, s19
	s_or_b32 s18, vcc_lo, s18
	v_dual_mul_f32 v50, v49, v50 :: v_dual_mov_b32 v49, v4
	s_delay_alu instid0(VALU_DEP_1)
	v_fma_f32 v4, v53, v4, -v50
	s_and_not1_b32 exec_lo, exec_lo, s18
	s_cbranch_execnz .LBB60_44
; %bb.45:
	s_or_b32 exec_lo, exec_lo, s18
.LBB60_46:
	s_delay_alu instid0(SALU_CYCLE_1)
	s_or_b32 exec_lo, exec_lo, s17
                                        ; implicit-def: $vgpr45
.LBB60_47:
	s_and_not1_saveexec_b32 s10, s16
; %bb.48:
	v_add_f32_e32 v4, v45, v45
; %bb.49:
	s_or_b32 exec_lo, exec_lo, s10
.LBB60_50:
	s_delay_alu instid0(SALU_CYCLE_1)
	s_or_b32 exec_lo, exec_lo, s14
.LBB60_51:
	s_delay_alu instid0(SALU_CYCLE_1) | instskip(SKIP_2) | instid1(VALU_DEP_1)
	s_or_b32 exec_lo, exec_lo, s13
	v_trunc_f32_e32 v45, v13
	s_mov_b32 s13, exec_lo
	v_mul_f32_e64 v46, 0x2f800000, |v45|
	s_delay_alu instid0(VALU_DEP_1) | instskip(NEXT) | instid1(VALU_DEP_1)
	v_floor_f32_e32 v46, v46
	v_fma_f32 v49, 0xcf800000, v46, |v45|
	v_ashrrev_i32_e32 v45, 31, v45
	v_cvt_u32_f32_e32 v46, v46
	s_delay_alu instid0(VALU_DEP_3) | instskip(NEXT) | instid1(VALU_DEP_2)
	v_cvt_u32_f32_e32 v49, v49
	v_xor_b32_e32 v46, v46, v45
	s_delay_alu instid0(VALU_DEP_2) | instskip(NEXT) | instid1(VALU_DEP_1)
	v_xor_b32_e32 v49, v49, v45
	v_sub_co_u32 v49, vcc_lo, v49, v45
	s_delay_alu instid0(VALU_DEP_3) | instskip(SKIP_1) | instid1(VALU_DEP_2)
	v_sub_co_ci_u32_e32 v45, vcc_lo, v46, v45, vcc_lo
	v_cmp_class_f32_e64 vcc_lo, v13, 0x1f8
	v_dual_mov_b32 v13, 0 :: v_dual_cndmask_b32 v46, -1, v45
	s_delay_alu instid0(VALU_DEP_4) | instskip(NEXT) | instid1(VALU_DEP_1)
	v_cndmask_b32_e32 v45, -1, v49, vcc_lo
	v_cmpx_lt_i64_e32 -1, v[45:46]
	s_cbranch_execz .LBB60_63
; %bb.52:
	v_mov_b32_e32 v13, 1.0
	s_mov_b32 s14, exec_lo
	v_cmpx_lt_i64_e32 0, v[45:46]
	s_cbranch_execz .LBB60_62
; %bb.53:
	v_cvt_f32_f16_e32 v49, v47
                                        ; implicit-def: $vgpr13
	s_mov_b32 s10, exec_lo
	v_cmpx_ne_u64_e32 1, v[45:46]
	s_xor_b32 s16, exec_lo, s10
	s_cbranch_execz .LBB60_59
; %bb.54:
	v_mov_b32_e32 v13, 0x7fc00000
	s_mov_b32 s17, exec_lo
	v_cmpx_gt_u64_e32 0x81, v[45:46]
	s_cbranch_execz .LBB60_58
; %bb.55:
	v_dual_add_f32 v49, v49, v49 :: v_dual_mov_b32 v50, 1.0
	v_lshlrev_b64 v[45:46], 1, v[45:46]
	s_mov_b64 s[10:11], 2
	s_mov_b32 s18, 0
	s_delay_alu instid0(VALU_DEP_2)
	v_mov_b32_e32 v13, v49
	.p2align	6
.LBB60_56:                              ; =>This Inner Loop Header: Depth=1
	s_clz_i32_u32 s19, s11
	s_delay_alu instid0(SALU_CYCLE_1) | instskip(NEXT) | instid1(SALU_CYCLE_1)
	s_min_u32 s19, s19, 32
	s_lshl_b64 s[20:21], s[10:11], s19
	s_sub_i32 s19, 32, s19
	s_min_u32 s20, s20, 1
	s_delay_alu instid0(SALU_CYCLE_1) | instskip(SKIP_3) | instid1(SALU_CYCLE_1)
	s_or_b32 s20, s21, s20
	s_add_u32 s10, s10, 2
	v_cvt_f32_u32_e32 v53, s20
	s_addc_u32 s11, s11, 0
	v_cmp_ge_u64_e32 vcc_lo, s[10:11], v[45:46]
	s_delay_alu instid0(VALU_DEP_2) | instskip(SKIP_1) | instid1(VALU_DEP_1)
	v_ldexp_f32 v53, v53, s19
	s_or_b32 s18, vcc_lo, s18
	v_dual_mul_f32 v53, v50, v53 :: v_dual_mov_b32 v50, v13
	s_delay_alu instid0(VALU_DEP_1)
	v_fma_f32 v13, v49, v13, -v53
	s_and_not1_b32 exec_lo, exec_lo, s18
	s_cbranch_execnz .LBB60_56
; %bb.57:
	s_or_b32 exec_lo, exec_lo, s18
.LBB60_58:
	s_delay_alu instid0(SALU_CYCLE_1)
	s_or_b32 exec_lo, exec_lo, s17
                                        ; implicit-def: $vgpr49
.LBB60_59:
	s_and_not1_saveexec_b32 s10, s16
; %bb.60:
	v_add_f32_e32 v13, v49, v49
; %bb.61:
	s_or_b32 exec_lo, exec_lo, s10
.LBB60_62:
	s_delay_alu instid0(SALU_CYCLE_1)
	s_or_b32 exec_lo, exec_lo, s14
.LBB60_63:
	s_delay_alu instid0(SALU_CYCLE_1) | instskip(SKIP_2) | instid1(VALU_DEP_1)
	s_or_b32 exec_lo, exec_lo, s13
	v_trunc_f32_e32 v45, v14
	s_mov_b32 s13, exec_lo
	v_mul_f32_e64 v46, 0x2f800000, |v45|
	s_delay_alu instid0(VALU_DEP_1) | instskip(NEXT) | instid1(VALU_DEP_1)
	v_floor_f32_e32 v46, v46
	v_fma_f32 v49, 0xcf800000, v46, |v45|
	v_ashrrev_i32_e32 v45, 31, v45
	v_cvt_u32_f32_e32 v46, v46
	s_delay_alu instid0(VALU_DEP_3) | instskip(NEXT) | instid1(VALU_DEP_2)
	v_cvt_u32_f32_e32 v49, v49
	v_xor_b32_e32 v46, v46, v45
	s_delay_alu instid0(VALU_DEP_2) | instskip(NEXT) | instid1(VALU_DEP_1)
	v_xor_b32_e32 v49, v49, v45
	v_sub_co_u32 v49, vcc_lo, v49, v45
	s_delay_alu instid0(VALU_DEP_3) | instskip(SKIP_2) | instid1(VALU_DEP_3)
	v_sub_co_ci_u32_e32 v45, vcc_lo, v46, v45, vcc_lo
	v_cmp_class_f32_e64 vcc_lo, v14, 0x1f8
	v_mov_b32_e32 v14, 0
	v_cndmask_b32_e32 v46, -1, v45, vcc_lo
	v_cndmask_b32_e32 v45, -1, v49, vcc_lo
	s_delay_alu instid0(VALU_DEP_1)
	v_cmpx_lt_i64_e32 -1, v[45:46]
	s_cbranch_execz .LBB60_75
; %bb.64:
	v_mov_b32_e32 v14, 1.0
	s_mov_b32 s14, exec_lo
	v_cmpx_lt_i64_e32 0, v[45:46]
	s_cbranch_execz .LBB60_74
; %bb.65:
	v_lshrrev_b32_e32 v14, 16, v47
	s_mov_b32 s10, exec_lo
	s_delay_alu instid0(VALU_DEP_1)
	v_cvt_f32_f16_e32 v47, v14
	v_cmpx_ne_u64_e32 1, v[45:46]
	s_xor_b32 s16, exec_lo, s10
	s_cbranch_execz .LBB60_71
; %bb.66:
	v_mov_b32_e32 v14, 0x7fc00000
	s_mov_b32 s17, exec_lo
	v_cmpx_gt_u64_e32 0x81, v[45:46]
	s_cbranch_execz .LBB60_70
; %bb.67:
	v_add_f32_e32 v47, v47, v47
	v_lshlrev_b64 v[45:46], 1, v[45:46]
	v_mov_b32_e32 v49, 1.0
	s_mov_b64 s[10:11], 2
	s_mov_b32 s18, 0
	v_mov_b32_e32 v14, v47
	.p2align	6
.LBB60_68:                              ; =>This Inner Loop Header: Depth=1
	s_clz_i32_u32 s19, s11
	s_delay_alu instid0(SALU_CYCLE_1) | instskip(NEXT) | instid1(SALU_CYCLE_1)
	s_min_u32 s19, s19, 32
	s_lshl_b64 s[20:21], s[10:11], s19
	s_sub_i32 s19, 32, s19
	s_min_u32 s20, s20, 1
	s_delay_alu instid0(SALU_CYCLE_1) | instskip(SKIP_3) | instid1(SALU_CYCLE_1)
	s_or_b32 s20, s21, s20
	s_add_u32 s10, s10, 2
	v_cvt_f32_u32_e32 v50, s20
	s_addc_u32 s11, s11, 0
	v_cmp_ge_u64_e32 vcc_lo, s[10:11], v[45:46]
	s_delay_alu instid0(VALU_DEP_2) | instskip(SKIP_1) | instid1(VALU_DEP_1)
	v_ldexp_f32 v50, v50, s19
	s_or_b32 s18, vcc_lo, s18
	v_dual_mul_f32 v50, v49, v50 :: v_dual_mov_b32 v49, v14
	s_delay_alu instid0(VALU_DEP_1)
	v_fma_f32 v14, v47, v14, -v50
	s_and_not1_b32 exec_lo, exec_lo, s18
	s_cbranch_execnz .LBB60_68
; %bb.69:
	s_or_b32 exec_lo, exec_lo, s18
.LBB60_70:
	s_delay_alu instid0(SALU_CYCLE_1)
	s_or_b32 exec_lo, exec_lo, s17
                                        ; implicit-def: $vgpr47
.LBB60_71:
	s_and_not1_saveexec_b32 s10, s16
; %bb.72:
	v_add_f32_e32 v14, v47, v47
; %bb.73:
	s_or_b32 exec_lo, exec_lo, s10
.LBB60_74:
	s_delay_alu instid0(SALU_CYCLE_1)
	s_or_b32 exec_lo, exec_lo, s14
.LBB60_75:
	s_delay_alu instid0(SALU_CYCLE_1) | instskip(SKIP_2) | instid1(VALU_DEP_1)
	s_or_b32 exec_lo, exec_lo, s13
	v_trunc_f32_e32 v45, v15
	s_mov_b32 s13, exec_lo
	v_mul_f32_e64 v46, 0x2f800000, |v45|
	s_delay_alu instid0(VALU_DEP_1) | instskip(NEXT) | instid1(VALU_DEP_1)
	v_floor_f32_e32 v46, v46
	v_fma_f32 v47, 0xcf800000, v46, |v45|
	v_ashrrev_i32_e32 v45, 31, v45
	v_cvt_u32_f32_e32 v46, v46
	s_delay_alu instid0(VALU_DEP_3) | instskip(NEXT) | instid1(VALU_DEP_2)
	v_cvt_u32_f32_e32 v47, v47
	v_xor_b32_e32 v46, v46, v45
	s_delay_alu instid0(VALU_DEP_2) | instskip(NEXT) | instid1(VALU_DEP_1)
	v_xor_b32_e32 v47, v47, v45
	v_sub_co_u32 v47, vcc_lo, v47, v45
	s_delay_alu instid0(VALU_DEP_3) | instskip(SKIP_1) | instid1(VALU_DEP_2)
	v_sub_co_ci_u32_e32 v45, vcc_lo, v46, v45, vcc_lo
	v_cmp_class_f32_e64 vcc_lo, v15, 0x1f8
	v_dual_mov_b32 v15, 0 :: v_dual_cndmask_b32 v46, -1, v45
	s_delay_alu instid0(VALU_DEP_4) | instskip(NEXT) | instid1(VALU_DEP_1)
	v_cndmask_b32_e32 v45, -1, v47, vcc_lo
	v_cmpx_lt_i64_e32 -1, v[45:46]
	s_cbranch_execz .LBB60_87
; %bb.76:
	v_mov_b32_e32 v15, 1.0
	s_mov_b32 s14, exec_lo
	v_cmpx_lt_i64_e32 0, v[45:46]
	s_cbranch_execz .LBB60_86
; %bb.77:
	v_cvt_f32_f16_e32 v47, v48
	s_mov_b32 s10, exec_lo
	v_cmpx_ne_u64_e32 1, v[45:46]
	s_xor_b32 s16, exec_lo, s10
	s_cbranch_execz .LBB60_83
; %bb.78:
	v_mov_b32_e32 v15, 0x7fc00000
	s_mov_b32 s17, exec_lo
	v_cmpx_gt_u64_e32 0x81, v[45:46]
	s_cbranch_execz .LBB60_82
; %bb.79:
	v_add_f32_e32 v47, v47, v47
	v_lshlrev_b64 v[45:46], 1, v[45:46]
	v_mov_b32_e32 v49, 1.0
	s_mov_b64 s[10:11], 2
	s_mov_b32 s18, 0
	v_mov_b32_e32 v15, v47
	.p2align	6
.LBB60_80:                              ; =>This Inner Loop Header: Depth=1
	s_clz_i32_u32 s19, s11
	s_delay_alu instid0(SALU_CYCLE_1) | instskip(NEXT) | instid1(SALU_CYCLE_1)
	s_min_u32 s19, s19, 32
	s_lshl_b64 s[20:21], s[10:11], s19
	s_sub_i32 s19, 32, s19
	s_min_u32 s20, s20, 1
	s_delay_alu instid0(SALU_CYCLE_1) | instskip(SKIP_3) | instid1(SALU_CYCLE_1)
	s_or_b32 s20, s21, s20
	s_add_u32 s10, s10, 2
	v_cvt_f32_u32_e32 v50, s20
	s_addc_u32 s11, s11, 0
	v_cmp_ge_u64_e32 vcc_lo, s[10:11], v[45:46]
	s_delay_alu instid0(VALU_DEP_2) | instskip(SKIP_1) | instid1(VALU_DEP_1)
	v_ldexp_f32 v50, v50, s19
	s_or_b32 s18, vcc_lo, s18
	v_dual_mul_f32 v50, v49, v50 :: v_dual_mov_b32 v49, v15
	s_delay_alu instid0(VALU_DEP_1)
	v_fma_f32 v15, v47, v15, -v50
	s_and_not1_b32 exec_lo, exec_lo, s18
	s_cbranch_execnz .LBB60_80
; %bb.81:
	s_or_b32 exec_lo, exec_lo, s18
.LBB60_82:
	s_delay_alu instid0(SALU_CYCLE_1)
	s_or_b32 exec_lo, exec_lo, s17
                                        ; implicit-def: $vgpr47
.LBB60_83:
	s_and_not1_saveexec_b32 s10, s16
; %bb.84:
	v_add_f32_e32 v15, v47, v47
; %bb.85:
	s_or_b32 exec_lo, exec_lo, s10
.LBB60_86:
	s_delay_alu instid0(SALU_CYCLE_1)
	s_or_b32 exec_lo, exec_lo, s14
.LBB60_87:
	s_delay_alu instid0(SALU_CYCLE_1) | instskip(SKIP_2) | instid1(VALU_DEP_1)
	s_or_b32 exec_lo, exec_lo, s13
	v_trunc_f32_e32 v45, v16
	s_mov_b32 s13, exec_lo
	v_mul_f32_e64 v46, 0x2f800000, |v45|
	s_delay_alu instid0(VALU_DEP_1) | instskip(NEXT) | instid1(VALU_DEP_1)
	v_floor_f32_e32 v46, v46
	v_fma_f32 v47, 0xcf800000, v46, |v45|
	v_ashrrev_i32_e32 v45, 31, v45
	v_cvt_u32_f32_e32 v46, v46
	s_delay_alu instid0(VALU_DEP_3) | instskip(NEXT) | instid1(VALU_DEP_2)
	v_cvt_u32_f32_e32 v47, v47
	v_xor_b32_e32 v46, v46, v45
	s_delay_alu instid0(VALU_DEP_2) | instskip(NEXT) | instid1(VALU_DEP_1)
	v_xor_b32_e32 v47, v47, v45
	v_sub_co_u32 v47, vcc_lo, v47, v45
	s_delay_alu instid0(VALU_DEP_3) | instskip(SKIP_2) | instid1(VALU_DEP_3)
	v_sub_co_ci_u32_e32 v45, vcc_lo, v46, v45, vcc_lo
	v_cmp_class_f32_e64 vcc_lo, v16, 0x1f8
	v_mov_b32_e32 v16, 0
	v_dual_cndmask_b32 v46, -1, v45 :: v_dual_cndmask_b32 v45, -1, v47
	s_delay_alu instid0(VALU_DEP_1)
	v_cmpx_lt_i64_e32 -1, v[45:46]
	s_cbranch_execz .LBB60_99
; %bb.88:
	v_mov_b32_e32 v16, 1.0
	s_mov_b32 s14, exec_lo
	v_cmpx_lt_i64_e32 0, v[45:46]
	s_cbranch_execz .LBB60_98
; %bb.89:
	v_lshrrev_b32_e32 v16, 16, v48
	s_mov_b32 s10, exec_lo
	s_delay_alu instid0(VALU_DEP_1)
	v_cvt_f32_f16_e32 v47, v16
	v_cmpx_ne_u64_e32 1, v[45:46]
	s_xor_b32 s16, exec_lo, s10
	s_cbranch_execz .LBB60_95
; %bb.90:
	v_mov_b32_e32 v16, 0x7fc00000
	s_mov_b32 s17, exec_lo
	v_cmpx_gt_u64_e32 0x81, v[45:46]
	s_cbranch_execz .LBB60_94
; %bb.91:
	v_dual_add_f32 v47, v47, v47 :: v_dual_mov_b32 v48, 1.0
	v_lshlrev_b64 v[45:46], 1, v[45:46]
	s_mov_b64 s[10:11], 2
	s_mov_b32 s18, 0
	s_delay_alu instid0(VALU_DEP_2)
	v_mov_b32_e32 v16, v47
	.p2align	6
.LBB60_92:                              ; =>This Inner Loop Header: Depth=1
	s_clz_i32_u32 s19, s11
	s_delay_alu instid0(SALU_CYCLE_1) | instskip(NEXT) | instid1(SALU_CYCLE_1)
	s_min_u32 s19, s19, 32
	s_lshl_b64 s[20:21], s[10:11], s19
	s_sub_i32 s19, 32, s19
	s_min_u32 s20, s20, 1
	s_delay_alu instid0(SALU_CYCLE_1) | instskip(SKIP_3) | instid1(SALU_CYCLE_1)
	s_or_b32 s20, s21, s20
	s_add_u32 s10, s10, 2
	v_cvt_f32_u32_e32 v49, s20
	s_addc_u32 s11, s11, 0
	v_cmp_ge_u64_e32 vcc_lo, s[10:11], v[45:46]
	s_delay_alu instid0(VALU_DEP_2) | instskip(SKIP_1) | instid1(VALU_DEP_1)
	v_ldexp_f32 v49, v49, s19
	s_or_b32 s18, vcc_lo, s18
	v_mul_f32_e32 v49, v48, v49
	v_mov_b32_e32 v48, v16
	s_delay_alu instid0(VALU_DEP_2)
	v_fma_f32 v16, v47, v16, -v49
	s_and_not1_b32 exec_lo, exec_lo, s18
	s_cbranch_execnz .LBB60_92
; %bb.93:
	s_or_b32 exec_lo, exec_lo, s18
.LBB60_94:
	s_delay_alu instid0(SALU_CYCLE_1)
	s_or_b32 exec_lo, exec_lo, s17
                                        ; implicit-def: $vgpr47
.LBB60_95:
	s_and_not1_saveexec_b32 s10, s16
; %bb.96:
	v_add_f32_e32 v16, v47, v47
; %bb.97:
	s_or_b32 exec_lo, exec_lo, s10
.LBB60_98:
	s_delay_alu instid0(SALU_CYCLE_1)
	s_or_b32 exec_lo, exec_lo, s14
.LBB60_99:
	s_delay_alu instid0(SALU_CYCLE_1) | instskip(SKIP_3) | instid1(VALU_DEP_1)
	s_or_b32 exec_lo, exec_lo, s13
	s_waitcnt vmcnt(3)
	v_trunc_f32_e32 v45, v21
	s_mov_b32 s13, exec_lo
	v_mul_f32_e64 v46, 0x2f800000, |v45|
	s_delay_alu instid0(VALU_DEP_1) | instskip(NEXT) | instid1(VALU_DEP_1)
	v_floor_f32_e32 v46, v46
	v_fma_f32 v47, 0xcf800000, v46, |v45|
	v_ashrrev_i32_e32 v45, 31, v45
	v_cvt_u32_f32_e32 v46, v46
	s_delay_alu instid0(VALU_DEP_3) | instskip(NEXT) | instid1(VALU_DEP_2)
	v_cvt_u32_f32_e32 v47, v47
	v_xor_b32_e32 v46, v46, v45
	s_delay_alu instid0(VALU_DEP_2) | instskip(NEXT) | instid1(VALU_DEP_1)
	v_xor_b32_e32 v47, v47, v45
	v_sub_co_u32 v47, vcc_lo, v47, v45
	s_delay_alu instid0(VALU_DEP_3) | instskip(SKIP_1) | instid1(VALU_DEP_2)
	v_sub_co_ci_u32_e32 v45, vcc_lo, v46, v45, vcc_lo
	v_cmp_class_f32_e64 vcc_lo, v21, 0x1f8
	v_dual_mov_b32 v21, 0 :: v_dual_cndmask_b32 v46, -1, v45
	s_delay_alu instid0(VALU_DEP_4) | instskip(NEXT) | instid1(VALU_DEP_1)
	v_cndmask_b32_e32 v45, -1, v47, vcc_lo
	v_cmpx_lt_i64_e32 -1, v[45:46]
	s_cbranch_execz .LBB60_111
; %bb.100:
	v_mov_b32_e32 v21, 1.0
	s_mov_b32 s14, exec_lo
	v_cmpx_lt_i64_e32 0, v[45:46]
	s_cbranch_execz .LBB60_110
; %bb.101:
	v_cvt_f32_f16_e32 v47, v41
                                        ; implicit-def: $vgpr21
	s_mov_b32 s10, exec_lo
	v_cmpx_ne_u64_e32 1, v[45:46]
	s_xor_b32 s16, exec_lo, s10
	s_cbranch_execz .LBB60_107
; %bb.102:
	v_mov_b32_e32 v21, 0x7fc00000
	s_mov_b32 s17, exec_lo
	v_cmpx_gt_u64_e32 0x81, v[45:46]
	s_cbranch_execz .LBB60_106
; %bb.103:
	v_dual_add_f32 v47, v47, v47 :: v_dual_mov_b32 v48, 1.0
	v_lshlrev_b64 v[45:46], 1, v[45:46]
	s_mov_b64 s[10:11], 2
	s_mov_b32 s18, 0
	s_delay_alu instid0(VALU_DEP_2)
	v_mov_b32_e32 v21, v47
	.p2align	6
.LBB60_104:                             ; =>This Inner Loop Header: Depth=1
	s_clz_i32_u32 s19, s11
	s_delay_alu instid0(SALU_CYCLE_1) | instskip(NEXT) | instid1(SALU_CYCLE_1)
	s_min_u32 s19, s19, 32
	s_lshl_b64 s[20:21], s[10:11], s19
	s_sub_i32 s19, 32, s19
	s_min_u32 s20, s20, 1
	s_delay_alu instid0(SALU_CYCLE_1) | instskip(SKIP_3) | instid1(SALU_CYCLE_1)
	s_or_b32 s20, s21, s20
	s_add_u32 s10, s10, 2
	v_cvt_f32_u32_e32 v49, s20
	s_addc_u32 s11, s11, 0
	v_cmp_ge_u64_e32 vcc_lo, s[10:11], v[45:46]
	s_delay_alu instid0(VALU_DEP_2) | instskip(SKIP_1) | instid1(VALU_DEP_1)
	v_ldexp_f32 v49, v49, s19
	s_or_b32 s18, vcc_lo, s18
	v_dual_mul_f32 v49, v48, v49 :: v_dual_mov_b32 v48, v21
	s_delay_alu instid0(VALU_DEP_1)
	v_fma_f32 v21, v47, v21, -v49
	s_and_not1_b32 exec_lo, exec_lo, s18
	s_cbranch_execnz .LBB60_104
; %bb.105:
	s_or_b32 exec_lo, exec_lo, s18
.LBB60_106:
	s_delay_alu instid0(SALU_CYCLE_1)
	s_or_b32 exec_lo, exec_lo, s17
                                        ; implicit-def: $vgpr47
.LBB60_107:
	s_and_not1_saveexec_b32 s10, s16
; %bb.108:
	v_add_f32_e32 v21, v47, v47
; %bb.109:
	s_or_b32 exec_lo, exec_lo, s10
.LBB60_110:
	s_delay_alu instid0(SALU_CYCLE_1)
	s_or_b32 exec_lo, exec_lo, s14
.LBB60_111:
	s_delay_alu instid0(SALU_CYCLE_1) | instskip(SKIP_2) | instid1(VALU_DEP_1)
	s_or_b32 exec_lo, exec_lo, s13
	v_trunc_f32_e32 v45, v22
	s_mov_b32 s13, exec_lo
	v_mul_f32_e64 v46, 0x2f800000, |v45|
	s_delay_alu instid0(VALU_DEP_1) | instskip(NEXT) | instid1(VALU_DEP_1)
	v_floor_f32_e32 v46, v46
	v_fma_f32 v47, 0xcf800000, v46, |v45|
	v_ashrrev_i32_e32 v45, 31, v45
	v_cvt_u32_f32_e32 v46, v46
	s_delay_alu instid0(VALU_DEP_3) | instskip(NEXT) | instid1(VALU_DEP_2)
	v_cvt_u32_f32_e32 v47, v47
	v_xor_b32_e32 v46, v46, v45
	s_delay_alu instid0(VALU_DEP_2) | instskip(NEXT) | instid1(VALU_DEP_1)
	v_xor_b32_e32 v47, v47, v45
	v_sub_co_u32 v47, vcc_lo, v47, v45
	s_delay_alu instid0(VALU_DEP_3) | instskip(SKIP_2) | instid1(VALU_DEP_3)
	v_sub_co_ci_u32_e32 v45, vcc_lo, v46, v45, vcc_lo
	v_cmp_class_f32_e64 vcc_lo, v22, 0x1f8
	v_mov_b32_e32 v22, 0
	v_dual_cndmask_b32 v46, -1, v45 :: v_dual_cndmask_b32 v45, -1, v47
	s_delay_alu instid0(VALU_DEP_1)
	v_cmpx_lt_i64_e32 -1, v[45:46]
	s_cbranch_execz .LBB60_123
; %bb.112:
	v_mov_b32_e32 v22, 1.0
	s_mov_b32 s14, exec_lo
	v_cmpx_lt_i64_e32 0, v[45:46]
	s_cbranch_execz .LBB60_122
; %bb.113:
	v_lshrrev_b32_e32 v22, 16, v41
	s_mov_b32 s10, exec_lo
	s_delay_alu instid0(VALU_DEP_1)
	v_cvt_f32_f16_e32 v41, v22
	v_cmpx_ne_u64_e32 1, v[45:46]
	s_xor_b32 s16, exec_lo, s10
	s_cbranch_execz .LBB60_119
; %bb.114:
	v_mov_b32_e32 v22, 0x7fc00000
	s_mov_b32 s17, exec_lo
	v_cmpx_gt_u64_e32 0x81, v[45:46]
	s_cbranch_execz .LBB60_118
; %bb.115:
	v_add_f32_e32 v41, v41, v41
	v_lshlrev_b64 v[45:46], 1, v[45:46]
	v_mov_b32_e32 v47, 1.0
	s_mov_b64 s[10:11], 2
	s_mov_b32 s18, 0
	v_mov_b32_e32 v22, v41
	.p2align	6
.LBB60_116:                             ; =>This Inner Loop Header: Depth=1
	s_clz_i32_u32 s19, s11
	s_delay_alu instid0(SALU_CYCLE_1) | instskip(NEXT) | instid1(SALU_CYCLE_1)
	s_min_u32 s19, s19, 32
	s_lshl_b64 s[20:21], s[10:11], s19
	s_sub_i32 s19, 32, s19
	s_min_u32 s20, s20, 1
	s_delay_alu instid0(SALU_CYCLE_1) | instskip(SKIP_3) | instid1(SALU_CYCLE_1)
	s_or_b32 s20, s21, s20
	s_add_u32 s10, s10, 2
	v_cvt_f32_u32_e32 v48, s20
	s_addc_u32 s11, s11, 0
	v_cmp_ge_u64_e32 vcc_lo, s[10:11], v[45:46]
	s_delay_alu instid0(VALU_DEP_2) | instskip(SKIP_1) | instid1(VALU_DEP_1)
	v_ldexp_f32 v48, v48, s19
	s_or_b32 s18, vcc_lo, s18
	v_dual_mul_f32 v48, v47, v48 :: v_dual_mov_b32 v47, v22
	s_delay_alu instid0(VALU_DEP_1)
	v_fma_f32 v22, v41, v22, -v48
	s_and_not1_b32 exec_lo, exec_lo, s18
	s_cbranch_execnz .LBB60_116
; %bb.117:
	s_or_b32 exec_lo, exec_lo, s18
.LBB60_118:
	s_delay_alu instid0(SALU_CYCLE_1)
	s_or_b32 exec_lo, exec_lo, s17
                                        ; implicit-def: $vgpr41
.LBB60_119:
	s_and_not1_saveexec_b32 s10, s16
; %bb.120:
	v_add_f32_e32 v22, v41, v41
; %bb.121:
	s_or_b32 exec_lo, exec_lo, s10
.LBB60_122:
	s_delay_alu instid0(SALU_CYCLE_1)
	s_or_b32 exec_lo, exec_lo, s14
.LBB60_123:
	s_delay_alu instid0(SALU_CYCLE_1) | instskip(SKIP_2) | instid1(VALU_DEP_1)
	s_or_b32 exec_lo, exec_lo, s13
	v_trunc_f32_e32 v41, v23
	s_mov_b32 s13, exec_lo
	v_mul_f32_e64 v45, 0x2f800000, |v41|
	s_delay_alu instid0(VALU_DEP_1) | instskip(NEXT) | instid1(VALU_DEP_1)
	v_floor_f32_e32 v45, v45
	v_fma_f32 v46, 0xcf800000, v45, |v41|
	v_ashrrev_i32_e32 v41, 31, v41
	v_cvt_u32_f32_e32 v45, v45
	s_delay_alu instid0(VALU_DEP_3) | instskip(NEXT) | instid1(VALU_DEP_2)
	v_cvt_u32_f32_e32 v46, v46
	v_xor_b32_e32 v45, v45, v41
	s_delay_alu instid0(VALU_DEP_2) | instskip(NEXT) | instid1(VALU_DEP_1)
	v_xor_b32_e32 v46, v46, v41
	v_sub_co_u32 v47, vcc_lo, v46, v41
	s_delay_alu instid0(VALU_DEP_3) | instskip(SKIP_1) | instid1(VALU_DEP_2)
	v_sub_co_ci_u32_e32 v41, vcc_lo, v45, v41, vcc_lo
	v_cmp_class_f32_e64 vcc_lo, v23, 0x1f8
	v_dual_mov_b32 v23, 0 :: v_dual_cndmask_b32 v46, -1, v41
	s_delay_alu instid0(VALU_DEP_4) | instskip(NEXT) | instid1(VALU_DEP_1)
	v_cndmask_b32_e32 v45, -1, v47, vcc_lo
	v_cmpx_lt_i64_e32 -1, v[45:46]
	s_cbranch_execz .LBB60_135
; %bb.124:
	v_mov_b32_e32 v23, 1.0
	s_mov_b32 s14, exec_lo
	v_cmpx_lt_i64_e32 0, v[45:46]
	s_cbranch_execz .LBB60_134
; %bb.125:
	v_cvt_f32_f16_e32 v41, v42
	s_mov_b32 s10, exec_lo
	v_cmpx_ne_u64_e32 1, v[45:46]
	s_xor_b32 s16, exec_lo, s10
	s_cbranch_execz .LBB60_131
; %bb.126:
	v_mov_b32_e32 v23, 0x7fc00000
	s_mov_b32 s17, exec_lo
	v_cmpx_gt_u64_e32 0x81, v[45:46]
	s_cbranch_execz .LBB60_130
; %bb.127:
	v_add_f32_e32 v41, v41, v41
	v_lshlrev_b64 v[45:46], 1, v[45:46]
	v_mov_b32_e32 v47, 1.0
	s_mov_b64 s[10:11], 2
	s_mov_b32 s18, 0
	v_mov_b32_e32 v23, v41
	.p2align	6
.LBB60_128:                             ; =>This Inner Loop Header: Depth=1
	s_clz_i32_u32 s19, s11
	s_delay_alu instid0(SALU_CYCLE_1) | instskip(NEXT) | instid1(SALU_CYCLE_1)
	s_min_u32 s19, s19, 32
	s_lshl_b64 s[20:21], s[10:11], s19
	s_sub_i32 s19, 32, s19
	s_min_u32 s20, s20, 1
	s_delay_alu instid0(SALU_CYCLE_1) | instskip(SKIP_3) | instid1(SALU_CYCLE_1)
	s_or_b32 s20, s21, s20
	s_add_u32 s10, s10, 2
	v_cvt_f32_u32_e32 v48, s20
	s_addc_u32 s11, s11, 0
	v_cmp_ge_u64_e32 vcc_lo, s[10:11], v[45:46]
	s_delay_alu instid0(VALU_DEP_2) | instskip(SKIP_1) | instid1(VALU_DEP_1)
	v_ldexp_f32 v48, v48, s19
	s_or_b32 s18, vcc_lo, s18
	v_mul_f32_e32 v48, v47, v48
	v_mov_b32_e32 v47, v23
	s_delay_alu instid0(VALU_DEP_2)
	v_fma_f32 v23, v41, v23, -v48
	s_and_not1_b32 exec_lo, exec_lo, s18
	s_cbranch_execnz .LBB60_128
; %bb.129:
	s_or_b32 exec_lo, exec_lo, s18
.LBB60_130:
	s_delay_alu instid0(SALU_CYCLE_1)
	s_or_b32 exec_lo, exec_lo, s17
                                        ; implicit-def: $vgpr41
.LBB60_131:
	s_and_not1_saveexec_b32 s10, s16
; %bb.132:
	v_add_f32_e32 v23, v41, v41
; %bb.133:
	s_or_b32 exec_lo, exec_lo, s10
.LBB60_134:
	s_delay_alu instid0(SALU_CYCLE_1)
	s_or_b32 exec_lo, exec_lo, s14
.LBB60_135:
	s_delay_alu instid0(SALU_CYCLE_1) | instskip(SKIP_2) | instid1(VALU_DEP_1)
	s_or_b32 exec_lo, exec_lo, s13
	v_trunc_f32_e32 v41, v24
	s_mov_b32 s13, exec_lo
	v_mul_f32_e64 v45, 0x2f800000, |v41|
	s_delay_alu instid0(VALU_DEP_1) | instskip(NEXT) | instid1(VALU_DEP_1)
	v_floor_f32_e32 v45, v45
	v_fma_f32 v46, 0xcf800000, v45, |v41|
	v_ashrrev_i32_e32 v41, 31, v41
	v_cvt_u32_f32_e32 v45, v45
	s_delay_alu instid0(VALU_DEP_3) | instskip(NEXT) | instid1(VALU_DEP_2)
	v_cvt_u32_f32_e32 v46, v46
	v_xor_b32_e32 v45, v45, v41
	s_delay_alu instid0(VALU_DEP_2) | instskip(NEXT) | instid1(VALU_DEP_1)
	v_xor_b32_e32 v46, v46, v41
	v_sub_co_u32 v47, vcc_lo, v46, v41
	s_delay_alu instid0(VALU_DEP_3) | instskip(SKIP_2) | instid1(VALU_DEP_3)
	v_sub_co_ci_u32_e32 v41, vcc_lo, v45, v41, vcc_lo
	v_cmp_class_f32_e64 vcc_lo, v24, 0x1f8
	v_mov_b32_e32 v24, 0
	v_dual_cndmask_b32 v46, -1, v41 :: v_dual_cndmask_b32 v45, -1, v47
	s_delay_alu instid0(VALU_DEP_1)
	v_cmpx_lt_i64_e32 -1, v[45:46]
	s_cbranch_execz .LBB60_147
; %bb.136:
	v_mov_b32_e32 v24, 1.0
	s_mov_b32 s14, exec_lo
	v_cmpx_lt_i64_e32 0, v[45:46]
	s_cbranch_execz .LBB60_146
; %bb.137:
	v_lshrrev_b32_e32 v24, 16, v42
	s_mov_b32 s10, exec_lo
	s_delay_alu instid0(VALU_DEP_1)
	v_cvt_f32_f16_e32 v41, v24
	v_cmpx_ne_u64_e32 1, v[45:46]
	s_xor_b32 s16, exec_lo, s10
	s_cbranch_execz .LBB60_143
; %bb.138:
	v_mov_b32_e32 v24, 0x7fc00000
	s_mov_b32 s17, exec_lo
	v_cmpx_gt_u64_e32 0x81, v[45:46]
	s_cbranch_execz .LBB60_142
; %bb.139:
	v_add_f32_e32 v47, v41, v41
	v_lshlrev_b64 v[41:42], 1, v[45:46]
	v_mov_b32_e32 v45, 1.0
	s_mov_b64 s[10:11], 2
	s_mov_b32 s18, 0
	v_mov_b32_e32 v24, v47
	.p2align	6
.LBB60_140:                             ; =>This Inner Loop Header: Depth=1
	s_clz_i32_u32 s19, s11
	s_delay_alu instid0(SALU_CYCLE_1) | instskip(NEXT) | instid1(SALU_CYCLE_1)
	s_min_u32 s19, s19, 32
	s_lshl_b64 s[20:21], s[10:11], s19
	s_sub_i32 s19, 32, s19
	s_min_u32 s20, s20, 1
	s_delay_alu instid0(SALU_CYCLE_1) | instskip(SKIP_3) | instid1(SALU_CYCLE_1)
	s_or_b32 s20, s21, s20
	s_add_u32 s10, s10, 2
	v_cvt_f32_u32_e32 v46, s20
	s_addc_u32 s11, s11, 0
	v_cmp_ge_u64_e32 vcc_lo, s[10:11], v[41:42]
	s_delay_alu instid0(VALU_DEP_2) | instskip(SKIP_1) | instid1(VALU_DEP_1)
	v_ldexp_f32 v46, v46, s19
	s_or_b32 s18, vcc_lo, s18
	v_dual_mul_f32 v46, v45, v46 :: v_dual_mov_b32 v45, v24
	s_delay_alu instid0(VALU_DEP_1)
	v_fma_f32 v24, v47, v24, -v46
	s_and_not1_b32 exec_lo, exec_lo, s18
	s_cbranch_execnz .LBB60_140
; %bb.141:
	s_or_b32 exec_lo, exec_lo, s18
.LBB60_142:
	s_delay_alu instid0(SALU_CYCLE_1)
	s_or_b32 exec_lo, exec_lo, s17
                                        ; implicit-def: $vgpr41
.LBB60_143:
	s_and_not1_saveexec_b32 s10, s16
; %bb.144:
	v_add_f32_e32 v24, v41, v41
; %bb.145:
	s_or_b32 exec_lo, exec_lo, s10
.LBB60_146:
	s_delay_alu instid0(SALU_CYCLE_1)
	s_or_b32 exec_lo, exec_lo, s14
.LBB60_147:
	s_delay_alu instid0(SALU_CYCLE_1) | instskip(SKIP_3) | instid1(VALU_DEP_1)
	s_or_b32 exec_lo, exec_lo, s13
	s_waitcnt vmcnt(2)
	v_trunc_f32_e32 v41, v33
	s_mov_b32 s13, exec_lo
	v_mul_f32_e64 v42, 0x2f800000, |v41|
	s_delay_alu instid0(VALU_DEP_1) | instskip(NEXT) | instid1(VALU_DEP_1)
	v_floor_f32_e32 v42, v42
	v_fma_f32 v45, 0xcf800000, v42, |v41|
	v_ashrrev_i32_e32 v41, 31, v41
	v_cvt_u32_f32_e32 v42, v42
	s_delay_alu instid0(VALU_DEP_3) | instskip(NEXT) | instid1(VALU_DEP_2)
	v_cvt_u32_f32_e32 v45, v45
	v_xor_b32_e32 v42, v42, v41
	s_delay_alu instid0(VALU_DEP_2) | instskip(NEXT) | instid1(VALU_DEP_1)
	v_xor_b32_e32 v45, v45, v41
	v_sub_co_u32 v45, vcc_lo, v45, v41
	s_delay_alu instid0(VALU_DEP_3) | instskip(SKIP_1) | instid1(VALU_DEP_2)
	v_sub_co_ci_u32_e32 v41, vcc_lo, v42, v41, vcc_lo
	v_cmp_class_f32_e64 vcc_lo, v33, 0x1f8
	v_dual_mov_b32 v33, 0 :: v_dual_cndmask_b32 v42, -1, v41
	s_delay_alu instid0(VALU_DEP_4) | instskip(NEXT) | instid1(VALU_DEP_1)
	v_cndmask_b32_e32 v41, -1, v45, vcc_lo
	v_cmpx_lt_i64_e32 -1, v[41:42]
	s_cbranch_execz .LBB60_159
; %bb.148:
	v_mov_b32_e32 v33, 1.0
	s_mov_b32 s14, exec_lo
	v_cmpx_lt_i64_e32 0, v[41:42]
	s_cbranch_execz .LBB60_158
; %bb.149:
	v_cvt_f32_f16_e32 v45, v43
                                        ; implicit-def: $vgpr33
	s_mov_b32 s10, exec_lo
	v_cmpx_ne_u64_e32 1, v[41:42]
	s_xor_b32 s16, exec_lo, s10
	s_cbranch_execz .LBB60_155
; %bb.150:
	v_mov_b32_e32 v33, 0x7fc00000
	s_mov_b32 s17, exec_lo
	v_cmpx_gt_u64_e32 0x81, v[41:42]
	s_cbranch_execz .LBB60_154
; %bb.151:
	v_dual_add_f32 v45, v45, v45 :: v_dual_mov_b32 v46, 1.0
	v_lshlrev_b64 v[41:42], 1, v[41:42]
	s_mov_b64 s[10:11], 2
	s_mov_b32 s18, 0
	s_delay_alu instid0(VALU_DEP_2)
	v_mov_b32_e32 v33, v45
	.p2align	6
.LBB60_152:                             ; =>This Inner Loop Header: Depth=1
	s_clz_i32_u32 s19, s11
	s_delay_alu instid0(SALU_CYCLE_1) | instskip(NEXT) | instid1(SALU_CYCLE_1)
	s_min_u32 s19, s19, 32
	s_lshl_b64 s[20:21], s[10:11], s19
	s_sub_i32 s19, 32, s19
	s_min_u32 s20, s20, 1
	s_delay_alu instid0(SALU_CYCLE_1) | instskip(SKIP_3) | instid1(SALU_CYCLE_1)
	s_or_b32 s20, s21, s20
	s_add_u32 s10, s10, 2
	v_cvt_f32_u32_e32 v47, s20
	s_addc_u32 s11, s11, 0
	v_cmp_ge_u64_e32 vcc_lo, s[10:11], v[41:42]
	s_delay_alu instid0(VALU_DEP_2) | instskip(SKIP_1) | instid1(VALU_DEP_1)
	v_ldexp_f32 v47, v47, s19
	s_or_b32 s18, vcc_lo, s18
	v_dual_mul_f32 v47, v46, v47 :: v_dual_mov_b32 v46, v33
	s_delay_alu instid0(VALU_DEP_1)
	v_fma_f32 v33, v45, v33, -v47
	s_and_not1_b32 exec_lo, exec_lo, s18
	s_cbranch_execnz .LBB60_152
; %bb.153:
	s_or_b32 exec_lo, exec_lo, s18
.LBB60_154:
	s_delay_alu instid0(SALU_CYCLE_1)
	s_or_b32 exec_lo, exec_lo, s17
                                        ; implicit-def: $vgpr45
.LBB60_155:
	s_and_not1_saveexec_b32 s10, s16
; %bb.156:
	v_add_f32_e32 v33, v45, v45
; %bb.157:
	s_or_b32 exec_lo, exec_lo, s10
.LBB60_158:
	s_delay_alu instid0(SALU_CYCLE_1)
	s_or_b32 exec_lo, exec_lo, s14
.LBB60_159:
	s_delay_alu instid0(SALU_CYCLE_1) | instskip(SKIP_2) | instid1(VALU_DEP_1)
	s_or_b32 exec_lo, exec_lo, s13
	v_trunc_f32_e32 v41, v34
	s_mov_b32 s13, exec_lo
	v_mul_f32_e64 v42, 0x2f800000, |v41|
	s_delay_alu instid0(VALU_DEP_1) | instskip(NEXT) | instid1(VALU_DEP_1)
	v_floor_f32_e32 v42, v42
	v_fma_f32 v45, 0xcf800000, v42, |v41|
	v_ashrrev_i32_e32 v41, 31, v41
	v_cvt_u32_f32_e32 v42, v42
	s_delay_alu instid0(VALU_DEP_3) | instskip(NEXT) | instid1(VALU_DEP_2)
	v_cvt_u32_f32_e32 v45, v45
	v_xor_b32_e32 v42, v42, v41
	s_delay_alu instid0(VALU_DEP_2) | instskip(NEXT) | instid1(VALU_DEP_1)
	v_xor_b32_e32 v45, v45, v41
	v_sub_co_u32 v45, vcc_lo, v45, v41
	s_delay_alu instid0(VALU_DEP_3) | instskip(SKIP_2) | instid1(VALU_DEP_3)
	v_sub_co_ci_u32_e32 v41, vcc_lo, v42, v41, vcc_lo
	v_cmp_class_f32_e64 vcc_lo, v34, 0x1f8
	v_mov_b32_e32 v34, 0
	v_cndmask_b32_e32 v42, -1, v41, vcc_lo
	v_cndmask_b32_e32 v41, -1, v45, vcc_lo
	s_delay_alu instid0(VALU_DEP_1)
	v_cmpx_lt_i64_e32 -1, v[41:42]
	s_cbranch_execz .LBB60_171
; %bb.160:
	v_mov_b32_e32 v34, 1.0
	s_mov_b32 s14, exec_lo
	v_cmpx_lt_i64_e32 0, v[41:42]
	s_cbranch_execz .LBB60_170
; %bb.161:
	v_lshrrev_b32_e32 v34, 16, v43
	s_mov_b32 s10, exec_lo
	s_delay_alu instid0(VALU_DEP_1)
	v_cvt_f32_f16_e32 v43, v34
	v_cmpx_ne_u64_e32 1, v[41:42]
	s_xor_b32 s16, exec_lo, s10
	s_cbranch_execz .LBB60_167
; %bb.162:
	v_mov_b32_e32 v34, 0x7fc00000
	s_mov_b32 s17, exec_lo
	v_cmpx_gt_u64_e32 0x81, v[41:42]
	s_cbranch_execz .LBB60_166
; %bb.163:
	v_add_f32_e32 v43, v43, v43
	v_lshlrev_b64 v[41:42], 1, v[41:42]
	v_mov_b32_e32 v45, 1.0
	s_mov_b64 s[10:11], 2
	s_mov_b32 s18, 0
	v_mov_b32_e32 v34, v43
	.p2align	6
.LBB60_164:                             ; =>This Inner Loop Header: Depth=1
	s_clz_i32_u32 s19, s11
	s_delay_alu instid0(SALU_CYCLE_1) | instskip(NEXT) | instid1(SALU_CYCLE_1)
	s_min_u32 s19, s19, 32
	s_lshl_b64 s[20:21], s[10:11], s19
	s_sub_i32 s19, 32, s19
	s_min_u32 s20, s20, 1
	s_delay_alu instid0(SALU_CYCLE_1) | instskip(SKIP_3) | instid1(SALU_CYCLE_1)
	s_or_b32 s20, s21, s20
	s_add_u32 s10, s10, 2
	v_cvt_f32_u32_e32 v46, s20
	s_addc_u32 s11, s11, 0
	v_cmp_ge_u64_e32 vcc_lo, s[10:11], v[41:42]
	s_delay_alu instid0(VALU_DEP_2) | instskip(SKIP_1) | instid1(VALU_DEP_1)
	v_ldexp_f32 v46, v46, s19
	s_or_b32 s18, vcc_lo, s18
	v_dual_mul_f32 v46, v45, v46 :: v_dual_mov_b32 v45, v34
	s_delay_alu instid0(VALU_DEP_1)
	v_fma_f32 v34, v43, v34, -v46
	s_and_not1_b32 exec_lo, exec_lo, s18
	s_cbranch_execnz .LBB60_164
; %bb.165:
	s_or_b32 exec_lo, exec_lo, s18
.LBB60_166:
	s_delay_alu instid0(SALU_CYCLE_1)
	s_or_b32 exec_lo, exec_lo, s17
                                        ; implicit-def: $vgpr43
.LBB60_167:
	s_and_not1_saveexec_b32 s10, s16
; %bb.168:
	v_add_f32_e32 v34, v43, v43
; %bb.169:
	s_or_b32 exec_lo, exec_lo, s10
.LBB60_170:
	s_delay_alu instid0(SALU_CYCLE_1)
	s_or_b32 exec_lo, exec_lo, s14
.LBB60_171:
	s_delay_alu instid0(SALU_CYCLE_1) | instskip(SKIP_2) | instid1(VALU_DEP_1)
	s_or_b32 exec_lo, exec_lo, s13
	v_trunc_f32_e32 v41, v35
	s_mov_b32 s13, exec_lo
	v_mul_f32_e64 v42, 0x2f800000, |v41|
	s_delay_alu instid0(VALU_DEP_1) | instskip(NEXT) | instid1(VALU_DEP_1)
	v_floor_f32_e32 v42, v42
	v_fma_f32 v43, 0xcf800000, v42, |v41|
	v_ashrrev_i32_e32 v41, 31, v41
	v_cvt_u32_f32_e32 v42, v42
	s_delay_alu instid0(VALU_DEP_3) | instskip(NEXT) | instid1(VALU_DEP_2)
	v_cvt_u32_f32_e32 v43, v43
	v_xor_b32_e32 v42, v42, v41
	s_delay_alu instid0(VALU_DEP_2) | instskip(NEXT) | instid1(VALU_DEP_1)
	v_xor_b32_e32 v43, v43, v41
	v_sub_co_u32 v43, vcc_lo, v43, v41
	s_delay_alu instid0(VALU_DEP_3) | instskip(SKIP_1) | instid1(VALU_DEP_2)
	v_sub_co_ci_u32_e32 v41, vcc_lo, v42, v41, vcc_lo
	v_cmp_class_f32_e64 vcc_lo, v35, 0x1f8
	v_dual_mov_b32 v35, 0 :: v_dual_cndmask_b32 v42, -1, v41
	s_delay_alu instid0(VALU_DEP_4) | instskip(NEXT) | instid1(VALU_DEP_1)
	v_cndmask_b32_e32 v41, -1, v43, vcc_lo
	v_cmpx_lt_i64_e32 -1, v[41:42]
	s_cbranch_execz .LBB60_183
; %bb.172:
	v_mov_b32_e32 v35, 1.0
	s_mov_b32 s14, exec_lo
	v_cmpx_lt_i64_e32 0, v[41:42]
	s_cbranch_execz .LBB60_182
; %bb.173:
	v_cvt_f32_f16_e32 v43, v44
	s_mov_b32 s10, exec_lo
	v_cmpx_ne_u64_e32 1, v[41:42]
	s_xor_b32 s16, exec_lo, s10
	s_cbranch_execz .LBB60_179
; %bb.174:
	v_mov_b32_e32 v35, 0x7fc00000
	s_mov_b32 s17, exec_lo
	v_cmpx_gt_u64_e32 0x81, v[41:42]
	s_cbranch_execz .LBB60_178
; %bb.175:
	v_add_f32_e32 v43, v43, v43
	v_lshlrev_b64 v[41:42], 1, v[41:42]
	v_mov_b32_e32 v45, 1.0
	s_mov_b64 s[10:11], 2
	s_mov_b32 s18, 0
	v_mov_b32_e32 v35, v43
	.p2align	6
.LBB60_176:                             ; =>This Inner Loop Header: Depth=1
	s_clz_i32_u32 s19, s11
	s_delay_alu instid0(SALU_CYCLE_1) | instskip(NEXT) | instid1(SALU_CYCLE_1)
	s_min_u32 s19, s19, 32
	s_lshl_b64 s[20:21], s[10:11], s19
	s_sub_i32 s19, 32, s19
	s_min_u32 s20, s20, 1
	s_delay_alu instid0(SALU_CYCLE_1) | instskip(SKIP_3) | instid1(SALU_CYCLE_1)
	s_or_b32 s20, s21, s20
	s_add_u32 s10, s10, 2
	v_cvt_f32_u32_e32 v46, s20
	s_addc_u32 s11, s11, 0
	v_cmp_ge_u64_e32 vcc_lo, s[10:11], v[41:42]
	s_delay_alu instid0(VALU_DEP_2) | instskip(SKIP_1) | instid1(VALU_DEP_1)
	v_ldexp_f32 v46, v46, s19
	s_or_b32 s18, vcc_lo, s18
	v_dual_mul_f32 v46, v45, v46 :: v_dual_mov_b32 v45, v35
	s_delay_alu instid0(VALU_DEP_1)
	v_fma_f32 v35, v43, v35, -v46
	s_and_not1_b32 exec_lo, exec_lo, s18
	s_cbranch_execnz .LBB60_176
; %bb.177:
	s_or_b32 exec_lo, exec_lo, s18
.LBB60_178:
	s_delay_alu instid0(SALU_CYCLE_1)
	s_or_b32 exec_lo, exec_lo, s17
                                        ; implicit-def: $vgpr43
.LBB60_179:
	s_and_not1_saveexec_b32 s10, s16
; %bb.180:
	v_add_f32_e32 v35, v43, v43
; %bb.181:
	s_or_b32 exec_lo, exec_lo, s10
.LBB60_182:
	s_delay_alu instid0(SALU_CYCLE_1)
	s_or_b32 exec_lo, exec_lo, s14
.LBB60_183:
	s_delay_alu instid0(SALU_CYCLE_1) | instskip(SKIP_2) | instid1(VALU_DEP_1)
	s_or_b32 exec_lo, exec_lo, s13
	v_trunc_f32_e32 v41, v36
	s_mov_b32 s13, exec_lo
	v_mul_f32_e64 v42, 0x2f800000, |v41|
	s_delay_alu instid0(VALU_DEP_1) | instskip(NEXT) | instid1(VALU_DEP_1)
	v_floor_f32_e32 v42, v42
	v_fma_f32 v43, 0xcf800000, v42, |v41|
	v_ashrrev_i32_e32 v41, 31, v41
	v_cvt_u32_f32_e32 v42, v42
	s_delay_alu instid0(VALU_DEP_3) | instskip(NEXT) | instid1(VALU_DEP_2)
	v_cvt_u32_f32_e32 v43, v43
	v_xor_b32_e32 v42, v42, v41
	s_delay_alu instid0(VALU_DEP_2) | instskip(NEXT) | instid1(VALU_DEP_1)
	v_xor_b32_e32 v43, v43, v41
	v_sub_co_u32 v43, vcc_lo, v43, v41
	s_delay_alu instid0(VALU_DEP_3) | instskip(SKIP_2) | instid1(VALU_DEP_3)
	v_sub_co_ci_u32_e32 v41, vcc_lo, v42, v41, vcc_lo
	v_cmp_class_f32_e64 vcc_lo, v36, 0x1f8
	v_mov_b32_e32 v36, 0
	v_dual_cndmask_b32 v42, -1, v41 :: v_dual_cndmask_b32 v41, -1, v43
	s_delay_alu instid0(VALU_DEP_1)
	v_cmpx_lt_i64_e32 -1, v[41:42]
	s_cbranch_execz .LBB60_195
; %bb.184:
	v_mov_b32_e32 v36, 1.0
	s_mov_b32 s14, exec_lo
	v_cmpx_lt_i64_e32 0, v[41:42]
	s_cbranch_execz .LBB60_194
; %bb.185:
	v_lshrrev_b32_e32 v36, 16, v44
	s_mov_b32 s10, exec_lo
	s_delay_alu instid0(VALU_DEP_1)
	v_cvt_f32_f16_e32 v43, v36
	v_cmpx_ne_u64_e32 1, v[41:42]
	s_xor_b32 s16, exec_lo, s10
	s_cbranch_execz .LBB60_191
; %bb.186:
	v_mov_b32_e32 v36, 0x7fc00000
	s_mov_b32 s17, exec_lo
	v_cmpx_gt_u64_e32 0x81, v[41:42]
	s_cbranch_execz .LBB60_190
; %bb.187:
	v_dual_add_f32 v43, v43, v43 :: v_dual_mov_b32 v44, 1.0
	v_lshlrev_b64 v[41:42], 1, v[41:42]
	s_mov_b64 s[10:11], 2
	s_mov_b32 s18, 0
	s_delay_alu instid0(VALU_DEP_2)
	v_mov_b32_e32 v36, v43
	.p2align	6
.LBB60_188:                             ; =>This Inner Loop Header: Depth=1
	s_clz_i32_u32 s19, s11
	s_delay_alu instid0(SALU_CYCLE_1) | instskip(NEXT) | instid1(SALU_CYCLE_1)
	s_min_u32 s19, s19, 32
	s_lshl_b64 s[20:21], s[10:11], s19
	s_sub_i32 s19, 32, s19
	s_min_u32 s20, s20, 1
	s_delay_alu instid0(SALU_CYCLE_1) | instskip(SKIP_3) | instid1(SALU_CYCLE_1)
	s_or_b32 s20, s21, s20
	s_add_u32 s10, s10, 2
	v_cvt_f32_u32_e32 v45, s20
	s_addc_u32 s11, s11, 0
	v_cmp_ge_u64_e32 vcc_lo, s[10:11], v[41:42]
	s_delay_alu instid0(VALU_DEP_2) | instskip(SKIP_1) | instid1(VALU_DEP_1)
	v_ldexp_f32 v45, v45, s19
	s_or_b32 s18, vcc_lo, s18
	v_mul_f32_e32 v45, v44, v45
	v_mov_b32_e32 v44, v36
	s_delay_alu instid0(VALU_DEP_2)
	v_fma_f32 v36, v43, v36, -v45
	s_and_not1_b32 exec_lo, exec_lo, s18
	s_cbranch_execnz .LBB60_188
; %bb.189:
	s_or_b32 exec_lo, exec_lo, s18
.LBB60_190:
	s_delay_alu instid0(SALU_CYCLE_1)
	s_or_b32 exec_lo, exec_lo, s17
                                        ; implicit-def: $vgpr43
.LBB60_191:
	s_and_not1_saveexec_b32 s10, s16
; %bb.192:
	v_add_f32_e32 v36, v43, v43
; %bb.193:
	s_or_b32 exec_lo, exec_lo, s10
.LBB60_194:
	s_delay_alu instid0(SALU_CYCLE_1)
	s_or_b32 exec_lo, exec_lo, s14
.LBB60_195:
	s_delay_alu instid0(SALU_CYCLE_1) | instskip(SKIP_2) | instid1(VALU_DEP_1)
	s_or_b32 exec_lo, exec_lo, s13
	v_trunc_f32_e32 v41, v37
	s_mov_b32 s13, exec_lo
	v_mul_f32_e64 v42, 0x2f800000, |v41|
	s_delay_alu instid0(VALU_DEP_1) | instskip(NEXT) | instid1(VALU_DEP_1)
	v_floor_f32_e32 v42, v42
	v_fma_f32 v43, 0xcf800000, v42, |v41|
	v_ashrrev_i32_e32 v41, 31, v41
	v_cvt_u32_f32_e32 v42, v42
	s_delay_alu instid0(VALU_DEP_3) | instskip(NEXT) | instid1(VALU_DEP_2)
	v_cvt_u32_f32_e32 v43, v43
	v_xor_b32_e32 v42, v42, v41
	s_delay_alu instid0(VALU_DEP_2) | instskip(NEXT) | instid1(VALU_DEP_1)
	v_xor_b32_e32 v43, v43, v41
	v_sub_co_u32 v43, vcc_lo, v43, v41
	s_delay_alu instid0(VALU_DEP_3) | instskip(SKIP_1) | instid1(VALU_DEP_2)
	v_sub_co_ci_u32_e32 v41, vcc_lo, v42, v41, vcc_lo
	v_cmp_class_f32_e64 vcc_lo, v37, 0x1f8
	v_dual_mov_b32 v37, 0 :: v_dual_cndmask_b32 v42, -1, v41
	s_delay_alu instid0(VALU_DEP_4) | instskip(NEXT) | instid1(VALU_DEP_1)
	v_cndmask_b32_e32 v41, -1, v43, vcc_lo
	v_cmpx_lt_i64_e32 -1, v[41:42]
	s_cbranch_execz .LBB60_207
; %bb.196:
	v_mov_b32_e32 v37, 1.0
	s_mov_b32 s14, exec_lo
	v_cmpx_lt_i64_e32 0, v[41:42]
	s_cbranch_execz .LBB60_206
; %bb.197:
	v_cvt_f32_f16_e32 v43, v25
                                        ; implicit-def: $vgpr37
	s_mov_b32 s10, exec_lo
	v_cmpx_ne_u64_e32 1, v[41:42]
	s_xor_b32 s16, exec_lo, s10
	s_cbranch_execz .LBB60_203
; %bb.198:
	v_mov_b32_e32 v37, 0x7fc00000
	s_mov_b32 s17, exec_lo
	v_cmpx_gt_u64_e32 0x81, v[41:42]
	s_cbranch_execz .LBB60_202
; %bb.199:
	v_dual_add_f32 v43, v43, v43 :: v_dual_mov_b32 v44, 1.0
	v_lshlrev_b64 v[41:42], 1, v[41:42]
	s_mov_b64 s[10:11], 2
	s_mov_b32 s18, 0
	s_delay_alu instid0(VALU_DEP_2)
	v_mov_b32_e32 v37, v43
	.p2align	6
.LBB60_200:                             ; =>This Inner Loop Header: Depth=1
	s_clz_i32_u32 s19, s11
	s_delay_alu instid0(SALU_CYCLE_1) | instskip(NEXT) | instid1(SALU_CYCLE_1)
	s_min_u32 s19, s19, 32
	s_lshl_b64 s[20:21], s[10:11], s19
	s_sub_i32 s19, 32, s19
	s_min_u32 s20, s20, 1
	s_delay_alu instid0(SALU_CYCLE_1) | instskip(SKIP_3) | instid1(SALU_CYCLE_1)
	s_or_b32 s20, s21, s20
	s_add_u32 s10, s10, 2
	v_cvt_f32_u32_e32 v45, s20
	s_addc_u32 s11, s11, 0
	v_cmp_ge_u64_e32 vcc_lo, s[10:11], v[41:42]
	s_delay_alu instid0(VALU_DEP_2) | instskip(SKIP_1) | instid1(VALU_DEP_1)
	v_ldexp_f32 v45, v45, s19
	s_or_b32 s18, vcc_lo, s18
	v_dual_mul_f32 v45, v44, v45 :: v_dual_mov_b32 v44, v37
	s_delay_alu instid0(VALU_DEP_1)
	v_fma_f32 v37, v43, v37, -v45
	s_and_not1_b32 exec_lo, exec_lo, s18
	s_cbranch_execnz .LBB60_200
; %bb.201:
	s_or_b32 exec_lo, exec_lo, s18
.LBB60_202:
	s_delay_alu instid0(SALU_CYCLE_1)
	s_or_b32 exec_lo, exec_lo, s17
                                        ; implicit-def: $vgpr43
.LBB60_203:
	s_and_not1_saveexec_b32 s10, s16
; %bb.204:
	v_add_f32_e32 v37, v43, v43
; %bb.205:
	s_or_b32 exec_lo, exec_lo, s10
.LBB60_206:
	s_delay_alu instid0(SALU_CYCLE_1)
	s_or_b32 exec_lo, exec_lo, s14
.LBB60_207:
	s_delay_alu instid0(SALU_CYCLE_1) | instskip(SKIP_2) | instid1(VALU_DEP_1)
	s_or_b32 exec_lo, exec_lo, s13
	v_trunc_f32_e32 v41, v38
	s_mov_b32 s13, exec_lo
	v_mul_f32_e64 v42, 0x2f800000, |v41|
	s_delay_alu instid0(VALU_DEP_1) | instskip(NEXT) | instid1(VALU_DEP_1)
	v_floor_f32_e32 v42, v42
	v_fma_f32 v43, 0xcf800000, v42, |v41|
	v_ashrrev_i32_e32 v41, 31, v41
	v_cvt_u32_f32_e32 v42, v42
	s_delay_alu instid0(VALU_DEP_3) | instskip(NEXT) | instid1(VALU_DEP_2)
	v_cvt_u32_f32_e32 v43, v43
	v_xor_b32_e32 v42, v42, v41
	s_delay_alu instid0(VALU_DEP_2) | instskip(NEXT) | instid1(VALU_DEP_1)
	v_xor_b32_e32 v43, v43, v41
	v_sub_co_u32 v43, vcc_lo, v43, v41
	s_delay_alu instid0(VALU_DEP_3) | instskip(SKIP_2) | instid1(VALU_DEP_3)
	v_sub_co_ci_u32_e32 v41, vcc_lo, v42, v41, vcc_lo
	v_cmp_class_f32_e64 vcc_lo, v38, 0x1f8
	v_mov_b32_e32 v38, 0
	v_dual_cndmask_b32 v42, -1, v41 :: v_dual_cndmask_b32 v41, -1, v43
	s_delay_alu instid0(VALU_DEP_1)
	v_cmpx_lt_i64_e32 -1, v[41:42]
	s_cbranch_execz .LBB60_219
; %bb.208:
	v_mov_b32_e32 v38, 1.0
	s_mov_b32 s14, exec_lo
	v_cmpx_lt_i64_e32 0, v[41:42]
	s_cbranch_execz .LBB60_218
; %bb.209:
	v_lshrrev_b32_e32 v25, 16, v25
	s_mov_b32 s10, exec_lo
	s_delay_alu instid0(VALU_DEP_1)
	v_cvt_f32_f16_e32 v25, v25
	v_cmpx_ne_u64_e32 1, v[41:42]
	s_xor_b32 s16, exec_lo, s10
	s_cbranch_execz .LBB60_215
; %bb.210:
	v_mov_b32_e32 v38, 0x7fc00000
	s_mov_b32 s17, exec_lo
	v_cmpx_gt_u64_e32 0x81, v[41:42]
	s_cbranch_execz .LBB60_214
; %bb.211:
	v_add_f32_e32 v25, v25, v25
	v_lshlrev_b64 v[41:42], 1, v[41:42]
	v_mov_b32_e32 v43, 1.0
	s_mov_b64 s[10:11], 2
	s_mov_b32 s18, 0
	v_mov_b32_e32 v38, v25
	.p2align	6
.LBB60_212:                             ; =>This Inner Loop Header: Depth=1
	s_clz_i32_u32 s19, s11
	s_delay_alu instid0(SALU_CYCLE_1) | instskip(NEXT) | instid1(SALU_CYCLE_1)
	s_min_u32 s19, s19, 32
	s_lshl_b64 s[20:21], s[10:11], s19
	s_sub_i32 s19, 32, s19
	s_min_u32 s20, s20, 1
	s_delay_alu instid0(SALU_CYCLE_1) | instskip(SKIP_3) | instid1(SALU_CYCLE_1)
	s_or_b32 s20, s21, s20
	s_add_u32 s10, s10, 2
	v_cvt_f32_u32_e32 v44, s20
	s_addc_u32 s11, s11, 0
	v_cmp_ge_u64_e32 vcc_lo, s[10:11], v[41:42]
	s_delay_alu instid0(VALU_DEP_2) | instskip(SKIP_1) | instid1(VALU_DEP_1)
	v_ldexp_f32 v44, v44, s19
	s_or_b32 s18, vcc_lo, s18
	v_dual_mul_f32 v44, v43, v44 :: v_dual_mov_b32 v43, v38
	s_delay_alu instid0(VALU_DEP_1)
	v_fma_f32 v38, v25, v38, -v44
	s_and_not1_b32 exec_lo, exec_lo, s18
	s_cbranch_execnz .LBB60_212
; %bb.213:
	s_or_b32 exec_lo, exec_lo, s18
.LBB60_214:
	s_delay_alu instid0(SALU_CYCLE_1)
	s_or_b32 exec_lo, exec_lo, s17
                                        ; implicit-def: $vgpr25
.LBB60_215:
	s_and_not1_saveexec_b32 s10, s16
; %bb.216:
	v_add_f32_e32 v38, v25, v25
; %bb.217:
	s_or_b32 exec_lo, exec_lo, s10
.LBB60_218:
	s_delay_alu instid0(SALU_CYCLE_1)
	s_or_b32 exec_lo, exec_lo, s14
.LBB60_219:
	s_delay_alu instid0(SALU_CYCLE_1) | instskip(SKIP_2) | instid1(VALU_DEP_1)
	s_or_b32 exec_lo, exec_lo, s13
	v_trunc_f32_e32 v25, v39
	s_mov_b32 s13, exec_lo
	v_mul_f32_e64 v41, 0x2f800000, |v25|
	s_delay_alu instid0(VALU_DEP_1) | instskip(NEXT) | instid1(VALU_DEP_1)
	v_floor_f32_e32 v41, v41
	v_fma_f32 v42, 0xcf800000, v41, |v25|
	v_ashrrev_i32_e32 v25, 31, v25
	v_cvt_u32_f32_e32 v41, v41
	s_delay_alu instid0(VALU_DEP_3) | instskip(NEXT) | instid1(VALU_DEP_2)
	v_cvt_u32_f32_e32 v42, v42
	v_xor_b32_e32 v41, v41, v25
	s_delay_alu instid0(VALU_DEP_2) | instskip(NEXT) | instid1(VALU_DEP_1)
	v_xor_b32_e32 v42, v42, v25
	v_sub_co_u32 v43, vcc_lo, v42, v25
	s_delay_alu instid0(VALU_DEP_3) | instskip(SKIP_1) | instid1(VALU_DEP_2)
	v_sub_co_ci_u32_e32 v25, vcc_lo, v41, v25, vcc_lo
	v_cmp_class_f32_e64 vcc_lo, v39, 0x1f8
	v_dual_mov_b32 v39, 0 :: v_dual_cndmask_b32 v42, -1, v25
	s_delay_alu instid0(VALU_DEP_4) | instskip(NEXT) | instid1(VALU_DEP_1)
	v_cndmask_b32_e32 v41, -1, v43, vcc_lo
	v_cmpx_lt_i64_e32 -1, v[41:42]
	s_cbranch_execz .LBB60_231
; %bb.220:
	v_mov_b32_e32 v39, 1.0
	s_mov_b32 s14, exec_lo
	v_cmpx_lt_i64_e32 0, v[41:42]
	s_cbranch_execz .LBB60_230
; %bb.221:
	v_cvt_f32_f16_e32 v25, v26
	s_mov_b32 s10, exec_lo
	v_cmpx_ne_u64_e32 1, v[41:42]
	s_xor_b32 s16, exec_lo, s10
	s_cbranch_execz .LBB60_227
; %bb.222:
	v_mov_b32_e32 v39, 0x7fc00000
	s_mov_b32 s17, exec_lo
	v_cmpx_gt_u64_e32 0x81, v[41:42]
	s_cbranch_execz .LBB60_226
; %bb.223:
	v_add_f32_e32 v25, v25, v25
	v_lshlrev_b64 v[41:42], 1, v[41:42]
	v_mov_b32_e32 v43, 1.0
	s_mov_b64 s[10:11], 2
	s_mov_b32 s18, 0
	v_mov_b32_e32 v39, v25
	.p2align	6
.LBB60_224:                             ; =>This Inner Loop Header: Depth=1
	s_clz_i32_u32 s19, s11
	s_delay_alu instid0(SALU_CYCLE_1) | instskip(NEXT) | instid1(SALU_CYCLE_1)
	s_min_u32 s19, s19, 32
	s_lshl_b64 s[20:21], s[10:11], s19
	s_sub_i32 s19, 32, s19
	s_min_u32 s20, s20, 1
	s_delay_alu instid0(SALU_CYCLE_1) | instskip(SKIP_3) | instid1(SALU_CYCLE_1)
	s_or_b32 s20, s21, s20
	s_add_u32 s10, s10, 2
	v_cvt_f32_u32_e32 v44, s20
	s_addc_u32 s11, s11, 0
	v_cmp_ge_u64_e32 vcc_lo, s[10:11], v[41:42]
	s_delay_alu instid0(VALU_DEP_2) | instskip(SKIP_1) | instid1(VALU_DEP_1)
	v_ldexp_f32 v44, v44, s19
	s_or_b32 s18, vcc_lo, s18
	v_mul_f32_e32 v44, v43, v44
	v_mov_b32_e32 v43, v39
	s_delay_alu instid0(VALU_DEP_2)
	v_fma_f32 v39, v25, v39, -v44
	s_and_not1_b32 exec_lo, exec_lo, s18
	s_cbranch_execnz .LBB60_224
; %bb.225:
	s_or_b32 exec_lo, exec_lo, s18
.LBB60_226:
	s_delay_alu instid0(SALU_CYCLE_1)
	s_or_b32 exec_lo, exec_lo, s17
                                        ; implicit-def: $vgpr25
.LBB60_227:
	s_and_not1_saveexec_b32 s10, s16
; %bb.228:
	v_add_f32_e32 v39, v25, v25
; %bb.229:
	s_or_b32 exec_lo, exec_lo, s10
.LBB60_230:
	s_delay_alu instid0(SALU_CYCLE_1)
	s_or_b32 exec_lo, exec_lo, s14
.LBB60_231:
	s_delay_alu instid0(SALU_CYCLE_1) | instskip(SKIP_2) | instid1(VALU_DEP_1)
	s_or_b32 exec_lo, exec_lo, s13
	v_trunc_f32_e32 v25, v40
	s_mov_b32 s13, exec_lo
	v_mul_f32_e64 v41, 0x2f800000, |v25|
	s_delay_alu instid0(VALU_DEP_1) | instskip(NEXT) | instid1(VALU_DEP_1)
	v_floor_f32_e32 v41, v41
	v_fma_f32 v42, 0xcf800000, v41, |v25|
	v_ashrrev_i32_e32 v25, 31, v25
	v_cvt_u32_f32_e32 v41, v41
	s_delay_alu instid0(VALU_DEP_3) | instskip(NEXT) | instid1(VALU_DEP_2)
	v_cvt_u32_f32_e32 v42, v42
	v_xor_b32_e32 v41, v41, v25
	s_delay_alu instid0(VALU_DEP_2) | instskip(NEXT) | instid1(VALU_DEP_1)
	v_xor_b32_e32 v42, v42, v25
	v_sub_co_u32 v43, vcc_lo, v42, v25
	s_delay_alu instid0(VALU_DEP_3) | instskip(SKIP_2) | instid1(VALU_DEP_3)
	v_sub_co_ci_u32_e32 v25, vcc_lo, v41, v25, vcc_lo
	v_cmp_class_f32_e64 vcc_lo, v40, 0x1f8
	v_mov_b32_e32 v40, 0
	v_dual_cndmask_b32 v42, -1, v25 :: v_dual_cndmask_b32 v41, -1, v43
	s_delay_alu instid0(VALU_DEP_1)
	v_cmpx_lt_i64_e32 -1, v[41:42]
	s_cbranch_execz .LBB60_243
; %bb.232:
	v_mov_b32_e32 v40, 1.0
	s_mov_b32 s14, exec_lo
	v_cmpx_lt_i64_e32 0, v[41:42]
	s_cbranch_execz .LBB60_242
; %bb.233:
	v_lshrrev_b32_e32 v25, 16, v26
	s_mov_b32 s10, exec_lo
	s_delay_alu instid0(VALU_DEP_1)
	v_cvt_f32_f16_e32 v25, v25
	v_cmpx_ne_u64_e32 1, v[41:42]
	s_xor_b32 s16, exec_lo, s10
	s_cbranch_execz .LBB60_239
; %bb.234:
	v_mov_b32_e32 v40, 0x7fc00000
	s_mov_b32 s17, exec_lo
	v_cmpx_gt_u64_e32 0x81, v[41:42]
	s_cbranch_execz .LBB60_238
; %bb.235:
	v_add_f32_e32 v43, v25, v25
	v_lshlrev_b64 v[25:26], 1, v[41:42]
	v_mov_b32_e32 v41, 1.0
	s_mov_b64 s[10:11], 2
	s_mov_b32 s18, 0
	v_mov_b32_e32 v40, v43
	.p2align	6
.LBB60_236:                             ; =>This Inner Loop Header: Depth=1
	s_clz_i32_u32 s19, s11
	s_delay_alu instid0(SALU_CYCLE_1) | instskip(NEXT) | instid1(SALU_CYCLE_1)
	s_min_u32 s19, s19, 32
	s_lshl_b64 s[20:21], s[10:11], s19
	s_sub_i32 s19, 32, s19
	s_min_u32 s20, s20, 1
	s_delay_alu instid0(SALU_CYCLE_1) | instskip(SKIP_3) | instid1(SALU_CYCLE_1)
	s_or_b32 s20, s21, s20
	s_add_u32 s10, s10, 2
	v_cvt_f32_u32_e32 v42, s20
	s_addc_u32 s11, s11, 0
	v_cmp_ge_u64_e32 vcc_lo, s[10:11], v[25:26]
	s_delay_alu instid0(VALU_DEP_2) | instskip(SKIP_1) | instid1(VALU_DEP_1)
	v_ldexp_f32 v42, v42, s19
	s_or_b32 s18, vcc_lo, s18
	v_dual_mul_f32 v42, v41, v42 :: v_dual_mov_b32 v41, v40
	s_delay_alu instid0(VALU_DEP_1)
	v_fma_f32 v40, v43, v40, -v42
	s_and_not1_b32 exec_lo, exec_lo, s18
	s_cbranch_execnz .LBB60_236
; %bb.237:
	s_or_b32 exec_lo, exec_lo, s18
.LBB60_238:
	s_delay_alu instid0(SALU_CYCLE_1)
	s_or_b32 exec_lo, exec_lo, s17
                                        ; implicit-def: $vgpr25
.LBB60_239:
	s_and_not1_saveexec_b32 s10, s16
; %bb.240:
	v_add_f32_e32 v40, v25, v25
; %bb.241:
	s_or_b32 exec_lo, exec_lo, s10
.LBB60_242:
	s_delay_alu instid0(SALU_CYCLE_1)
	s_or_b32 exec_lo, exec_lo, s14
.LBB60_243:
	s_delay_alu instid0(SALU_CYCLE_1) | instskip(SKIP_2) | instid1(VALU_DEP_1)
	s_or_b32 exec_lo, exec_lo, s13
	v_trunc_f32_e32 v25, v29
	s_mov_b32 s13, exec_lo
	v_mul_f32_e64 v26, 0x2f800000, |v25|
	s_delay_alu instid0(VALU_DEP_1) | instskip(NEXT) | instid1(VALU_DEP_1)
	v_floor_f32_e32 v26, v26
	v_fma_f32 v41, 0xcf800000, v26, |v25|
	v_ashrrev_i32_e32 v25, 31, v25
	v_cvt_u32_f32_e32 v26, v26
	s_delay_alu instid0(VALU_DEP_3) | instskip(NEXT) | instid1(VALU_DEP_2)
	v_cvt_u32_f32_e32 v41, v41
	v_xor_b32_e32 v26, v26, v25
	s_delay_alu instid0(VALU_DEP_2) | instskip(NEXT) | instid1(VALU_DEP_1)
	v_xor_b32_e32 v41, v41, v25
	v_sub_co_u32 v41, vcc_lo, v41, v25
	s_delay_alu instid0(VALU_DEP_3) | instskip(SKIP_1) | instid1(VALU_DEP_2)
	v_sub_co_ci_u32_e32 v25, vcc_lo, v26, v25, vcc_lo
	v_cmp_class_f32_e64 vcc_lo, v29, 0x1f8
	v_dual_mov_b32 v29, 0 :: v_dual_cndmask_b32 v26, -1, v25
	s_delay_alu instid0(VALU_DEP_4) | instskip(NEXT) | instid1(VALU_DEP_1)
	v_cndmask_b32_e32 v25, -1, v41, vcc_lo
	v_cmpx_lt_i64_e32 -1, v[25:26]
	s_cbranch_execz .LBB60_255
; %bb.244:
	v_mov_b32_e32 v29, 1.0
	s_mov_b32 s14, exec_lo
	v_cmpx_lt_i64_e32 0, v[25:26]
	s_cbranch_execz .LBB60_254
; %bb.245:
	v_cvt_f32_f16_e32 v41, v27
                                        ; implicit-def: $vgpr29
	s_mov_b32 s10, exec_lo
	v_cmpx_ne_u64_e32 1, v[25:26]
	s_xor_b32 s16, exec_lo, s10
	s_cbranch_execz .LBB60_251
; %bb.246:
	v_mov_b32_e32 v29, 0x7fc00000
	s_mov_b32 s17, exec_lo
	v_cmpx_gt_u64_e32 0x81, v[25:26]
	s_cbranch_execz .LBB60_250
; %bb.247:
	v_dual_add_f32 v41, v41, v41 :: v_dual_mov_b32 v42, 1.0
	v_lshlrev_b64 v[25:26], 1, v[25:26]
	s_mov_b64 s[10:11], 2
	s_mov_b32 s18, 0
	s_delay_alu instid0(VALU_DEP_2)
	v_mov_b32_e32 v29, v41
	.p2align	6
.LBB60_248:                             ; =>This Inner Loop Header: Depth=1
	s_clz_i32_u32 s19, s11
	s_delay_alu instid0(SALU_CYCLE_1) | instskip(NEXT) | instid1(SALU_CYCLE_1)
	s_min_u32 s19, s19, 32
	s_lshl_b64 s[20:21], s[10:11], s19
	s_sub_i32 s19, 32, s19
	s_min_u32 s20, s20, 1
	s_delay_alu instid0(SALU_CYCLE_1) | instskip(SKIP_3) | instid1(SALU_CYCLE_1)
	s_or_b32 s20, s21, s20
	s_add_u32 s10, s10, 2
	v_cvt_f32_u32_e32 v43, s20
	s_addc_u32 s11, s11, 0
	v_cmp_ge_u64_e32 vcc_lo, s[10:11], v[25:26]
	s_delay_alu instid0(VALU_DEP_2) | instskip(SKIP_1) | instid1(VALU_DEP_1)
	v_ldexp_f32 v43, v43, s19
	s_or_b32 s18, vcc_lo, s18
	v_dual_mul_f32 v43, v42, v43 :: v_dual_mov_b32 v42, v29
	s_delay_alu instid0(VALU_DEP_1)
	v_fma_f32 v29, v41, v29, -v43
	s_and_not1_b32 exec_lo, exec_lo, s18
	s_cbranch_execnz .LBB60_248
; %bb.249:
	s_or_b32 exec_lo, exec_lo, s18
.LBB60_250:
	s_delay_alu instid0(SALU_CYCLE_1)
	s_or_b32 exec_lo, exec_lo, s17
                                        ; implicit-def: $vgpr41
.LBB60_251:
	s_and_not1_saveexec_b32 s10, s16
; %bb.252:
	v_add_f32_e32 v29, v41, v41
; %bb.253:
	s_or_b32 exec_lo, exec_lo, s10
.LBB60_254:
	s_delay_alu instid0(SALU_CYCLE_1)
	s_or_b32 exec_lo, exec_lo, s14
.LBB60_255:
	s_delay_alu instid0(SALU_CYCLE_1) | instskip(SKIP_2) | instid1(VALU_DEP_1)
	s_or_b32 exec_lo, exec_lo, s13
	v_trunc_f32_e32 v25, v30
	s_mov_b32 s13, exec_lo
	v_mul_f32_e64 v26, 0x2f800000, |v25|
	s_delay_alu instid0(VALU_DEP_1) | instskip(NEXT) | instid1(VALU_DEP_1)
	v_floor_f32_e32 v26, v26
	v_fma_f32 v41, 0xcf800000, v26, |v25|
	v_ashrrev_i32_e32 v25, 31, v25
	v_cvt_u32_f32_e32 v26, v26
	s_delay_alu instid0(VALU_DEP_3) | instskip(NEXT) | instid1(VALU_DEP_2)
	v_cvt_u32_f32_e32 v41, v41
	v_xor_b32_e32 v26, v26, v25
	s_delay_alu instid0(VALU_DEP_2) | instskip(NEXT) | instid1(VALU_DEP_1)
	v_xor_b32_e32 v41, v41, v25
	v_sub_co_u32 v41, vcc_lo, v41, v25
	s_delay_alu instid0(VALU_DEP_3) | instskip(SKIP_2) | instid1(VALU_DEP_3)
	v_sub_co_ci_u32_e32 v25, vcc_lo, v26, v25, vcc_lo
	v_cmp_class_f32_e64 vcc_lo, v30, 0x1f8
	v_mov_b32_e32 v30, 0
	v_cndmask_b32_e32 v26, -1, v25, vcc_lo
	v_cndmask_b32_e32 v25, -1, v41, vcc_lo
	s_delay_alu instid0(VALU_DEP_1)
	v_cmpx_lt_i64_e32 -1, v[25:26]
	s_cbranch_execz .LBB60_267
; %bb.256:
	v_mov_b32_e32 v30, 1.0
	s_mov_b32 s14, exec_lo
	v_cmpx_lt_i64_e32 0, v[25:26]
	s_cbranch_execz .LBB60_266
; %bb.257:
	v_lshrrev_b32_e32 v27, 16, v27
	s_mov_b32 s10, exec_lo
	s_delay_alu instid0(VALU_DEP_1)
	v_cvt_f32_f16_e32 v27, v27
	v_cmpx_ne_u64_e32 1, v[25:26]
	s_xor_b32 s16, exec_lo, s10
	s_cbranch_execz .LBB60_263
; %bb.258:
	v_mov_b32_e32 v30, 0x7fc00000
	s_mov_b32 s17, exec_lo
	v_cmpx_gt_u64_e32 0x81, v[25:26]
	s_cbranch_execz .LBB60_262
; %bb.259:
	v_add_f32_e32 v27, v27, v27
	v_lshlrev_b64 v[25:26], 1, v[25:26]
	v_mov_b32_e32 v41, 1.0
	s_mov_b64 s[10:11], 2
	s_mov_b32 s18, 0
	v_mov_b32_e32 v30, v27
	.p2align	6
.LBB60_260:                             ; =>This Inner Loop Header: Depth=1
	s_clz_i32_u32 s19, s11
	s_delay_alu instid0(SALU_CYCLE_1) | instskip(NEXT) | instid1(SALU_CYCLE_1)
	s_min_u32 s19, s19, 32
	s_lshl_b64 s[20:21], s[10:11], s19
	s_sub_i32 s19, 32, s19
	s_min_u32 s20, s20, 1
	s_delay_alu instid0(SALU_CYCLE_1) | instskip(SKIP_3) | instid1(SALU_CYCLE_1)
	s_or_b32 s20, s21, s20
	s_add_u32 s10, s10, 2
	v_cvt_f32_u32_e32 v42, s20
	s_addc_u32 s11, s11, 0
	v_cmp_ge_u64_e32 vcc_lo, s[10:11], v[25:26]
	s_delay_alu instid0(VALU_DEP_2) | instskip(SKIP_1) | instid1(VALU_DEP_1)
	v_ldexp_f32 v42, v42, s19
	s_or_b32 s18, vcc_lo, s18
	v_dual_mul_f32 v42, v41, v42 :: v_dual_mov_b32 v41, v30
	s_delay_alu instid0(VALU_DEP_1)
	v_fma_f32 v30, v27, v30, -v42
	s_and_not1_b32 exec_lo, exec_lo, s18
	s_cbranch_execnz .LBB60_260
; %bb.261:
	s_or_b32 exec_lo, exec_lo, s18
.LBB60_262:
	s_delay_alu instid0(SALU_CYCLE_1)
	s_or_b32 exec_lo, exec_lo, s17
                                        ; implicit-def: $vgpr27
.LBB60_263:
	s_and_not1_saveexec_b32 s10, s16
; %bb.264:
	v_add_f32_e32 v30, v27, v27
; %bb.265:
	s_or_b32 exec_lo, exec_lo, s10
.LBB60_266:
	s_delay_alu instid0(SALU_CYCLE_1)
	s_or_b32 exec_lo, exec_lo, s14
.LBB60_267:
	s_delay_alu instid0(SALU_CYCLE_1) | instskip(SKIP_2) | instid1(VALU_DEP_1)
	s_or_b32 exec_lo, exec_lo, s13
	v_trunc_f32_e32 v25, v31
	s_mov_b32 s13, exec_lo
	v_mul_f32_e64 v26, 0x2f800000, |v25|
	s_delay_alu instid0(VALU_DEP_1) | instskip(NEXT) | instid1(VALU_DEP_1)
	v_floor_f32_e32 v26, v26
	v_fma_f32 v27, 0xcf800000, v26, |v25|
	v_ashrrev_i32_e32 v25, 31, v25
	v_cvt_u32_f32_e32 v26, v26
	s_delay_alu instid0(VALU_DEP_3) | instskip(NEXT) | instid1(VALU_DEP_2)
	v_cvt_u32_f32_e32 v27, v27
	v_xor_b32_e32 v26, v26, v25
	s_delay_alu instid0(VALU_DEP_2) | instskip(NEXT) | instid1(VALU_DEP_1)
	v_xor_b32_e32 v27, v27, v25
	v_sub_co_u32 v27, vcc_lo, v27, v25
	s_delay_alu instid0(VALU_DEP_3) | instskip(SKIP_1) | instid1(VALU_DEP_2)
	v_sub_co_ci_u32_e32 v25, vcc_lo, v26, v25, vcc_lo
	v_cmp_class_f32_e64 vcc_lo, v31, 0x1f8
	v_dual_mov_b32 v31, 0 :: v_dual_cndmask_b32 v26, -1, v25
	s_delay_alu instid0(VALU_DEP_4) | instskip(NEXT) | instid1(VALU_DEP_1)
	v_cndmask_b32_e32 v25, -1, v27, vcc_lo
	v_cmpx_lt_i64_e32 -1, v[25:26]
	s_cbranch_execz .LBB60_279
; %bb.268:
	v_mov_b32_e32 v31, 1.0
	s_mov_b32 s14, exec_lo
	v_cmpx_lt_i64_e32 0, v[25:26]
	s_cbranch_execz .LBB60_278
; %bb.269:
	v_cvt_f32_f16_e32 v27, v28
	s_mov_b32 s10, exec_lo
	v_cmpx_ne_u64_e32 1, v[25:26]
	s_xor_b32 s16, exec_lo, s10
	s_cbranch_execz .LBB60_275
; %bb.270:
	v_mov_b32_e32 v31, 0x7fc00000
	s_mov_b32 s17, exec_lo
	v_cmpx_gt_u64_e32 0x81, v[25:26]
	s_cbranch_execz .LBB60_274
; %bb.271:
	v_add_f32_e32 v27, v27, v27
	v_lshlrev_b64 v[25:26], 1, v[25:26]
	v_mov_b32_e32 v41, 1.0
	s_mov_b64 s[10:11], 2
	s_mov_b32 s18, 0
	v_mov_b32_e32 v31, v27
	.p2align	6
.LBB60_272:                             ; =>This Inner Loop Header: Depth=1
	s_clz_i32_u32 s19, s11
	s_delay_alu instid0(SALU_CYCLE_1) | instskip(NEXT) | instid1(SALU_CYCLE_1)
	s_min_u32 s19, s19, 32
	s_lshl_b64 s[20:21], s[10:11], s19
	s_sub_i32 s19, 32, s19
	s_min_u32 s20, s20, 1
	s_delay_alu instid0(SALU_CYCLE_1) | instskip(SKIP_3) | instid1(SALU_CYCLE_1)
	s_or_b32 s20, s21, s20
	s_add_u32 s10, s10, 2
	v_cvt_f32_u32_e32 v42, s20
	s_addc_u32 s11, s11, 0
	v_cmp_ge_u64_e32 vcc_lo, s[10:11], v[25:26]
	s_delay_alu instid0(VALU_DEP_2) | instskip(SKIP_1) | instid1(VALU_DEP_1)
	v_ldexp_f32 v42, v42, s19
	s_or_b32 s18, vcc_lo, s18
	v_dual_mul_f32 v42, v41, v42 :: v_dual_mov_b32 v41, v31
	s_delay_alu instid0(VALU_DEP_1)
	v_fma_f32 v31, v27, v31, -v42
	s_and_not1_b32 exec_lo, exec_lo, s18
	s_cbranch_execnz .LBB60_272
; %bb.273:
	s_or_b32 exec_lo, exec_lo, s18
.LBB60_274:
	s_delay_alu instid0(SALU_CYCLE_1)
	s_or_b32 exec_lo, exec_lo, s17
                                        ; implicit-def: $vgpr27
.LBB60_275:
	s_and_not1_saveexec_b32 s10, s16
; %bb.276:
	v_add_f32_e32 v31, v27, v27
; %bb.277:
	s_or_b32 exec_lo, exec_lo, s10
.LBB60_278:
	s_delay_alu instid0(SALU_CYCLE_1)
	s_or_b32 exec_lo, exec_lo, s14
.LBB60_279:
	s_delay_alu instid0(SALU_CYCLE_1) | instskip(SKIP_2) | instid1(VALU_DEP_1)
	s_or_b32 exec_lo, exec_lo, s13
	v_trunc_f32_e32 v25, v32
	s_mov_b32 s13, exec_lo
	v_mul_f32_e64 v26, 0x2f800000, |v25|
	s_delay_alu instid0(VALU_DEP_1) | instskip(NEXT) | instid1(VALU_DEP_1)
	v_floor_f32_e32 v26, v26
	v_fma_f32 v27, 0xcf800000, v26, |v25|
	v_ashrrev_i32_e32 v25, 31, v25
	v_cvt_u32_f32_e32 v26, v26
	s_delay_alu instid0(VALU_DEP_3) | instskip(NEXT) | instid1(VALU_DEP_2)
	v_cvt_u32_f32_e32 v27, v27
	v_xor_b32_e32 v26, v26, v25
	s_delay_alu instid0(VALU_DEP_2) | instskip(NEXT) | instid1(VALU_DEP_1)
	v_xor_b32_e32 v27, v27, v25
	v_sub_co_u32 v27, vcc_lo, v27, v25
	s_delay_alu instid0(VALU_DEP_3) | instskip(SKIP_2) | instid1(VALU_DEP_3)
	v_sub_co_ci_u32_e32 v25, vcc_lo, v26, v25, vcc_lo
	v_cmp_class_f32_e64 vcc_lo, v32, 0x1f8
	v_mov_b32_e32 v32, 0
	v_dual_cndmask_b32 v26, -1, v25 :: v_dual_cndmask_b32 v25, -1, v27
	s_delay_alu instid0(VALU_DEP_1)
	v_cmpx_lt_i64_e32 -1, v[25:26]
	s_cbranch_execz .LBB60_291
; %bb.280:
	v_mov_b32_e32 v32, 1.0
	s_mov_b32 s14, exec_lo
	v_cmpx_lt_i64_e32 0, v[25:26]
	s_cbranch_execz .LBB60_290
; %bb.281:
	v_lshrrev_b32_e32 v27, 16, v28
	s_mov_b32 s10, exec_lo
	s_delay_alu instid0(VALU_DEP_1)
	v_cvt_f32_f16_e32 v27, v27
	v_cmpx_ne_u64_e32 1, v[25:26]
	s_xor_b32 s16, exec_lo, s10
	s_cbranch_execz .LBB60_287
; %bb.282:
	v_mov_b32_e32 v32, 0x7fc00000
	s_mov_b32 s17, exec_lo
	v_cmpx_gt_u64_e32 0x81, v[25:26]
	s_cbranch_execz .LBB60_286
; %bb.283:
	v_dual_add_f32 v27, v27, v27 :: v_dual_mov_b32 v28, 1.0
	v_lshlrev_b64 v[25:26], 1, v[25:26]
	s_mov_b64 s[10:11], 2
	s_mov_b32 s18, 0
	s_delay_alu instid0(VALU_DEP_2)
	v_mov_b32_e32 v32, v27
	.p2align	6
.LBB60_284:                             ; =>This Inner Loop Header: Depth=1
	s_clz_i32_u32 s19, s11
	s_delay_alu instid0(SALU_CYCLE_1) | instskip(NEXT) | instid1(SALU_CYCLE_1)
	s_min_u32 s19, s19, 32
	s_lshl_b64 s[20:21], s[10:11], s19
	s_sub_i32 s19, 32, s19
	s_min_u32 s20, s20, 1
	s_delay_alu instid0(SALU_CYCLE_1) | instskip(SKIP_3) | instid1(SALU_CYCLE_1)
	s_or_b32 s20, s21, s20
	s_add_u32 s10, s10, 2
	v_cvt_f32_u32_e32 v41, s20
	s_addc_u32 s11, s11, 0
	v_cmp_ge_u64_e32 vcc_lo, s[10:11], v[25:26]
	s_delay_alu instid0(VALU_DEP_2) | instskip(SKIP_1) | instid1(VALU_DEP_1)
	v_ldexp_f32 v41, v41, s19
	s_or_b32 s18, vcc_lo, s18
	v_mul_f32_e32 v41, v28, v41
	v_mov_b32_e32 v28, v32
	s_delay_alu instid0(VALU_DEP_2)
	v_fma_f32 v32, v27, v32, -v41
	s_and_not1_b32 exec_lo, exec_lo, s18
	s_cbranch_execnz .LBB60_284
; %bb.285:
	s_or_b32 exec_lo, exec_lo, s18
.LBB60_286:
	s_delay_alu instid0(SALU_CYCLE_1)
	s_or_b32 exec_lo, exec_lo, s17
                                        ; implicit-def: $vgpr27
.LBB60_287:
	s_and_not1_saveexec_b32 s10, s16
; %bb.288:
	v_add_f32_e32 v32, v27, v27
; %bb.289:
	s_or_b32 exec_lo, exec_lo, s10
.LBB60_290:
	s_delay_alu instid0(SALU_CYCLE_1)
	s_or_b32 exec_lo, exec_lo, s14
.LBB60_291:
	s_delay_alu instid0(SALU_CYCLE_1) | instskip(SKIP_3) | instid1(VALU_DEP_1)
	s_or_b32 exec_lo, exec_lo, s13
	s_waitcnt vmcnt(1)
	v_trunc_f32_e32 v25, v17
	s_mov_b32 s13, exec_lo
	v_mul_f32_e64 v26, 0x2f800000, |v25|
	s_delay_alu instid0(VALU_DEP_1) | instskip(NEXT) | instid1(VALU_DEP_1)
	v_floor_f32_e32 v26, v26
	v_fma_f32 v27, 0xcf800000, v26, |v25|
	v_ashrrev_i32_e32 v25, 31, v25
	v_cvt_u32_f32_e32 v26, v26
	s_delay_alu instid0(VALU_DEP_3) | instskip(NEXT) | instid1(VALU_DEP_2)
	v_cvt_u32_f32_e32 v27, v27
	v_xor_b32_e32 v26, v26, v25
	s_delay_alu instid0(VALU_DEP_2) | instskip(NEXT) | instid1(VALU_DEP_1)
	v_xor_b32_e32 v27, v27, v25
	v_sub_co_u32 v27, vcc_lo, v27, v25
	s_delay_alu instid0(VALU_DEP_3) | instskip(SKIP_1) | instid1(VALU_DEP_2)
	v_sub_co_ci_u32_e32 v25, vcc_lo, v26, v25, vcc_lo
	v_cmp_class_f32_e64 vcc_lo, v17, 0x1f8
	v_dual_mov_b32 v17, 0 :: v_dual_cndmask_b32 v26, -1, v25
	s_delay_alu instid0(VALU_DEP_4) | instskip(NEXT) | instid1(VALU_DEP_1)
	v_cndmask_b32_e32 v25, -1, v27, vcc_lo
	v_cmpx_lt_i64_e32 -1, v[25:26]
	s_cbranch_execz .LBB60_303
; %bb.292:
	v_mov_b32_e32 v17, 1.0
	s_mov_b32 s14, exec_lo
	v_cmpx_lt_i64_e32 0, v[25:26]
	s_cbranch_execz .LBB60_302
; %bb.293:
	v_cvt_f32_f16_e32 v27, v5
                                        ; implicit-def: $vgpr17
	s_mov_b32 s10, exec_lo
	v_cmpx_ne_u64_e32 1, v[25:26]
	s_xor_b32 s16, exec_lo, s10
	s_cbranch_execz .LBB60_299
; %bb.294:
	v_mov_b32_e32 v17, 0x7fc00000
	s_mov_b32 s17, exec_lo
	v_cmpx_gt_u64_e32 0x81, v[25:26]
	s_cbranch_execz .LBB60_298
; %bb.295:
	v_dual_add_f32 v27, v27, v27 :: v_dual_mov_b32 v28, 1.0
	v_lshlrev_b64 v[25:26], 1, v[25:26]
	s_mov_b64 s[10:11], 2
	s_mov_b32 s18, 0
	s_delay_alu instid0(VALU_DEP_2)
	v_mov_b32_e32 v17, v27
	.p2align	6
.LBB60_296:                             ; =>This Inner Loop Header: Depth=1
	s_clz_i32_u32 s19, s11
	s_delay_alu instid0(SALU_CYCLE_1) | instskip(NEXT) | instid1(SALU_CYCLE_1)
	s_min_u32 s19, s19, 32
	s_lshl_b64 s[20:21], s[10:11], s19
	s_sub_i32 s19, 32, s19
	s_min_u32 s20, s20, 1
	s_delay_alu instid0(SALU_CYCLE_1) | instskip(SKIP_3) | instid1(SALU_CYCLE_1)
	s_or_b32 s20, s21, s20
	s_add_u32 s10, s10, 2
	v_cvt_f32_u32_e32 v41, s20
	s_addc_u32 s11, s11, 0
	v_cmp_ge_u64_e32 vcc_lo, s[10:11], v[25:26]
	s_delay_alu instid0(VALU_DEP_2) | instskip(SKIP_1) | instid1(VALU_DEP_1)
	v_ldexp_f32 v41, v41, s19
	s_or_b32 s18, vcc_lo, s18
	v_dual_mul_f32 v41, v28, v41 :: v_dual_mov_b32 v28, v17
	s_delay_alu instid0(VALU_DEP_1)
	v_fma_f32 v17, v27, v17, -v41
	s_and_not1_b32 exec_lo, exec_lo, s18
	s_cbranch_execnz .LBB60_296
; %bb.297:
	s_or_b32 exec_lo, exec_lo, s18
.LBB60_298:
	s_delay_alu instid0(SALU_CYCLE_1)
	s_or_b32 exec_lo, exec_lo, s17
                                        ; implicit-def: $vgpr27
.LBB60_299:
	s_and_not1_saveexec_b32 s10, s16
; %bb.300:
	v_add_f32_e32 v17, v27, v27
; %bb.301:
	s_or_b32 exec_lo, exec_lo, s10
.LBB60_302:
	s_delay_alu instid0(SALU_CYCLE_1)
	s_or_b32 exec_lo, exec_lo, s14
.LBB60_303:
	s_delay_alu instid0(SALU_CYCLE_1) | instskip(SKIP_2) | instid1(VALU_DEP_1)
	s_or_b32 exec_lo, exec_lo, s13
	v_trunc_f32_e32 v25, v18
	s_mov_b32 s13, exec_lo
	v_mul_f32_e64 v26, 0x2f800000, |v25|
	s_delay_alu instid0(VALU_DEP_1) | instskip(NEXT) | instid1(VALU_DEP_1)
	v_floor_f32_e32 v26, v26
	v_fma_f32 v27, 0xcf800000, v26, |v25|
	v_ashrrev_i32_e32 v25, 31, v25
	v_cvt_u32_f32_e32 v26, v26
	s_delay_alu instid0(VALU_DEP_3) | instskip(NEXT) | instid1(VALU_DEP_2)
	v_cvt_u32_f32_e32 v27, v27
	v_xor_b32_e32 v26, v26, v25
	s_delay_alu instid0(VALU_DEP_2) | instskip(NEXT) | instid1(VALU_DEP_1)
	v_xor_b32_e32 v27, v27, v25
	v_sub_co_u32 v27, vcc_lo, v27, v25
	s_delay_alu instid0(VALU_DEP_3) | instskip(SKIP_2) | instid1(VALU_DEP_3)
	v_sub_co_ci_u32_e32 v25, vcc_lo, v26, v25, vcc_lo
	v_cmp_class_f32_e64 vcc_lo, v18, 0x1f8
	v_mov_b32_e32 v18, 0
	v_dual_cndmask_b32 v26, -1, v25 :: v_dual_cndmask_b32 v25, -1, v27
	s_delay_alu instid0(VALU_DEP_1)
	v_cmpx_lt_i64_e32 -1, v[25:26]
	s_cbranch_execz .LBB60_315
; %bb.304:
	v_mov_b32_e32 v18, 1.0
	s_mov_b32 s14, exec_lo
	v_cmpx_lt_i64_e32 0, v[25:26]
	s_cbranch_execz .LBB60_314
; %bb.305:
	v_lshrrev_b32_e32 v5, 16, v5
	s_mov_b32 s10, exec_lo
	s_delay_alu instid0(VALU_DEP_1)
	v_cvt_f32_f16_e32 v5, v5
	v_cmpx_ne_u64_e32 1, v[25:26]
	s_xor_b32 s16, exec_lo, s10
	s_cbranch_execz .LBB60_311
; %bb.306:
	v_mov_b32_e32 v18, 0x7fc00000
	s_mov_b32 s17, exec_lo
	v_cmpx_gt_u64_e32 0x81, v[25:26]
	s_cbranch_execz .LBB60_310
; %bb.307:
	v_add_f32_e32 v5, v5, v5
	v_lshlrev_b64 v[25:26], 1, v[25:26]
	v_mov_b32_e32 v27, 1.0
	s_mov_b64 s[10:11], 2
	s_mov_b32 s18, 0
	v_mov_b32_e32 v18, v5
	.p2align	6
.LBB60_308:                             ; =>This Inner Loop Header: Depth=1
	s_clz_i32_u32 s19, s11
	s_delay_alu instid0(SALU_CYCLE_1) | instskip(NEXT) | instid1(SALU_CYCLE_1)
	s_min_u32 s19, s19, 32
	s_lshl_b64 s[20:21], s[10:11], s19
	s_sub_i32 s19, 32, s19
	s_min_u32 s20, s20, 1
	s_delay_alu instid0(SALU_CYCLE_1) | instskip(SKIP_3) | instid1(SALU_CYCLE_1)
	s_or_b32 s20, s21, s20
	s_add_u32 s10, s10, 2
	v_cvt_f32_u32_e32 v28, s20
	s_addc_u32 s11, s11, 0
	v_cmp_ge_u64_e32 vcc_lo, s[10:11], v[25:26]
	s_delay_alu instid0(VALU_DEP_2) | instskip(SKIP_1) | instid1(VALU_DEP_1)
	v_ldexp_f32 v28, v28, s19
	s_or_b32 s18, vcc_lo, s18
	v_dual_mul_f32 v28, v27, v28 :: v_dual_mov_b32 v27, v18
	s_delay_alu instid0(VALU_DEP_1)
	v_fma_f32 v18, v5, v18, -v28
	s_and_not1_b32 exec_lo, exec_lo, s18
	s_cbranch_execnz .LBB60_308
; %bb.309:
	s_or_b32 exec_lo, exec_lo, s18
.LBB60_310:
	s_delay_alu instid0(SALU_CYCLE_1)
	s_or_b32 exec_lo, exec_lo, s17
                                        ; implicit-def: $vgpr5
.LBB60_311:
	s_and_not1_saveexec_b32 s10, s16
; %bb.312:
	v_add_f32_e32 v18, v5, v5
; %bb.313:
	s_or_b32 exec_lo, exec_lo, s10
.LBB60_314:
	s_delay_alu instid0(SALU_CYCLE_1)
	s_or_b32 exec_lo, exec_lo, s14
.LBB60_315:
	s_delay_alu instid0(SALU_CYCLE_1) | instskip(SKIP_2) | instid1(VALU_DEP_1)
	s_or_b32 exec_lo, exec_lo, s13
	v_trunc_f32_e32 v5, v19
	s_mov_b32 s13, exec_lo
	v_mul_f32_e64 v25, 0x2f800000, |v5|
	s_delay_alu instid0(VALU_DEP_1) | instskip(NEXT) | instid1(VALU_DEP_1)
	v_floor_f32_e32 v25, v25
	v_fma_f32 v26, 0xcf800000, v25, |v5|
	v_ashrrev_i32_e32 v5, 31, v5
	v_cvt_u32_f32_e32 v25, v25
	s_delay_alu instid0(VALU_DEP_3) | instskip(NEXT) | instid1(VALU_DEP_2)
	v_cvt_u32_f32_e32 v26, v26
	v_xor_b32_e32 v25, v25, v5
	s_delay_alu instid0(VALU_DEP_2) | instskip(NEXT) | instid1(VALU_DEP_1)
	v_xor_b32_e32 v26, v26, v5
	v_sub_co_u32 v27, vcc_lo, v26, v5
	s_delay_alu instid0(VALU_DEP_3) | instskip(SKIP_1) | instid1(VALU_DEP_2)
	v_sub_co_ci_u32_e32 v5, vcc_lo, v25, v5, vcc_lo
	v_cmp_class_f32_e64 vcc_lo, v19, 0x1f8
	v_dual_mov_b32 v19, 0 :: v_dual_cndmask_b32 v26, -1, v5
	s_delay_alu instid0(VALU_DEP_4) | instskip(NEXT) | instid1(VALU_DEP_1)
	v_cndmask_b32_e32 v25, -1, v27, vcc_lo
	v_cmpx_lt_i64_e32 -1, v[25:26]
	s_cbranch_execz .LBB60_327
; %bb.316:
	v_mov_b32_e32 v19, 1.0
	s_mov_b32 s14, exec_lo
	v_cmpx_lt_i64_e32 0, v[25:26]
	s_cbranch_execz .LBB60_326
; %bb.317:
	v_cvt_f32_f16_e32 v5, v6
	s_mov_b32 s10, exec_lo
	v_cmpx_ne_u64_e32 1, v[25:26]
	s_xor_b32 s16, exec_lo, s10
	s_cbranch_execz .LBB60_323
; %bb.318:
	v_mov_b32_e32 v19, 0x7fc00000
	s_mov_b32 s17, exec_lo
	v_cmpx_gt_u64_e32 0x81, v[25:26]
	s_cbranch_execz .LBB60_322
; %bb.319:
	v_add_f32_e32 v5, v5, v5
	v_lshlrev_b64 v[25:26], 1, v[25:26]
	v_mov_b32_e32 v27, 1.0
	s_mov_b64 s[10:11], 2
	s_mov_b32 s18, 0
	v_mov_b32_e32 v19, v5
	.p2align	6
.LBB60_320:                             ; =>This Inner Loop Header: Depth=1
	s_clz_i32_u32 s19, s11
	s_delay_alu instid0(SALU_CYCLE_1) | instskip(NEXT) | instid1(SALU_CYCLE_1)
	s_min_u32 s19, s19, 32
	s_lshl_b64 s[20:21], s[10:11], s19
	s_sub_i32 s19, 32, s19
	s_min_u32 s20, s20, 1
	s_delay_alu instid0(SALU_CYCLE_1) | instskip(SKIP_3) | instid1(SALU_CYCLE_1)
	s_or_b32 s20, s21, s20
	s_add_u32 s10, s10, 2
	v_cvt_f32_u32_e32 v28, s20
	s_addc_u32 s11, s11, 0
	v_cmp_ge_u64_e32 vcc_lo, s[10:11], v[25:26]
	s_delay_alu instid0(VALU_DEP_2) | instskip(SKIP_1) | instid1(VALU_DEP_1)
	v_ldexp_f32 v28, v28, s19
	s_or_b32 s18, vcc_lo, s18
	v_mul_f32_e32 v28, v27, v28
	v_mov_b32_e32 v27, v19
	s_delay_alu instid0(VALU_DEP_2)
	v_fma_f32 v19, v5, v19, -v28
	s_and_not1_b32 exec_lo, exec_lo, s18
	s_cbranch_execnz .LBB60_320
; %bb.321:
	s_or_b32 exec_lo, exec_lo, s18
.LBB60_322:
	s_delay_alu instid0(SALU_CYCLE_1)
	s_or_b32 exec_lo, exec_lo, s17
                                        ; implicit-def: $vgpr5
.LBB60_323:
	s_and_not1_saveexec_b32 s10, s16
; %bb.324:
	v_add_f32_e32 v19, v5, v5
; %bb.325:
	s_or_b32 exec_lo, exec_lo, s10
.LBB60_326:
	s_delay_alu instid0(SALU_CYCLE_1)
	s_or_b32 exec_lo, exec_lo, s14
.LBB60_327:
	s_delay_alu instid0(SALU_CYCLE_1) | instskip(SKIP_2) | instid1(VALU_DEP_1)
	s_or_b32 exec_lo, exec_lo, s13
	v_trunc_f32_e32 v5, v20
	s_mov_b32 s13, exec_lo
	v_mul_f32_e64 v25, 0x2f800000, |v5|
	s_delay_alu instid0(VALU_DEP_1) | instskip(NEXT) | instid1(VALU_DEP_1)
	v_floor_f32_e32 v25, v25
	v_fma_f32 v26, 0xcf800000, v25, |v5|
	v_ashrrev_i32_e32 v5, 31, v5
	v_cvt_u32_f32_e32 v25, v25
	s_delay_alu instid0(VALU_DEP_3) | instskip(NEXT) | instid1(VALU_DEP_2)
	v_cvt_u32_f32_e32 v26, v26
	v_xor_b32_e32 v25, v25, v5
	s_delay_alu instid0(VALU_DEP_2) | instskip(NEXT) | instid1(VALU_DEP_1)
	v_xor_b32_e32 v26, v26, v5
	v_sub_co_u32 v27, vcc_lo, v26, v5
	s_delay_alu instid0(VALU_DEP_3) | instskip(SKIP_2) | instid1(VALU_DEP_3)
	v_sub_co_ci_u32_e32 v5, vcc_lo, v25, v5, vcc_lo
	v_cmp_class_f32_e64 vcc_lo, v20, 0x1f8
	v_mov_b32_e32 v20, 0
	v_dual_cndmask_b32 v26, -1, v5 :: v_dual_cndmask_b32 v25, -1, v27
	s_delay_alu instid0(VALU_DEP_1)
	v_cmpx_lt_i64_e32 -1, v[25:26]
	s_cbranch_execz .LBB60_339
; %bb.328:
	v_mov_b32_e32 v20, 1.0
	s_mov_b32 s14, exec_lo
	v_cmpx_lt_i64_e32 0, v[25:26]
	s_cbranch_execz .LBB60_338
; %bb.329:
	v_lshrrev_b32_e32 v5, 16, v6
	s_mov_b32 s10, exec_lo
	s_delay_alu instid0(VALU_DEP_1)
	v_cvt_f32_f16_e32 v5, v5
	v_cmpx_ne_u64_e32 1, v[25:26]
	s_xor_b32 s16, exec_lo, s10
	s_cbranch_execz .LBB60_335
; %bb.330:
	v_mov_b32_e32 v20, 0x7fc00000
	s_mov_b32 s17, exec_lo
	v_cmpx_gt_u64_e32 0x81, v[25:26]
	s_cbranch_execz .LBB60_334
; %bb.331:
	v_add_f32_e32 v27, v5, v5
	v_lshlrev_b64 v[5:6], 1, v[25:26]
	v_mov_b32_e32 v25, 1.0
	s_mov_b64 s[10:11], 2
	s_mov_b32 s18, 0
	v_mov_b32_e32 v20, v27
	.p2align	6
.LBB60_332:                             ; =>This Inner Loop Header: Depth=1
	s_clz_i32_u32 s19, s11
	s_delay_alu instid0(SALU_CYCLE_1) | instskip(NEXT) | instid1(SALU_CYCLE_1)
	s_min_u32 s19, s19, 32
	s_lshl_b64 s[20:21], s[10:11], s19
	s_sub_i32 s19, 32, s19
	s_min_u32 s20, s20, 1
	s_delay_alu instid0(SALU_CYCLE_1) | instskip(SKIP_3) | instid1(SALU_CYCLE_1)
	s_or_b32 s20, s21, s20
	s_add_u32 s10, s10, 2
	v_cvt_f32_u32_e32 v26, s20
	s_addc_u32 s11, s11, 0
	v_cmp_ge_u64_e32 vcc_lo, s[10:11], v[5:6]
	s_delay_alu instid0(VALU_DEP_2) | instskip(SKIP_1) | instid1(VALU_DEP_1)
	v_ldexp_f32 v26, v26, s19
	s_or_b32 s18, vcc_lo, s18
	v_dual_mul_f32 v26, v25, v26 :: v_dual_mov_b32 v25, v20
	s_delay_alu instid0(VALU_DEP_1)
	v_fma_f32 v20, v27, v20, -v26
	s_and_not1_b32 exec_lo, exec_lo, s18
	s_cbranch_execnz .LBB60_332
; %bb.333:
	s_or_b32 exec_lo, exec_lo, s18
.LBB60_334:
	s_delay_alu instid0(SALU_CYCLE_1)
	s_or_b32 exec_lo, exec_lo, s17
                                        ; implicit-def: $vgpr5
.LBB60_335:
	s_and_not1_saveexec_b32 s10, s16
; %bb.336:
	v_add_f32_e32 v20, v5, v5
; %bb.337:
	s_or_b32 exec_lo, exec_lo, s10
.LBB60_338:
	s_delay_alu instid0(SALU_CYCLE_1)
	s_or_b32 exec_lo, exec_lo, s14
.LBB60_339:
	s_delay_alu instid0(SALU_CYCLE_1) | instskip(SKIP_3) | instid1(VALU_DEP_1)
	s_or_b32 exec_lo, exec_lo, s13
	s_waitcnt vmcnt(0)
	v_trunc_f32_e32 v5, v9
	s_mov_b32 s13, exec_lo
	v_mul_f32_e64 v6, 0x2f800000, |v5|
	s_delay_alu instid0(VALU_DEP_1) | instskip(NEXT) | instid1(VALU_DEP_1)
	v_floor_f32_e32 v6, v6
	v_fma_f32 v25, 0xcf800000, v6, |v5|
	v_ashrrev_i32_e32 v5, 31, v5
	v_cvt_u32_f32_e32 v6, v6
	s_delay_alu instid0(VALU_DEP_3) | instskip(NEXT) | instid1(VALU_DEP_2)
	v_cvt_u32_f32_e32 v25, v25
	v_xor_b32_e32 v6, v6, v5
	s_delay_alu instid0(VALU_DEP_2) | instskip(NEXT) | instid1(VALU_DEP_1)
	v_xor_b32_e32 v25, v25, v5
	v_sub_co_u32 v25, vcc_lo, v25, v5
	s_delay_alu instid0(VALU_DEP_3) | instskip(SKIP_1) | instid1(VALU_DEP_2)
	v_sub_co_ci_u32_e32 v5, vcc_lo, v6, v5, vcc_lo
	v_cmp_class_f32_e64 vcc_lo, v9, 0x1f8
	v_dual_mov_b32 v9, 0 :: v_dual_cndmask_b32 v6, -1, v5
	s_delay_alu instid0(VALU_DEP_4) | instskip(NEXT) | instid1(VALU_DEP_1)
	v_cndmask_b32_e32 v5, -1, v25, vcc_lo
	v_cmpx_lt_i64_e32 -1, v[5:6]
	s_cbranch_execz .LBB60_351
; %bb.340:
	v_mov_b32_e32 v9, 1.0
	s_mov_b32 s14, exec_lo
	v_cmpx_lt_i64_e32 0, v[5:6]
	s_cbranch_execz .LBB60_350
; %bb.341:
	v_cvt_f32_f16_e32 v25, v7
                                        ; implicit-def: $vgpr9
	s_mov_b32 s10, exec_lo
	v_cmpx_ne_u64_e32 1, v[5:6]
	s_xor_b32 s16, exec_lo, s10
	s_cbranch_execz .LBB60_347
; %bb.342:
	v_mov_b32_e32 v9, 0x7fc00000
	s_mov_b32 s17, exec_lo
	v_cmpx_gt_u64_e32 0x81, v[5:6]
	s_cbranch_execz .LBB60_346
; %bb.343:
	v_dual_add_f32 v25, v25, v25 :: v_dual_mov_b32 v26, 1.0
	v_lshlrev_b64 v[5:6], 1, v[5:6]
	s_mov_b64 s[10:11], 2
	s_mov_b32 s18, 0
	s_delay_alu instid0(VALU_DEP_2)
	v_mov_b32_e32 v9, v25
	.p2align	6
.LBB60_344:                             ; =>This Inner Loop Header: Depth=1
	s_clz_i32_u32 s19, s11
	s_delay_alu instid0(SALU_CYCLE_1) | instskip(NEXT) | instid1(SALU_CYCLE_1)
	s_min_u32 s19, s19, 32
	s_lshl_b64 s[20:21], s[10:11], s19
	s_sub_i32 s19, 32, s19
	s_min_u32 s20, s20, 1
	s_delay_alu instid0(SALU_CYCLE_1) | instskip(SKIP_3) | instid1(SALU_CYCLE_1)
	s_or_b32 s20, s21, s20
	s_add_u32 s10, s10, 2
	v_cvt_f32_u32_e32 v27, s20
	s_addc_u32 s11, s11, 0
	v_cmp_ge_u64_e32 vcc_lo, s[10:11], v[5:6]
	s_delay_alu instid0(VALU_DEP_2) | instskip(SKIP_1) | instid1(VALU_DEP_1)
	v_ldexp_f32 v27, v27, s19
	s_or_b32 s18, vcc_lo, s18
	v_dual_mul_f32 v27, v26, v27 :: v_dual_mov_b32 v26, v9
	s_delay_alu instid0(VALU_DEP_1)
	v_fma_f32 v9, v25, v9, -v27
	s_and_not1_b32 exec_lo, exec_lo, s18
	s_cbranch_execnz .LBB60_344
; %bb.345:
	s_or_b32 exec_lo, exec_lo, s18
.LBB60_346:
	s_delay_alu instid0(SALU_CYCLE_1)
	s_or_b32 exec_lo, exec_lo, s17
                                        ; implicit-def: $vgpr25
.LBB60_347:
	s_and_not1_saveexec_b32 s10, s16
; %bb.348:
	v_add_f32_e32 v9, v25, v25
; %bb.349:
	s_or_b32 exec_lo, exec_lo, s10
.LBB60_350:
	s_delay_alu instid0(SALU_CYCLE_1)
	s_or_b32 exec_lo, exec_lo, s14
.LBB60_351:
	s_delay_alu instid0(SALU_CYCLE_1) | instskip(SKIP_2) | instid1(VALU_DEP_1)
	s_or_b32 exec_lo, exec_lo, s13
	v_trunc_f32_e32 v5, v10
	s_mov_b32 s13, exec_lo
	v_mul_f32_e64 v6, 0x2f800000, |v5|
	s_delay_alu instid0(VALU_DEP_1) | instskip(NEXT) | instid1(VALU_DEP_1)
	v_floor_f32_e32 v6, v6
	v_fma_f32 v25, 0xcf800000, v6, |v5|
	v_ashrrev_i32_e32 v5, 31, v5
	v_cvt_u32_f32_e32 v6, v6
	s_delay_alu instid0(VALU_DEP_3) | instskip(NEXT) | instid1(VALU_DEP_2)
	v_cvt_u32_f32_e32 v25, v25
	v_xor_b32_e32 v6, v6, v5
	s_delay_alu instid0(VALU_DEP_2) | instskip(NEXT) | instid1(VALU_DEP_1)
	v_xor_b32_e32 v25, v25, v5
	v_sub_co_u32 v25, vcc_lo, v25, v5
	s_delay_alu instid0(VALU_DEP_3) | instskip(SKIP_2) | instid1(VALU_DEP_3)
	v_sub_co_ci_u32_e32 v5, vcc_lo, v6, v5, vcc_lo
	v_cmp_class_f32_e64 vcc_lo, v10, 0x1f8
	v_mov_b32_e32 v10, 0
	v_cndmask_b32_e32 v6, -1, v5, vcc_lo
	v_cndmask_b32_e32 v5, -1, v25, vcc_lo
	s_delay_alu instid0(VALU_DEP_1)
	v_cmpx_lt_i64_e32 -1, v[5:6]
	s_cbranch_execz .LBB60_363
; %bb.352:
	v_mov_b32_e32 v10, 1.0
	s_mov_b32 s14, exec_lo
	v_cmpx_lt_i64_e32 0, v[5:6]
	s_cbranch_execz .LBB60_362
; %bb.353:
	v_lshrrev_b32_e32 v7, 16, v7
	s_mov_b32 s10, exec_lo
	s_delay_alu instid0(VALU_DEP_1)
	v_cvt_f32_f16_e32 v7, v7
	v_cmpx_ne_u64_e32 1, v[5:6]
	s_xor_b32 s16, exec_lo, s10
	s_cbranch_execz .LBB60_359
; %bb.354:
	v_mov_b32_e32 v10, 0x7fc00000
	s_mov_b32 s17, exec_lo
	v_cmpx_gt_u64_e32 0x81, v[5:6]
	s_cbranch_execz .LBB60_358
; %bb.355:
	v_add_f32_e32 v7, v7, v7
	v_lshlrev_b64 v[5:6], 1, v[5:6]
	v_mov_b32_e32 v25, 1.0
	s_mov_b64 s[10:11], 2
	s_mov_b32 s18, 0
	v_mov_b32_e32 v10, v7
	.p2align	6
.LBB60_356:                             ; =>This Inner Loop Header: Depth=1
	s_clz_i32_u32 s19, s11
	s_delay_alu instid0(SALU_CYCLE_1) | instskip(NEXT) | instid1(SALU_CYCLE_1)
	s_min_u32 s19, s19, 32
	s_lshl_b64 s[20:21], s[10:11], s19
	s_sub_i32 s19, 32, s19
	s_min_u32 s20, s20, 1
	s_delay_alu instid0(SALU_CYCLE_1) | instskip(SKIP_3) | instid1(SALU_CYCLE_1)
	s_or_b32 s20, s21, s20
	s_add_u32 s10, s10, 2
	v_cvt_f32_u32_e32 v26, s20
	s_addc_u32 s11, s11, 0
	v_cmp_ge_u64_e32 vcc_lo, s[10:11], v[5:6]
	s_delay_alu instid0(VALU_DEP_2) | instskip(SKIP_1) | instid1(VALU_DEP_1)
	v_ldexp_f32 v26, v26, s19
	s_or_b32 s18, vcc_lo, s18
	v_dual_mul_f32 v26, v25, v26 :: v_dual_mov_b32 v25, v10
	s_delay_alu instid0(VALU_DEP_1)
	v_fma_f32 v10, v7, v10, -v26
	s_and_not1_b32 exec_lo, exec_lo, s18
	s_cbranch_execnz .LBB60_356
; %bb.357:
	s_or_b32 exec_lo, exec_lo, s18
.LBB60_358:
	s_delay_alu instid0(SALU_CYCLE_1)
	s_or_b32 exec_lo, exec_lo, s17
                                        ; implicit-def: $vgpr7
.LBB60_359:
	s_and_not1_saveexec_b32 s10, s16
; %bb.360:
	v_add_f32_e32 v10, v7, v7
; %bb.361:
	s_or_b32 exec_lo, exec_lo, s10
.LBB60_362:
	s_delay_alu instid0(SALU_CYCLE_1)
	s_or_b32 exec_lo, exec_lo, s14
.LBB60_363:
	s_delay_alu instid0(SALU_CYCLE_1) | instskip(SKIP_2) | instid1(VALU_DEP_1)
	s_or_b32 exec_lo, exec_lo, s13
	v_trunc_f32_e32 v5, v11
	s_mov_b32 s13, exec_lo
	v_mul_f32_e64 v6, 0x2f800000, |v5|
	s_delay_alu instid0(VALU_DEP_1) | instskip(NEXT) | instid1(VALU_DEP_1)
	v_floor_f32_e32 v6, v6
	v_fma_f32 v7, 0xcf800000, v6, |v5|
	v_ashrrev_i32_e32 v5, 31, v5
	v_cvt_u32_f32_e32 v6, v6
	s_delay_alu instid0(VALU_DEP_3) | instskip(NEXT) | instid1(VALU_DEP_2)
	v_cvt_u32_f32_e32 v7, v7
	v_xor_b32_e32 v6, v6, v5
	s_delay_alu instid0(VALU_DEP_2) | instskip(NEXT) | instid1(VALU_DEP_1)
	v_xor_b32_e32 v7, v7, v5
	v_sub_co_u32 v7, vcc_lo, v7, v5
	s_delay_alu instid0(VALU_DEP_3) | instskip(SKIP_1) | instid1(VALU_DEP_2)
	v_sub_co_ci_u32_e32 v5, vcc_lo, v6, v5, vcc_lo
	v_cmp_class_f32_e64 vcc_lo, v11, 0x1f8
	v_dual_mov_b32 v11, 0 :: v_dual_cndmask_b32 v6, -1, v5
	s_delay_alu instid0(VALU_DEP_4) | instskip(NEXT) | instid1(VALU_DEP_1)
	v_cndmask_b32_e32 v5, -1, v7, vcc_lo
	v_cmpx_lt_i64_e32 -1, v[5:6]
	s_cbranch_execz .LBB60_375
; %bb.364:
	v_mov_b32_e32 v11, 1.0
	s_mov_b32 s14, exec_lo
	v_cmpx_lt_i64_e32 0, v[5:6]
	s_cbranch_execz .LBB60_374
; %bb.365:
	v_cvt_f32_f16_e32 v7, v8
	s_mov_b32 s10, exec_lo
	v_cmpx_ne_u64_e32 1, v[5:6]
	s_xor_b32 s16, exec_lo, s10
	s_cbranch_execz .LBB60_371
; %bb.366:
	v_mov_b32_e32 v11, 0x7fc00000
	s_mov_b32 s17, exec_lo
	v_cmpx_gt_u64_e32 0x81, v[5:6]
	s_cbranch_execz .LBB60_370
; %bb.367:
	v_add_f32_e32 v7, v7, v7
	v_lshlrev_b64 v[5:6], 1, v[5:6]
	v_mov_b32_e32 v25, 1.0
	s_mov_b64 s[10:11], 2
	s_mov_b32 s18, 0
	v_mov_b32_e32 v11, v7
	.p2align	6
.LBB60_368:                             ; =>This Inner Loop Header: Depth=1
	s_clz_i32_u32 s19, s11
	s_delay_alu instid0(SALU_CYCLE_1) | instskip(NEXT) | instid1(SALU_CYCLE_1)
	s_min_u32 s19, s19, 32
	s_lshl_b64 s[20:21], s[10:11], s19
	s_sub_i32 s19, 32, s19
	s_min_u32 s20, s20, 1
	s_delay_alu instid0(SALU_CYCLE_1) | instskip(SKIP_3) | instid1(SALU_CYCLE_1)
	s_or_b32 s20, s21, s20
	s_add_u32 s10, s10, 2
	v_cvt_f32_u32_e32 v26, s20
	s_addc_u32 s11, s11, 0
	v_cmp_ge_u64_e32 vcc_lo, s[10:11], v[5:6]
	s_delay_alu instid0(VALU_DEP_2) | instskip(SKIP_1) | instid1(VALU_DEP_1)
	v_ldexp_f32 v26, v26, s19
	s_or_b32 s18, vcc_lo, s18
	v_dual_mul_f32 v26, v25, v26 :: v_dual_mov_b32 v25, v11
	s_delay_alu instid0(VALU_DEP_1)
	v_fma_f32 v11, v7, v11, -v26
	s_and_not1_b32 exec_lo, exec_lo, s18
	s_cbranch_execnz .LBB60_368
; %bb.369:
	s_or_b32 exec_lo, exec_lo, s18
.LBB60_370:
	s_delay_alu instid0(SALU_CYCLE_1)
	s_or_b32 exec_lo, exec_lo, s17
                                        ; implicit-def: $vgpr7
.LBB60_371:
	s_and_not1_saveexec_b32 s10, s16
; %bb.372:
	v_add_f32_e32 v11, v7, v7
; %bb.373:
	s_or_b32 exec_lo, exec_lo, s10
.LBB60_374:
	s_delay_alu instid0(SALU_CYCLE_1)
	s_or_b32 exec_lo, exec_lo, s14
.LBB60_375:
	s_delay_alu instid0(SALU_CYCLE_1) | instskip(SKIP_2) | instid1(VALU_DEP_1)
	s_or_b32 exec_lo, exec_lo, s13
	v_trunc_f32_e32 v5, v12
	s_mov_b32 s13, exec_lo
	v_mul_f32_e64 v6, 0x2f800000, |v5|
	s_delay_alu instid0(VALU_DEP_1) | instskip(NEXT) | instid1(VALU_DEP_1)
	v_floor_f32_e32 v6, v6
	v_fma_f32 v7, 0xcf800000, v6, |v5|
	v_ashrrev_i32_e32 v5, 31, v5
	v_cvt_u32_f32_e32 v6, v6
	s_delay_alu instid0(VALU_DEP_3) | instskip(NEXT) | instid1(VALU_DEP_2)
	v_cvt_u32_f32_e32 v7, v7
	v_xor_b32_e32 v6, v6, v5
	s_delay_alu instid0(VALU_DEP_2) | instskip(NEXT) | instid1(VALU_DEP_1)
	v_xor_b32_e32 v7, v7, v5
	v_sub_co_u32 v7, vcc_lo, v7, v5
	s_delay_alu instid0(VALU_DEP_3) | instskip(SKIP_2) | instid1(VALU_DEP_3)
	v_sub_co_ci_u32_e32 v5, vcc_lo, v6, v5, vcc_lo
	v_cmp_class_f32_e64 vcc_lo, v12, 0x1f8
	v_mov_b32_e32 v12, 0
	v_dual_cndmask_b32 v6, -1, v5 :: v_dual_cndmask_b32 v5, -1, v7
	s_delay_alu instid0(VALU_DEP_1)
	v_cmpx_lt_i64_e32 -1, v[5:6]
	s_cbranch_execz .LBB60_387
; %bb.376:
	v_mov_b32_e32 v12, 1.0
	s_mov_b32 s14, exec_lo
	v_cmpx_lt_i64_e32 0, v[5:6]
	s_cbranch_execz .LBB60_386
; %bb.377:
	v_lshrrev_b32_e32 v7, 16, v8
	s_mov_b32 s10, exec_lo
	s_delay_alu instid0(VALU_DEP_1)
	v_cvt_f32_f16_e32 v7, v7
	v_cmpx_ne_u64_e32 1, v[5:6]
	s_xor_b32 s16, exec_lo, s10
	s_cbranch_execz .LBB60_383
; %bb.378:
	v_mov_b32_e32 v12, 0x7fc00000
	s_mov_b32 s17, exec_lo
	v_cmpx_gt_u64_e32 0x81, v[5:6]
	s_cbranch_execz .LBB60_382
; %bb.379:
	v_dual_add_f32 v7, v7, v7 :: v_dual_mov_b32 v8, 1.0
	v_lshlrev_b64 v[5:6], 1, v[5:6]
	s_mov_b64 s[10:11], 2
	s_mov_b32 s18, 0
	s_delay_alu instid0(VALU_DEP_2)
	v_mov_b32_e32 v12, v7
	.p2align	6
.LBB60_380:                             ; =>This Inner Loop Header: Depth=1
	s_clz_i32_u32 s19, s11
	s_delay_alu instid0(SALU_CYCLE_1) | instskip(NEXT) | instid1(SALU_CYCLE_1)
	s_min_u32 s19, s19, 32
	s_lshl_b64 s[20:21], s[10:11], s19
	s_sub_i32 s19, 32, s19
	s_min_u32 s20, s20, 1
	s_delay_alu instid0(SALU_CYCLE_1) | instskip(SKIP_3) | instid1(SALU_CYCLE_1)
	s_or_b32 s20, s21, s20
	s_add_u32 s10, s10, 2
	v_cvt_f32_u32_e32 v25, s20
	s_addc_u32 s11, s11, 0
	v_cmp_ge_u64_e32 vcc_lo, s[10:11], v[5:6]
	s_delay_alu instid0(VALU_DEP_2) | instskip(SKIP_1) | instid1(VALU_DEP_1)
	v_ldexp_f32 v25, v25, s19
	s_or_b32 s18, vcc_lo, s18
	v_mul_f32_e32 v25, v8, v25
	v_mov_b32_e32 v8, v12
	s_delay_alu instid0(VALU_DEP_2)
	v_fma_f32 v12, v7, v12, -v25
	s_and_not1_b32 exec_lo, exec_lo, s18
	s_cbranch_execnz .LBB60_380
; %bb.381:
	s_or_b32 exec_lo, exec_lo, s18
.LBB60_382:
	s_delay_alu instid0(SALU_CYCLE_1)
	s_or_b32 exec_lo, exec_lo, s17
                                        ; implicit-def: $vgpr7
.LBB60_383:
	s_and_not1_saveexec_b32 s10, s16
; %bb.384:
	v_add_f32_e32 v12, v7, v7
; %bb.385:
	s_or_b32 exec_lo, exec_lo, s10
.LBB60_386:
	s_delay_alu instid0(SALU_CYCLE_1)
	s_or_b32 exec_lo, exec_lo, s14
.LBB60_387:
	s_delay_alu instid0(SALU_CYCLE_1) | instskip(SKIP_3) | instid1(VALU_DEP_1)
	s_or_b32 exec_lo, exec_lo, s13
	s_add_u32 s10, s4, s8
	s_addc_u32 s11, s5, s9
	v_add_co_u32 v5, s8, s10, v52
	v_add_co_ci_u32_e64 v6, null, s11, 0, s8
	s_clause 0x1
	global_store_b128 v52, v[1:4], s[10:11]
	global_store_b128 v52, v[13:16], s[10:11] offset:16
	v_add_co_u32 v1, vcc_lo, 0x4000, v5
	v_add_co_ci_u32_e32 v2, vcc_lo, 0, v6, vcc_lo
	v_add_co_u32 v3, vcc_lo, 0xc000, v5
	v_add_co_ci_u32_e32 v4, vcc_lo, 0, v6, vcc_lo
	s_clause 0x5
	global_store_b128 v[1:2], v[21:24], off
	global_store_b128 v[1:2], v[33:36], off offset:16
	global_store_b128 v51, v[37:40], s[10:11]
	global_store_b128 v51, v[29:32], s[10:11] offset:16
	global_store_b128 v[3:4], v[17:20], off
	global_store_b128 v[3:4], v[9:12], off offset:16
	s_branch .LBB60_2
.LBB60_388:
	s_clause 0x1
	s_load_b32 s10, s[0:1], 0x24
	s_load_b128 s[16:19], s[0:1], 0x28
	v_dual_mov_b32 v31, v0 :: v_dual_mov_b32 v0, s4
	v_dual_mov_b32 v1, s5 :: v_dual_mov_b32 v2, s6
	;; [unrolled: 1-line block ×4, first 2 shown]
	s_add_u32 s8, s0, 56
	s_addc_u32 s9, s1, 0
	s_mov_b32 s12, s15
	s_getpc_b64 s[0:1]
	s_add_u32 s0, s0, _ZN2at6native25elementwise_kernel_helperILb1ENS0_13BinaryFunctorIfffZZZNS0_12_GLOBAL__N_132hermite_polynomial_h_kernel_cudaERNS_18TensorIteratorBaseEENKUlvE_clEvENKUlvE0_clEvEUlffE_EENS0_6memory8policies11unroll_baseILi512ESt5arrayIPcLm3EE23TrivialOffsetCalculatorILi2EjESG_ILi1EjENSA_12LoadWithCastILi2EEENSA_13StoreWithCastILi1EEELi32ELi1EEEEEvT0_T1_@rel32@lo+4
	s_addc_u32 s1, s1, _ZN2at6native25elementwise_kernel_helperILb1ENS0_13BinaryFunctorIfffZZZNS0_12_GLOBAL__N_132hermite_polynomial_h_kernel_cudaERNS_18TensorIteratorBaseEENKUlvE_clEvENKUlvE0_clEvEUlffE_EENS0_6memory8policies11unroll_baseILi512ESt5arrayIPcLm3EE23TrivialOffsetCalculatorILi2EjESG_ILi1EjENSA_12LoadWithCastILi2EEENSA_13StoreWithCastILi1EEELi32ELi1EEEEEvT0_T1_@rel32@hi+12
	s_waitcnt lgkmcnt(0)
	v_lshrrev_b16 v8, 8, s10
	v_dual_mov_b32 v7, s10 :: v_dual_mov_b32 v10, s17
	v_dual_mov_b32 v9, s16 :: v_dual_mov_b32 v12, s19
	v_mov_b32_e32 v11, s18
	s_swappc_b64 s[30:31], s[0:1]
	s_endpgm
	.section	.rodata,"a",@progbits
	.p2align	6, 0x0
	.amdhsa_kernel _ZN2at6native39vectorized_templated_elementwise_kernelILi8ENS0_13BinaryFunctorIfffZZZNS0_12_GLOBAL__N_132hermite_polynomial_h_kernel_cudaERNS_18TensorIteratorBaseEENKUlvE_clEvENKUlvE0_clEvEUlffE_EESt5arrayIPcLm3EE23TrivialOffsetCalculatorILi2EjESD_ILi1EjENS0_6memory12LoadWithCastILi2EEENSG_13StoreWithCastILi1EEEfJN3c104HalfEfEEEviT0_T1_T2_T3_T4_T5_
		.amdhsa_group_segment_fixed_size 0
		.amdhsa_private_segment_fixed_size 272
		.amdhsa_kernarg_size 312
		.amdhsa_user_sgpr_count 15
		.amdhsa_user_sgpr_dispatch_ptr 0
		.amdhsa_user_sgpr_queue_ptr 0
		.amdhsa_user_sgpr_kernarg_segment_ptr 1
		.amdhsa_user_sgpr_dispatch_id 0
		.amdhsa_user_sgpr_private_segment_size 0
		.amdhsa_wavefront_size32 1
		.amdhsa_uses_dynamic_stack 0
		.amdhsa_enable_private_segment 1
		.amdhsa_system_sgpr_workgroup_id_x 1
		.amdhsa_system_sgpr_workgroup_id_y 0
		.amdhsa_system_sgpr_workgroup_id_z 0
		.amdhsa_system_sgpr_workgroup_info 0
		.amdhsa_system_vgpr_workitem_id 0
		.amdhsa_next_free_vgpr 68
		.amdhsa_next_free_sgpr 77
		.amdhsa_reserve_vcc 1
		.amdhsa_float_round_mode_32 0
		.amdhsa_float_round_mode_16_64 0
		.amdhsa_float_denorm_mode_32 3
		.amdhsa_float_denorm_mode_16_64 3
		.amdhsa_dx10_clamp 1
		.amdhsa_ieee_mode 1
		.amdhsa_fp16_overflow 0
		.amdhsa_workgroup_processor_mode 1
		.amdhsa_memory_ordered 1
		.amdhsa_forward_progress 0
		.amdhsa_shared_vgpr_count 0
		.amdhsa_exception_fp_ieee_invalid_op 0
		.amdhsa_exception_fp_denorm_src 0
		.amdhsa_exception_fp_ieee_div_zero 0
		.amdhsa_exception_fp_ieee_overflow 0
		.amdhsa_exception_fp_ieee_underflow 0
		.amdhsa_exception_fp_ieee_inexact 0
		.amdhsa_exception_int_div_zero 0
	.end_amdhsa_kernel
	.section	.text._ZN2at6native39vectorized_templated_elementwise_kernelILi8ENS0_13BinaryFunctorIfffZZZNS0_12_GLOBAL__N_132hermite_polynomial_h_kernel_cudaERNS_18TensorIteratorBaseEENKUlvE_clEvENKUlvE0_clEvEUlffE_EESt5arrayIPcLm3EE23TrivialOffsetCalculatorILi2EjESD_ILi1EjENS0_6memory12LoadWithCastILi2EEENSG_13StoreWithCastILi1EEEfJN3c104HalfEfEEEviT0_T1_T2_T3_T4_T5_,"axG",@progbits,_ZN2at6native39vectorized_templated_elementwise_kernelILi8ENS0_13BinaryFunctorIfffZZZNS0_12_GLOBAL__N_132hermite_polynomial_h_kernel_cudaERNS_18TensorIteratorBaseEENKUlvE_clEvENKUlvE0_clEvEUlffE_EESt5arrayIPcLm3EE23TrivialOffsetCalculatorILi2EjESD_ILi1EjENS0_6memory12LoadWithCastILi2EEENSG_13StoreWithCastILi1EEEfJN3c104HalfEfEEEviT0_T1_T2_T3_T4_T5_,comdat
.Lfunc_end60:
	.size	_ZN2at6native39vectorized_templated_elementwise_kernelILi8ENS0_13BinaryFunctorIfffZZZNS0_12_GLOBAL__N_132hermite_polynomial_h_kernel_cudaERNS_18TensorIteratorBaseEENKUlvE_clEvENKUlvE0_clEvEUlffE_EESt5arrayIPcLm3EE23TrivialOffsetCalculatorILi2EjESD_ILi1EjENS0_6memory12LoadWithCastILi2EEENSG_13StoreWithCastILi1EEEfJN3c104HalfEfEEEviT0_T1_T2_T3_T4_T5_, .Lfunc_end60-_ZN2at6native39vectorized_templated_elementwise_kernelILi8ENS0_13BinaryFunctorIfffZZZNS0_12_GLOBAL__N_132hermite_polynomial_h_kernel_cudaERNS_18TensorIteratorBaseEENKUlvE_clEvENKUlvE0_clEvEUlffE_EESt5arrayIPcLm3EE23TrivialOffsetCalculatorILi2EjESD_ILi1EjENS0_6memory12LoadWithCastILi2EEENSG_13StoreWithCastILi1EEEfJN3c104HalfEfEEEviT0_T1_T2_T3_T4_T5_
                                        ; -- End function
	.section	.AMDGPU.csdata,"",@progbits
; Kernel info:
; codeLenInByte = 11708
; NumSgprs: 79
; NumVgprs: 68
; ScratchSize: 272
; MemoryBound: 0
; FloatMode: 240
; IeeeMode: 1
; LDSByteSize: 0 bytes/workgroup (compile time only)
; SGPRBlocks: 9
; VGPRBlocks: 8
; NumSGPRsForWavesPerEU: 79
; NumVGPRsForWavesPerEU: 68
; Occupancy: 16
; WaveLimiterHint : 0
; COMPUTE_PGM_RSRC2:SCRATCH_EN: 1
; COMPUTE_PGM_RSRC2:USER_SGPR: 15
; COMPUTE_PGM_RSRC2:TRAP_HANDLER: 0
; COMPUTE_PGM_RSRC2:TGID_X_EN: 1
; COMPUTE_PGM_RSRC2:TGID_Y_EN: 0
; COMPUTE_PGM_RSRC2:TGID_Z_EN: 0
; COMPUTE_PGM_RSRC2:TIDIG_COMP_CNT: 0
	.section	.text._ZN2at6native39vectorized_templated_elementwise_kernelILi4ENS0_13BinaryFunctorIfffZZZNS0_12_GLOBAL__N_132hermite_polynomial_h_kernel_cudaERNS_18TensorIteratorBaseEENKUlvE_clEvENKUlvE0_clEvEUlffE_EESt5arrayIPcLm3EE23TrivialOffsetCalculatorILi2EjESD_ILi1EjENS0_6memory12LoadWithCastILi2EEENSG_13StoreWithCastILi1EEEfJN3c104HalfEfEEEviT0_T1_T2_T3_T4_T5_,"axG",@progbits,_ZN2at6native39vectorized_templated_elementwise_kernelILi4ENS0_13BinaryFunctorIfffZZZNS0_12_GLOBAL__N_132hermite_polynomial_h_kernel_cudaERNS_18TensorIteratorBaseEENKUlvE_clEvENKUlvE0_clEvEUlffE_EESt5arrayIPcLm3EE23TrivialOffsetCalculatorILi2EjESD_ILi1EjENS0_6memory12LoadWithCastILi2EEENSG_13StoreWithCastILi1EEEfJN3c104HalfEfEEEviT0_T1_T2_T3_T4_T5_,comdat
	.globl	_ZN2at6native39vectorized_templated_elementwise_kernelILi4ENS0_13BinaryFunctorIfffZZZNS0_12_GLOBAL__N_132hermite_polynomial_h_kernel_cudaERNS_18TensorIteratorBaseEENKUlvE_clEvENKUlvE0_clEvEUlffE_EESt5arrayIPcLm3EE23TrivialOffsetCalculatorILi2EjESD_ILi1EjENS0_6memory12LoadWithCastILi2EEENSG_13StoreWithCastILi1EEEfJN3c104HalfEfEEEviT0_T1_T2_T3_T4_T5_ ; -- Begin function _ZN2at6native39vectorized_templated_elementwise_kernelILi4ENS0_13BinaryFunctorIfffZZZNS0_12_GLOBAL__N_132hermite_polynomial_h_kernel_cudaERNS_18TensorIteratorBaseEENKUlvE_clEvENKUlvE0_clEvEUlffE_EESt5arrayIPcLm3EE23TrivialOffsetCalculatorILi2EjESD_ILi1EjENS0_6memory12LoadWithCastILi2EEENSG_13StoreWithCastILi1EEEfJN3c104HalfEfEEEviT0_T1_T2_T3_T4_T5_
	.p2align	8
	.type	_ZN2at6native39vectorized_templated_elementwise_kernelILi4ENS0_13BinaryFunctorIfffZZZNS0_12_GLOBAL__N_132hermite_polynomial_h_kernel_cudaERNS_18TensorIteratorBaseEENKUlvE_clEvENKUlvE0_clEvEUlffE_EESt5arrayIPcLm3EE23TrivialOffsetCalculatorILi2EjESD_ILi1EjENS0_6memory12LoadWithCastILi2EEENSG_13StoreWithCastILi1EEEfJN3c104HalfEfEEEviT0_T1_T2_T3_T4_T5_,@function
_ZN2at6native39vectorized_templated_elementwise_kernelILi4ENS0_13BinaryFunctorIfffZZZNS0_12_GLOBAL__N_132hermite_polynomial_h_kernel_cudaERNS_18TensorIteratorBaseEENKUlvE_clEvENKUlvE0_clEvEUlffE_EESt5arrayIPcLm3EE23TrivialOffsetCalculatorILi2EjESD_ILi1EjENS0_6memory12LoadWithCastILi2EEENSG_13StoreWithCastILi1EEEfJN3c104HalfEfEEEviT0_T1_T2_T3_T4_T5_: ; @_ZN2at6native39vectorized_templated_elementwise_kernelILi4ENS0_13BinaryFunctorIfffZZZNS0_12_GLOBAL__N_132hermite_polynomial_h_kernel_cudaERNS_18TensorIteratorBaseEENKUlvE_clEvENKUlvE0_clEvEUlffE_EESt5arrayIPcLm3EE23TrivialOffsetCalculatorILi2EjESD_ILi1EjENS0_6memory12LoadWithCastILi2EEENSG_13StoreWithCastILi1EEEfJN3c104HalfEfEEEviT0_T1_T2_T3_T4_T5_
; %bb.0:
	s_clause 0x3
	s_load_b32 s8, s[0:1], 0x38
	s_load_b32 s9, s[0:1], 0x0
	s_load_b64 s[2:3], s[0:1], 0x18
	s_load_b128 s[4:7], s[0:1], 0x8
	s_not_b32 s10, s15
	s_mov_b32 s32, 0
	s_waitcnt lgkmcnt(0)
	s_add_i32 s8, s8, s10
	s_delay_alu instid0(SALU_CYCLE_1) | instskip(NEXT) | instid1(SALU_CYCLE_1)
	s_lshl_b32 s8, s8, 14
	s_sub_i32 s12, s9, s8
	s_mov_b32 s9, -1
	s_cmpk_gt_i32 s12, 0x3fff
	s_cbranch_scc1 .LBB61_3
; %bb.1:
	s_and_b32 vcc_lo, exec_lo, s9
	s_cbranch_vccnz .LBB61_388
.LBB61_2:
	s_nop 0
	s_sendmsg sendmsg(MSG_DEALLOC_VGPRS)
	s_endpgm
.LBB61_3:
	s_ashr_i32 s9, s8, 31
	v_lshlrev_b32_e32 v9, 3, v0
	s_lshl_b64 s[10:11], s[8:9], 1
	v_or_b32_e32 v13, 0x400, v0
	s_add_u32 s10, s6, s10
	s_addc_u32 s11, s7, s11
	v_add_co_u32 v10, s13, s10, v9
	s_delay_alu instid0(VALU_DEP_1) | instskip(SKIP_1) | instid1(VALU_DEP_2)
	v_add_co_ci_u32_e64 v11, null, s11, 0, s13
	s_lshl_b64 s[8:9], s[8:9], 2
	v_add_co_u32 v5, vcc_lo, 0x1000, v10
	v_lshlrev_b32_e32 v53, 4, v0
	s_delay_alu instid0(VALU_DEP_3)
	v_add_co_ci_u32_e32 v6, vcc_lo, 0, v11, vcc_lo
	v_add_co_u32 v7, vcc_lo, 0x3000, v10
	s_add_u32 s16, s2, s8
	v_lshlrev_b32_e32 v12, 3, v13
	s_addc_u32 s17, s3, s9
	v_add_co_ci_u32_e32 v8, vcc_lo, 0, v11, vcc_lo
	global_load_b128 v[1:4], v53, s[16:17]
	s_clause 0x3
	global_load_b64 v[47:48], v9, s[10:11]
	global_load_b64 v[45:46], v[5:6], off
	global_load_b64 v[43:44], v12, s[10:11]
	global_load_b64 v[41:42], v[7:8], off
	v_or_b32_e32 v14, 0x800, v0
	v_add_co_u32 v5, vcc_lo, 0x5000, v10
	v_or_b32_e32 v15, 0xc00, v0
	v_add_co_u32 v17, s13, s16, v53
	v_add_co_ci_u32_e32 v6, vcc_lo, 0, v11, vcc_lo
	v_add_co_ci_u32_e64 v18, null, s17, 0, s13
	v_add_co_u32 v7, vcc_lo, 0x7000, v10
	v_lshlrev_b32_e32 v12, 3, v14
	v_add_co_ci_u32_e32 v8, vcc_lo, 0, v11, vcc_lo
	v_lshlrev_b32_e32 v16, 3, v15
	v_add_co_u32 v9, vcc_lo, 0x2000, v17
	v_add_co_ci_u32_e32 v10, vcc_lo, 0, v18, vcc_lo
	s_clause 0x3
	global_load_b64 v[39:40], v12, s[10:11]
	global_load_b64 v[37:38], v[5:6], off
	global_load_b64 v[35:36], v16, s[10:11]
	global_load_b64 v[33:34], v[7:8], off
	global_load_b128 v[9:12], v[9:10], off
	v_add_co_u32 v5, vcc_lo, 0x6000, v17
	v_add_co_ci_u32_e32 v6, vcc_lo, 0, v18, vcc_lo
	v_lshlrev_b32_e32 v54, 4, v13
	v_add_co_u32 v7, vcc_lo, 0xa000, v17
	v_lshlrev_b32_e32 v51, 4, v14
	v_add_co_ci_u32_e32 v8, vcc_lo, 0, v18, vcc_lo
	v_add_co_u32 v49, vcc_lo, 0xe000, v17
	v_lshlrev_b32_e32 v52, 4, v15
	v_add_co_ci_u32_e32 v50, vcc_lo, 0, v18, vcc_lo
	s_clause 0x5
	global_load_b128 v[17:20], v54, s[16:17]
	global_load_b128 v[25:28], v[5:6], off
	global_load_b128 v[29:32], v51, s[16:17]
	global_load_b128 v[21:24], v[7:8], off
	;; [unrolled: 2-line block ×3, first 2 shown]
	s_mov_b32 s13, exec_lo
	s_waitcnt vmcnt(15)
	v_trunc_f32_e32 v49, v1
	s_delay_alu instid0(VALU_DEP_1) | instskip(NEXT) | instid1(VALU_DEP_1)
	v_mul_f32_e64 v50, 0x2f800000, |v49|
	v_floor_f32_e32 v50, v50
	s_delay_alu instid0(VALU_DEP_1) | instskip(SKIP_2) | instid1(VALU_DEP_3)
	v_fma_f32 v55, 0xcf800000, v50, |v49|
	v_ashrrev_i32_e32 v49, 31, v49
	v_cvt_u32_f32_e32 v50, v50
	v_cvt_u32_f32_e32 v55, v55
	s_delay_alu instid0(VALU_DEP_2) | instskip(NEXT) | instid1(VALU_DEP_2)
	v_xor_b32_e32 v50, v50, v49
	v_xor_b32_e32 v55, v55, v49
	s_delay_alu instid0(VALU_DEP_1) | instskip(NEXT) | instid1(VALU_DEP_3)
	v_sub_co_u32 v55, vcc_lo, v55, v49
	v_sub_co_ci_u32_e32 v49, vcc_lo, v50, v49, vcc_lo
	v_cmp_class_f32_e64 vcc_lo, v1, 0x1f8
	s_delay_alu instid0(VALU_DEP_2) | instskip(NEXT) | instid1(VALU_DEP_4)
	v_dual_mov_b32 v1, 0 :: v_dual_cndmask_b32 v50, -1, v49
	v_cndmask_b32_e32 v49, -1, v55, vcc_lo
	s_delay_alu instid0(VALU_DEP_1)
	v_cmpx_lt_i64_e32 -1, v[49:50]
	s_cbranch_execz .LBB61_15
; %bb.4:
	v_mov_b32_e32 v1, 1.0
	s_mov_b32 s14, exec_lo
	v_cmpx_lt_i64_e32 0, v[49:50]
	s_cbranch_execz .LBB61_14
; %bb.5:
	s_waitcnt vmcnt(14)
	v_cvt_f32_f16_e32 v55, v47
                                        ; implicit-def: $vgpr1
	s_mov_b32 s10, exec_lo
	v_cmpx_ne_u64_e32 1, v[49:50]
	s_xor_b32 s16, exec_lo, s10
	s_cbranch_execz .LBB61_11
; %bb.6:
	v_mov_b32_e32 v1, 0x7fc00000
	s_mov_b32 s17, exec_lo
	v_cmpx_gt_u64_e32 0x81, v[49:50]
	s_cbranch_execz .LBB61_10
; %bb.7:
	v_dual_add_f32 v55, v55, v55 :: v_dual_mov_b32 v56, 1.0
	v_lshlrev_b64 v[49:50], 1, v[49:50]
	s_mov_b64 s[10:11], 2
	s_mov_b32 s18, 0
	s_delay_alu instid0(VALU_DEP_2)
	v_mov_b32_e32 v1, v55
	.p2align	6
.LBB61_8:                               ; =>This Inner Loop Header: Depth=1
	s_clz_i32_u32 s19, s11
	s_delay_alu instid0(SALU_CYCLE_1) | instskip(NEXT) | instid1(SALU_CYCLE_1)
	s_min_u32 s19, s19, 32
	s_lshl_b64 s[20:21], s[10:11], s19
	s_sub_i32 s19, 32, s19
	s_min_u32 s20, s20, 1
	s_delay_alu instid0(SALU_CYCLE_1) | instskip(SKIP_3) | instid1(SALU_CYCLE_1)
	s_or_b32 s20, s21, s20
	s_add_u32 s10, s10, 2
	v_cvt_f32_u32_e32 v57, s20
	s_addc_u32 s11, s11, 0
	v_cmp_ge_u64_e32 vcc_lo, s[10:11], v[49:50]
	s_delay_alu instid0(VALU_DEP_2) | instskip(SKIP_1) | instid1(VALU_DEP_1)
	v_ldexp_f32 v57, v57, s19
	s_or_b32 s18, vcc_lo, s18
	v_dual_mul_f32 v57, v56, v57 :: v_dual_mov_b32 v56, v1
	s_delay_alu instid0(VALU_DEP_1)
	v_fma_f32 v1, v55, v1, -v57
	s_and_not1_b32 exec_lo, exec_lo, s18
	s_cbranch_execnz .LBB61_8
; %bb.9:
	s_or_b32 exec_lo, exec_lo, s18
.LBB61_10:
	s_delay_alu instid0(SALU_CYCLE_1)
	s_or_b32 exec_lo, exec_lo, s17
                                        ; implicit-def: $vgpr55
.LBB61_11:
	s_and_not1_saveexec_b32 s10, s16
; %bb.12:
	v_add_f32_e32 v1, v55, v55
; %bb.13:
	s_or_b32 exec_lo, exec_lo, s10
.LBB61_14:
	s_delay_alu instid0(SALU_CYCLE_1)
	s_or_b32 exec_lo, exec_lo, s14
.LBB61_15:
	s_delay_alu instid0(SALU_CYCLE_1) | instskip(SKIP_2) | instid1(VALU_DEP_1)
	s_or_b32 exec_lo, exec_lo, s13
	v_trunc_f32_e32 v49, v2
	s_mov_b32 s13, exec_lo
	v_mul_f32_e64 v50, 0x2f800000, |v49|
	s_delay_alu instid0(VALU_DEP_1) | instskip(NEXT) | instid1(VALU_DEP_1)
	v_floor_f32_e32 v50, v50
	v_fma_f32 v55, 0xcf800000, v50, |v49|
	v_ashrrev_i32_e32 v49, 31, v49
	v_cvt_u32_f32_e32 v50, v50
	s_delay_alu instid0(VALU_DEP_3) | instskip(NEXT) | instid1(VALU_DEP_2)
	v_cvt_u32_f32_e32 v55, v55
	v_xor_b32_e32 v50, v50, v49
	s_delay_alu instid0(VALU_DEP_2) | instskip(NEXT) | instid1(VALU_DEP_1)
	v_xor_b32_e32 v55, v55, v49
	v_sub_co_u32 v55, vcc_lo, v55, v49
	s_delay_alu instid0(VALU_DEP_3) | instskip(SKIP_2) | instid1(VALU_DEP_3)
	v_sub_co_ci_u32_e32 v49, vcc_lo, v50, v49, vcc_lo
	v_cmp_class_f32_e64 vcc_lo, v2, 0x1f8
	v_mov_b32_e32 v2, 0
	v_dual_cndmask_b32 v50, -1, v49 :: v_dual_cndmask_b32 v49, -1, v55
	s_delay_alu instid0(VALU_DEP_1)
	v_cmpx_lt_i64_e32 -1, v[49:50]
	s_cbranch_execz .LBB61_27
; %bb.16:
	v_mov_b32_e32 v2, 1.0
	s_mov_b32 s14, exec_lo
	v_cmpx_lt_i64_e32 0, v[49:50]
	s_cbranch_execz .LBB61_26
; %bb.17:
	s_waitcnt vmcnt(14)
	v_lshrrev_b32_e32 v2, 16, v47
	s_mov_b32 s10, exec_lo
	s_delay_alu instid0(VALU_DEP_1)
	v_cvt_f32_f16_e32 v47, v2
	v_cmpx_ne_u64_e32 1, v[49:50]
	s_xor_b32 s16, exec_lo, s10
	s_cbranch_execz .LBB61_23
; %bb.18:
	v_mov_b32_e32 v2, 0x7fc00000
	s_mov_b32 s17, exec_lo
	v_cmpx_gt_u64_e32 0x81, v[49:50]
	s_cbranch_execz .LBB61_22
; %bb.19:
	v_add_f32_e32 v47, v47, v47
	v_lshlrev_b64 v[49:50], 1, v[49:50]
	v_mov_b32_e32 v55, 1.0
	s_mov_b64 s[10:11], 2
	s_mov_b32 s18, 0
	v_mov_b32_e32 v2, v47
	.p2align	6
.LBB61_20:                              ; =>This Inner Loop Header: Depth=1
	s_clz_i32_u32 s19, s11
	s_delay_alu instid0(SALU_CYCLE_1) | instskip(NEXT) | instid1(SALU_CYCLE_1)
	s_min_u32 s19, s19, 32
	s_lshl_b64 s[20:21], s[10:11], s19
	s_sub_i32 s19, 32, s19
	s_min_u32 s20, s20, 1
	s_delay_alu instid0(SALU_CYCLE_1) | instskip(SKIP_3) | instid1(SALU_CYCLE_1)
	s_or_b32 s20, s21, s20
	s_add_u32 s10, s10, 2
	v_cvt_f32_u32_e32 v56, s20
	s_addc_u32 s11, s11, 0
	v_cmp_ge_u64_e32 vcc_lo, s[10:11], v[49:50]
	s_delay_alu instid0(VALU_DEP_2) | instskip(SKIP_1) | instid1(VALU_DEP_1)
	v_ldexp_f32 v56, v56, s19
	s_or_b32 s18, vcc_lo, s18
	v_dual_mul_f32 v56, v55, v56 :: v_dual_mov_b32 v55, v2
	s_delay_alu instid0(VALU_DEP_1)
	v_fma_f32 v2, v47, v2, -v56
	s_and_not1_b32 exec_lo, exec_lo, s18
	s_cbranch_execnz .LBB61_20
; %bb.21:
	s_or_b32 exec_lo, exec_lo, s18
.LBB61_22:
	s_delay_alu instid0(SALU_CYCLE_1)
	s_or_b32 exec_lo, exec_lo, s17
                                        ; implicit-def: $vgpr47
.LBB61_23:
	s_and_not1_saveexec_b32 s10, s16
; %bb.24:
	v_add_f32_e32 v2, v47, v47
; %bb.25:
	s_or_b32 exec_lo, exec_lo, s10
.LBB61_26:
	s_delay_alu instid0(SALU_CYCLE_1)
	s_or_b32 exec_lo, exec_lo, s14
.LBB61_27:
	s_delay_alu instid0(SALU_CYCLE_1) | instskip(SKIP_3) | instid1(VALU_DEP_1)
	s_or_b32 exec_lo, exec_lo, s13
	s_waitcnt vmcnt(14)
	v_trunc_f32_e32 v47, v3
	s_mov_b32 s13, exec_lo
	v_mul_f32_e64 v49, 0x2f800000, |v47|
	s_delay_alu instid0(VALU_DEP_1) | instskip(NEXT) | instid1(VALU_DEP_1)
	v_floor_f32_e32 v49, v49
	v_fma_f32 v50, 0xcf800000, v49, |v47|
	v_ashrrev_i32_e32 v47, 31, v47
	v_cvt_u32_f32_e32 v49, v49
	s_delay_alu instid0(VALU_DEP_3) | instskip(NEXT) | instid1(VALU_DEP_2)
	v_cvt_u32_f32_e32 v50, v50
	v_xor_b32_e32 v49, v49, v47
	s_delay_alu instid0(VALU_DEP_2) | instskip(NEXT) | instid1(VALU_DEP_1)
	v_xor_b32_e32 v50, v50, v47
	v_sub_co_u32 v55, vcc_lo, v50, v47
	s_delay_alu instid0(VALU_DEP_3) | instskip(SKIP_1) | instid1(VALU_DEP_2)
	v_sub_co_ci_u32_e32 v47, vcc_lo, v49, v47, vcc_lo
	v_cmp_class_f32_e64 vcc_lo, v3, 0x1f8
	v_dual_mov_b32 v3, 0 :: v_dual_cndmask_b32 v50, -1, v47
	s_delay_alu instid0(VALU_DEP_4) | instskip(NEXT) | instid1(VALU_DEP_1)
	v_cndmask_b32_e32 v49, -1, v55, vcc_lo
	v_cmpx_lt_i64_e32 -1, v[49:50]
	s_cbranch_execz .LBB61_39
; %bb.28:
	v_mov_b32_e32 v3, 1.0
	s_mov_b32 s14, exec_lo
	v_cmpx_lt_i64_e32 0, v[49:50]
	s_cbranch_execz .LBB61_38
; %bb.29:
	v_cvt_f32_f16_e32 v47, v48
	s_mov_b32 s10, exec_lo
	v_cmpx_ne_u64_e32 1, v[49:50]
	s_xor_b32 s16, exec_lo, s10
	s_cbranch_execz .LBB61_35
; %bb.30:
	v_mov_b32_e32 v3, 0x7fc00000
	s_mov_b32 s17, exec_lo
	v_cmpx_gt_u64_e32 0x81, v[49:50]
	s_cbranch_execz .LBB61_34
; %bb.31:
	v_add_f32_e32 v47, v47, v47
	v_lshlrev_b64 v[49:50], 1, v[49:50]
	v_mov_b32_e32 v55, 1.0
	s_mov_b64 s[10:11], 2
	s_mov_b32 s18, 0
	v_mov_b32_e32 v3, v47
	.p2align	6
.LBB61_32:                              ; =>This Inner Loop Header: Depth=1
	s_clz_i32_u32 s19, s11
	s_delay_alu instid0(SALU_CYCLE_1) | instskip(NEXT) | instid1(SALU_CYCLE_1)
	s_min_u32 s19, s19, 32
	s_lshl_b64 s[20:21], s[10:11], s19
	s_sub_i32 s19, 32, s19
	s_min_u32 s20, s20, 1
	s_delay_alu instid0(SALU_CYCLE_1) | instskip(SKIP_3) | instid1(SALU_CYCLE_1)
	s_or_b32 s20, s21, s20
	s_add_u32 s10, s10, 2
	v_cvt_f32_u32_e32 v56, s20
	s_addc_u32 s11, s11, 0
	v_cmp_ge_u64_e32 vcc_lo, s[10:11], v[49:50]
	s_delay_alu instid0(VALU_DEP_2) | instskip(SKIP_1) | instid1(VALU_DEP_1)
	v_ldexp_f32 v56, v56, s19
	s_or_b32 s18, vcc_lo, s18
	v_mul_f32_e32 v56, v55, v56
	v_mov_b32_e32 v55, v3
	s_delay_alu instid0(VALU_DEP_2)
	v_fma_f32 v3, v47, v3, -v56
	s_and_not1_b32 exec_lo, exec_lo, s18
	s_cbranch_execnz .LBB61_32
; %bb.33:
	s_or_b32 exec_lo, exec_lo, s18
.LBB61_34:
	s_delay_alu instid0(SALU_CYCLE_1)
	s_or_b32 exec_lo, exec_lo, s17
                                        ; implicit-def: $vgpr47
.LBB61_35:
	s_and_not1_saveexec_b32 s10, s16
; %bb.36:
	v_add_f32_e32 v3, v47, v47
; %bb.37:
	s_or_b32 exec_lo, exec_lo, s10
.LBB61_38:
	s_delay_alu instid0(SALU_CYCLE_1)
	s_or_b32 exec_lo, exec_lo, s14
.LBB61_39:
	s_delay_alu instid0(SALU_CYCLE_1) | instskip(SKIP_2) | instid1(VALU_DEP_1)
	s_or_b32 exec_lo, exec_lo, s13
	v_trunc_f32_e32 v47, v4
	s_mov_b32 s13, exec_lo
	v_mul_f32_e64 v49, 0x2f800000, |v47|
	s_delay_alu instid0(VALU_DEP_1) | instskip(NEXT) | instid1(VALU_DEP_1)
	v_floor_f32_e32 v49, v49
	v_fma_f32 v50, 0xcf800000, v49, |v47|
	v_ashrrev_i32_e32 v47, 31, v47
	v_cvt_u32_f32_e32 v49, v49
	s_delay_alu instid0(VALU_DEP_3) | instskip(NEXT) | instid1(VALU_DEP_2)
	v_cvt_u32_f32_e32 v50, v50
	v_xor_b32_e32 v49, v49, v47
	s_delay_alu instid0(VALU_DEP_2) | instskip(NEXT) | instid1(VALU_DEP_1)
	v_xor_b32_e32 v50, v50, v47
	v_sub_co_u32 v55, vcc_lo, v50, v47
	s_delay_alu instid0(VALU_DEP_3) | instskip(SKIP_2) | instid1(VALU_DEP_3)
	v_sub_co_ci_u32_e32 v47, vcc_lo, v49, v47, vcc_lo
	v_cmp_class_f32_e64 vcc_lo, v4, 0x1f8
	v_mov_b32_e32 v4, 0
	v_cndmask_b32_e32 v50, -1, v47, vcc_lo
	v_cndmask_b32_e32 v49, -1, v55, vcc_lo
	s_delay_alu instid0(VALU_DEP_1)
	v_cmpx_lt_i64_e32 -1, v[49:50]
	s_cbranch_execz .LBB61_51
; %bb.40:
	v_mov_b32_e32 v4, 1.0
	s_mov_b32 s14, exec_lo
	v_cmpx_lt_i64_e32 0, v[49:50]
	s_cbranch_execz .LBB61_50
; %bb.41:
	v_lshrrev_b32_e32 v4, 16, v48
	s_mov_b32 s10, exec_lo
	s_delay_alu instid0(VALU_DEP_1)
	v_cvt_f32_f16_e32 v47, v4
	v_cmpx_ne_u64_e32 1, v[49:50]
	s_xor_b32 s16, exec_lo, s10
	s_cbranch_execz .LBB61_47
; %bb.42:
	v_mov_b32_e32 v4, 0x7fc00000
	s_mov_b32 s17, exec_lo
	v_cmpx_gt_u64_e32 0x81, v[49:50]
	s_cbranch_execz .LBB61_46
; %bb.43:
	v_add_f32_e32 v55, v47, v47
	v_lshlrev_b64 v[47:48], 1, v[49:50]
	v_mov_b32_e32 v49, 1.0
	s_mov_b64 s[10:11], 2
	s_mov_b32 s18, 0
	v_mov_b32_e32 v4, v55
	.p2align	6
.LBB61_44:                              ; =>This Inner Loop Header: Depth=1
	s_clz_i32_u32 s19, s11
	s_delay_alu instid0(SALU_CYCLE_1) | instskip(NEXT) | instid1(SALU_CYCLE_1)
	s_min_u32 s19, s19, 32
	s_lshl_b64 s[20:21], s[10:11], s19
	s_sub_i32 s19, 32, s19
	s_min_u32 s20, s20, 1
	s_delay_alu instid0(SALU_CYCLE_1) | instskip(SKIP_3) | instid1(SALU_CYCLE_1)
	s_or_b32 s20, s21, s20
	s_add_u32 s10, s10, 2
	v_cvt_f32_u32_e32 v50, s20
	s_addc_u32 s11, s11, 0
	v_cmp_ge_u64_e32 vcc_lo, s[10:11], v[47:48]
	s_delay_alu instid0(VALU_DEP_2) | instskip(SKIP_1) | instid1(VALU_DEP_1)
	v_ldexp_f32 v50, v50, s19
	s_or_b32 s18, vcc_lo, s18
	v_dual_mul_f32 v50, v49, v50 :: v_dual_mov_b32 v49, v4
	s_delay_alu instid0(VALU_DEP_1)
	v_fma_f32 v4, v55, v4, -v50
	s_and_not1_b32 exec_lo, exec_lo, s18
	s_cbranch_execnz .LBB61_44
; %bb.45:
	s_or_b32 exec_lo, exec_lo, s18
.LBB61_46:
	s_delay_alu instid0(SALU_CYCLE_1)
	s_or_b32 exec_lo, exec_lo, s17
                                        ; implicit-def: $vgpr47
.LBB61_47:
	s_and_not1_saveexec_b32 s10, s16
; %bb.48:
	v_add_f32_e32 v4, v47, v47
; %bb.49:
	s_or_b32 exec_lo, exec_lo, s10
.LBB61_50:
	s_delay_alu instid0(SALU_CYCLE_1)
	s_or_b32 exec_lo, exec_lo, s14
.LBB61_51:
	s_delay_alu instid0(SALU_CYCLE_1) | instskip(SKIP_3) | instid1(VALU_DEP_1)
	s_or_b32 exec_lo, exec_lo, s13
	s_waitcnt vmcnt(6)
	v_trunc_f32_e32 v47, v9
	s_mov_b32 s13, exec_lo
	v_mul_f32_e64 v48, 0x2f800000, |v47|
	s_delay_alu instid0(VALU_DEP_1) | instskip(NEXT) | instid1(VALU_DEP_1)
	v_floor_f32_e32 v48, v48
	v_fma_f32 v49, 0xcf800000, v48, |v47|
	v_ashrrev_i32_e32 v47, 31, v47
	v_cvt_u32_f32_e32 v48, v48
	s_delay_alu instid0(VALU_DEP_3) | instskip(NEXT) | instid1(VALU_DEP_2)
	v_cvt_u32_f32_e32 v49, v49
	v_xor_b32_e32 v48, v48, v47
	s_delay_alu instid0(VALU_DEP_2) | instskip(NEXT) | instid1(VALU_DEP_1)
	v_xor_b32_e32 v49, v49, v47
	v_sub_co_u32 v49, vcc_lo, v49, v47
	s_delay_alu instid0(VALU_DEP_3) | instskip(SKIP_1) | instid1(VALU_DEP_2)
	v_sub_co_ci_u32_e32 v47, vcc_lo, v48, v47, vcc_lo
	v_cmp_class_f32_e64 vcc_lo, v9, 0x1f8
	v_dual_mov_b32 v9, 0 :: v_dual_cndmask_b32 v48, -1, v47
	s_delay_alu instid0(VALU_DEP_4) | instskip(NEXT) | instid1(VALU_DEP_1)
	v_cndmask_b32_e32 v47, -1, v49, vcc_lo
	v_cmpx_lt_i64_e32 -1, v[47:48]
	s_cbranch_execz .LBB61_63
; %bb.52:
	v_mov_b32_e32 v9, 1.0
	s_mov_b32 s14, exec_lo
	v_cmpx_lt_i64_e32 0, v[47:48]
	s_cbranch_execz .LBB61_62
; %bb.53:
	v_cvt_f32_f16_e32 v49, v45
                                        ; implicit-def: $vgpr9
	s_mov_b32 s10, exec_lo
	v_cmpx_ne_u64_e32 1, v[47:48]
	s_xor_b32 s16, exec_lo, s10
	s_cbranch_execz .LBB61_59
; %bb.54:
	v_mov_b32_e32 v9, 0x7fc00000
	s_mov_b32 s17, exec_lo
	v_cmpx_gt_u64_e32 0x81, v[47:48]
	s_cbranch_execz .LBB61_58
; %bb.55:
	v_dual_add_f32 v49, v49, v49 :: v_dual_mov_b32 v50, 1.0
	v_lshlrev_b64 v[47:48], 1, v[47:48]
	s_mov_b64 s[10:11], 2
	s_mov_b32 s18, 0
	s_delay_alu instid0(VALU_DEP_2)
	v_mov_b32_e32 v9, v49
	.p2align	6
.LBB61_56:                              ; =>This Inner Loop Header: Depth=1
	s_clz_i32_u32 s19, s11
	s_delay_alu instid0(SALU_CYCLE_1) | instskip(NEXT) | instid1(SALU_CYCLE_1)
	s_min_u32 s19, s19, 32
	s_lshl_b64 s[20:21], s[10:11], s19
	s_sub_i32 s19, 32, s19
	s_min_u32 s20, s20, 1
	s_delay_alu instid0(SALU_CYCLE_1) | instskip(SKIP_3) | instid1(SALU_CYCLE_1)
	s_or_b32 s20, s21, s20
	s_add_u32 s10, s10, 2
	v_cvt_f32_u32_e32 v55, s20
	s_addc_u32 s11, s11, 0
	v_cmp_ge_u64_e32 vcc_lo, s[10:11], v[47:48]
	s_delay_alu instid0(VALU_DEP_2) | instskip(SKIP_1) | instid1(VALU_DEP_1)
	v_ldexp_f32 v55, v55, s19
	s_or_b32 s18, vcc_lo, s18
	v_dual_mul_f32 v55, v50, v55 :: v_dual_mov_b32 v50, v9
	s_delay_alu instid0(VALU_DEP_1)
	v_fma_f32 v9, v49, v9, -v55
	s_and_not1_b32 exec_lo, exec_lo, s18
	s_cbranch_execnz .LBB61_56
; %bb.57:
	s_or_b32 exec_lo, exec_lo, s18
.LBB61_58:
	s_delay_alu instid0(SALU_CYCLE_1)
	s_or_b32 exec_lo, exec_lo, s17
                                        ; implicit-def: $vgpr49
.LBB61_59:
	s_and_not1_saveexec_b32 s10, s16
; %bb.60:
	v_add_f32_e32 v9, v49, v49
; %bb.61:
	s_or_b32 exec_lo, exec_lo, s10
.LBB61_62:
	s_delay_alu instid0(SALU_CYCLE_1)
	s_or_b32 exec_lo, exec_lo, s14
.LBB61_63:
	s_delay_alu instid0(SALU_CYCLE_1) | instskip(SKIP_2) | instid1(VALU_DEP_1)
	s_or_b32 exec_lo, exec_lo, s13
	v_trunc_f32_e32 v47, v10
	s_mov_b32 s13, exec_lo
	v_mul_f32_e64 v48, 0x2f800000, |v47|
	s_delay_alu instid0(VALU_DEP_1) | instskip(NEXT) | instid1(VALU_DEP_1)
	v_floor_f32_e32 v48, v48
	v_fma_f32 v49, 0xcf800000, v48, |v47|
	v_ashrrev_i32_e32 v47, 31, v47
	v_cvt_u32_f32_e32 v48, v48
	s_delay_alu instid0(VALU_DEP_3) | instskip(NEXT) | instid1(VALU_DEP_2)
	v_cvt_u32_f32_e32 v49, v49
	v_xor_b32_e32 v48, v48, v47
	s_delay_alu instid0(VALU_DEP_2) | instskip(NEXT) | instid1(VALU_DEP_1)
	v_xor_b32_e32 v49, v49, v47
	v_sub_co_u32 v49, vcc_lo, v49, v47
	s_delay_alu instid0(VALU_DEP_3) | instskip(SKIP_2) | instid1(VALU_DEP_3)
	v_sub_co_ci_u32_e32 v47, vcc_lo, v48, v47, vcc_lo
	v_cmp_class_f32_e64 vcc_lo, v10, 0x1f8
	v_mov_b32_e32 v10, 0
	v_dual_cndmask_b32 v48, -1, v47 :: v_dual_cndmask_b32 v47, -1, v49
	s_delay_alu instid0(VALU_DEP_1)
	v_cmpx_lt_i64_e32 -1, v[47:48]
	s_cbranch_execz .LBB61_75
; %bb.64:
	v_mov_b32_e32 v10, 1.0
	s_mov_b32 s14, exec_lo
	v_cmpx_lt_i64_e32 0, v[47:48]
	s_cbranch_execz .LBB61_74
; %bb.65:
	v_lshrrev_b32_e32 v10, 16, v45
	s_mov_b32 s10, exec_lo
	s_delay_alu instid0(VALU_DEP_1)
	v_cvt_f32_f16_e32 v45, v10
	v_cmpx_ne_u64_e32 1, v[47:48]
	s_xor_b32 s16, exec_lo, s10
	s_cbranch_execz .LBB61_71
; %bb.66:
	v_mov_b32_e32 v10, 0x7fc00000
	s_mov_b32 s17, exec_lo
	v_cmpx_gt_u64_e32 0x81, v[47:48]
	s_cbranch_execz .LBB61_70
; %bb.67:
	v_add_f32_e32 v45, v45, v45
	v_lshlrev_b64 v[47:48], 1, v[47:48]
	v_mov_b32_e32 v49, 1.0
	s_mov_b64 s[10:11], 2
	s_mov_b32 s18, 0
	v_mov_b32_e32 v10, v45
	.p2align	6
.LBB61_68:                              ; =>This Inner Loop Header: Depth=1
	s_clz_i32_u32 s19, s11
	s_delay_alu instid0(SALU_CYCLE_1) | instskip(NEXT) | instid1(SALU_CYCLE_1)
	s_min_u32 s19, s19, 32
	s_lshl_b64 s[20:21], s[10:11], s19
	s_sub_i32 s19, 32, s19
	s_min_u32 s20, s20, 1
	s_delay_alu instid0(SALU_CYCLE_1) | instskip(SKIP_3) | instid1(SALU_CYCLE_1)
	s_or_b32 s20, s21, s20
	s_add_u32 s10, s10, 2
	v_cvt_f32_u32_e32 v50, s20
	s_addc_u32 s11, s11, 0
	v_cmp_ge_u64_e32 vcc_lo, s[10:11], v[47:48]
	s_delay_alu instid0(VALU_DEP_2) | instskip(SKIP_1) | instid1(VALU_DEP_1)
	v_ldexp_f32 v50, v50, s19
	s_or_b32 s18, vcc_lo, s18
	v_dual_mul_f32 v50, v49, v50 :: v_dual_mov_b32 v49, v10
	s_delay_alu instid0(VALU_DEP_1)
	v_fma_f32 v10, v45, v10, -v50
	s_and_not1_b32 exec_lo, exec_lo, s18
	s_cbranch_execnz .LBB61_68
; %bb.69:
	s_or_b32 exec_lo, exec_lo, s18
.LBB61_70:
	s_delay_alu instid0(SALU_CYCLE_1)
	s_or_b32 exec_lo, exec_lo, s17
                                        ; implicit-def: $vgpr45
.LBB61_71:
	s_and_not1_saveexec_b32 s10, s16
; %bb.72:
	v_add_f32_e32 v10, v45, v45
; %bb.73:
	s_or_b32 exec_lo, exec_lo, s10
.LBB61_74:
	s_delay_alu instid0(SALU_CYCLE_1)
	s_or_b32 exec_lo, exec_lo, s14
.LBB61_75:
	s_delay_alu instid0(SALU_CYCLE_1) | instskip(SKIP_2) | instid1(VALU_DEP_1)
	s_or_b32 exec_lo, exec_lo, s13
	v_trunc_f32_e32 v45, v11
	s_mov_b32 s13, exec_lo
	v_mul_f32_e64 v47, 0x2f800000, |v45|
	s_delay_alu instid0(VALU_DEP_1) | instskip(NEXT) | instid1(VALU_DEP_1)
	v_floor_f32_e32 v47, v47
	v_fma_f32 v48, 0xcf800000, v47, |v45|
	v_ashrrev_i32_e32 v45, 31, v45
	v_cvt_u32_f32_e32 v47, v47
	s_delay_alu instid0(VALU_DEP_3) | instskip(NEXT) | instid1(VALU_DEP_2)
	v_cvt_u32_f32_e32 v48, v48
	v_xor_b32_e32 v47, v47, v45
	s_delay_alu instid0(VALU_DEP_2) | instskip(NEXT) | instid1(VALU_DEP_1)
	v_xor_b32_e32 v48, v48, v45
	v_sub_co_u32 v49, vcc_lo, v48, v45
	s_delay_alu instid0(VALU_DEP_3) | instskip(SKIP_1) | instid1(VALU_DEP_2)
	v_sub_co_ci_u32_e32 v45, vcc_lo, v47, v45, vcc_lo
	v_cmp_class_f32_e64 vcc_lo, v11, 0x1f8
	v_dual_mov_b32 v11, 0 :: v_dual_cndmask_b32 v48, -1, v45
	s_delay_alu instid0(VALU_DEP_4) | instskip(NEXT) | instid1(VALU_DEP_1)
	v_cndmask_b32_e32 v47, -1, v49, vcc_lo
	v_cmpx_lt_i64_e32 -1, v[47:48]
	s_cbranch_execz .LBB61_87
; %bb.76:
	v_mov_b32_e32 v11, 1.0
	s_mov_b32 s14, exec_lo
	v_cmpx_lt_i64_e32 0, v[47:48]
	s_cbranch_execz .LBB61_86
; %bb.77:
	v_cvt_f32_f16_e32 v45, v46
	s_mov_b32 s10, exec_lo
	v_cmpx_ne_u64_e32 1, v[47:48]
	s_xor_b32 s16, exec_lo, s10
	s_cbranch_execz .LBB61_83
; %bb.78:
	v_mov_b32_e32 v11, 0x7fc00000
	s_mov_b32 s17, exec_lo
	v_cmpx_gt_u64_e32 0x81, v[47:48]
	s_cbranch_execz .LBB61_82
; %bb.79:
	v_add_f32_e32 v45, v45, v45
	v_lshlrev_b64 v[47:48], 1, v[47:48]
	v_mov_b32_e32 v49, 1.0
	s_mov_b64 s[10:11], 2
	s_mov_b32 s18, 0
	v_mov_b32_e32 v11, v45
	.p2align	6
.LBB61_80:                              ; =>This Inner Loop Header: Depth=1
	s_clz_i32_u32 s19, s11
	s_delay_alu instid0(SALU_CYCLE_1) | instskip(NEXT) | instid1(SALU_CYCLE_1)
	s_min_u32 s19, s19, 32
	s_lshl_b64 s[20:21], s[10:11], s19
	s_sub_i32 s19, 32, s19
	s_min_u32 s20, s20, 1
	s_delay_alu instid0(SALU_CYCLE_1) | instskip(SKIP_3) | instid1(SALU_CYCLE_1)
	s_or_b32 s20, s21, s20
	s_add_u32 s10, s10, 2
	v_cvt_f32_u32_e32 v50, s20
	s_addc_u32 s11, s11, 0
	v_cmp_ge_u64_e32 vcc_lo, s[10:11], v[47:48]
	s_delay_alu instid0(VALU_DEP_2) | instskip(SKIP_1) | instid1(VALU_DEP_1)
	v_ldexp_f32 v50, v50, s19
	s_or_b32 s18, vcc_lo, s18
	v_dual_mul_f32 v50, v49, v50 :: v_dual_mov_b32 v49, v11
	s_delay_alu instid0(VALU_DEP_1)
	v_fma_f32 v11, v45, v11, -v50
	s_and_not1_b32 exec_lo, exec_lo, s18
	s_cbranch_execnz .LBB61_80
; %bb.81:
	s_or_b32 exec_lo, exec_lo, s18
.LBB61_82:
	s_delay_alu instid0(SALU_CYCLE_1)
	s_or_b32 exec_lo, exec_lo, s17
                                        ; implicit-def: $vgpr45
.LBB61_83:
	s_and_not1_saveexec_b32 s10, s16
; %bb.84:
	v_add_f32_e32 v11, v45, v45
; %bb.85:
	s_or_b32 exec_lo, exec_lo, s10
.LBB61_86:
	s_delay_alu instid0(SALU_CYCLE_1)
	s_or_b32 exec_lo, exec_lo, s14
.LBB61_87:
	s_delay_alu instid0(SALU_CYCLE_1) | instskip(SKIP_2) | instid1(VALU_DEP_1)
	s_or_b32 exec_lo, exec_lo, s13
	v_trunc_f32_e32 v45, v12
	s_mov_b32 s13, exec_lo
	v_mul_f32_e64 v47, 0x2f800000, |v45|
	s_delay_alu instid0(VALU_DEP_1) | instskip(NEXT) | instid1(VALU_DEP_1)
	v_floor_f32_e32 v47, v47
	v_fma_f32 v48, 0xcf800000, v47, |v45|
	v_ashrrev_i32_e32 v45, 31, v45
	v_cvt_u32_f32_e32 v47, v47
	s_delay_alu instid0(VALU_DEP_3) | instskip(NEXT) | instid1(VALU_DEP_2)
	v_cvt_u32_f32_e32 v48, v48
	v_xor_b32_e32 v47, v47, v45
	s_delay_alu instid0(VALU_DEP_2) | instskip(NEXT) | instid1(VALU_DEP_1)
	v_xor_b32_e32 v48, v48, v45
	v_sub_co_u32 v49, vcc_lo, v48, v45
	s_delay_alu instid0(VALU_DEP_3) | instskip(SKIP_2) | instid1(VALU_DEP_3)
	v_sub_co_ci_u32_e32 v45, vcc_lo, v47, v45, vcc_lo
	v_cmp_class_f32_e64 vcc_lo, v12, 0x1f8
	v_mov_b32_e32 v12, 0
	v_cndmask_b32_e32 v48, -1, v45, vcc_lo
	v_cndmask_b32_e32 v47, -1, v49, vcc_lo
	s_delay_alu instid0(VALU_DEP_1)
	v_cmpx_lt_i64_e32 -1, v[47:48]
	s_cbranch_execz .LBB61_99
; %bb.88:
	v_mov_b32_e32 v12, 1.0
	s_mov_b32 s14, exec_lo
	v_cmpx_lt_i64_e32 0, v[47:48]
	s_cbranch_execz .LBB61_98
; %bb.89:
	v_lshrrev_b32_e32 v12, 16, v46
	s_mov_b32 s10, exec_lo
	s_delay_alu instid0(VALU_DEP_1)
	v_cvt_f32_f16_e32 v45, v12
	v_cmpx_ne_u64_e32 1, v[47:48]
	s_xor_b32 s16, exec_lo, s10
	s_cbranch_execz .LBB61_95
; %bb.90:
	v_mov_b32_e32 v12, 0x7fc00000
	s_mov_b32 s17, exec_lo
	v_cmpx_gt_u64_e32 0x81, v[47:48]
	s_cbranch_execz .LBB61_94
; %bb.91:
	v_add_f32_e32 v49, v45, v45
	v_lshlrev_b64 v[45:46], 1, v[47:48]
	v_mov_b32_e32 v47, 1.0
	s_mov_b64 s[10:11], 2
	s_mov_b32 s18, 0
	v_mov_b32_e32 v12, v49
	.p2align	6
.LBB61_92:                              ; =>This Inner Loop Header: Depth=1
	s_clz_i32_u32 s19, s11
	s_delay_alu instid0(SALU_CYCLE_1) | instskip(NEXT) | instid1(SALU_CYCLE_1)
	s_min_u32 s19, s19, 32
	s_lshl_b64 s[20:21], s[10:11], s19
	s_sub_i32 s19, 32, s19
	s_min_u32 s20, s20, 1
	s_delay_alu instid0(SALU_CYCLE_1) | instskip(SKIP_3) | instid1(SALU_CYCLE_1)
	s_or_b32 s20, s21, s20
	s_add_u32 s10, s10, 2
	v_cvt_f32_u32_e32 v48, s20
	s_addc_u32 s11, s11, 0
	v_cmp_ge_u64_e32 vcc_lo, s[10:11], v[45:46]
	s_delay_alu instid0(VALU_DEP_2) | instskip(SKIP_1) | instid1(VALU_DEP_1)
	v_ldexp_f32 v48, v48, s19
	s_or_b32 s18, vcc_lo, s18
	v_dual_mul_f32 v48, v47, v48 :: v_dual_mov_b32 v47, v12
	s_delay_alu instid0(VALU_DEP_1)
	v_fma_f32 v12, v49, v12, -v48
	s_and_not1_b32 exec_lo, exec_lo, s18
	s_cbranch_execnz .LBB61_92
; %bb.93:
	s_or_b32 exec_lo, exec_lo, s18
.LBB61_94:
	s_delay_alu instid0(SALU_CYCLE_1)
	s_or_b32 exec_lo, exec_lo, s17
                                        ; implicit-def: $vgpr45
.LBB61_95:
	s_and_not1_saveexec_b32 s10, s16
; %bb.96:
	v_add_f32_e32 v12, v45, v45
; %bb.97:
	s_or_b32 exec_lo, exec_lo, s10
.LBB61_98:
	s_delay_alu instid0(SALU_CYCLE_1)
	s_or_b32 exec_lo, exec_lo, s14
.LBB61_99:
	s_delay_alu instid0(SALU_CYCLE_1) | instskip(SKIP_3) | instid1(VALU_DEP_1)
	s_or_b32 exec_lo, exec_lo, s13
	s_waitcnt vmcnt(5)
	v_trunc_f32_e32 v45, v17
	s_mov_b32 s13, exec_lo
	v_mul_f32_e64 v46, 0x2f800000, |v45|
	s_delay_alu instid0(VALU_DEP_1) | instskip(NEXT) | instid1(VALU_DEP_1)
	v_floor_f32_e32 v46, v46
	v_fma_f32 v47, 0xcf800000, v46, |v45|
	v_ashrrev_i32_e32 v45, 31, v45
	v_cvt_u32_f32_e32 v46, v46
	s_delay_alu instid0(VALU_DEP_3) | instskip(NEXT) | instid1(VALU_DEP_2)
	v_cvt_u32_f32_e32 v47, v47
	v_xor_b32_e32 v46, v46, v45
	s_delay_alu instid0(VALU_DEP_2) | instskip(NEXT) | instid1(VALU_DEP_1)
	v_xor_b32_e32 v47, v47, v45
	v_sub_co_u32 v47, vcc_lo, v47, v45
	s_delay_alu instid0(VALU_DEP_3) | instskip(SKIP_1) | instid1(VALU_DEP_2)
	v_sub_co_ci_u32_e32 v45, vcc_lo, v46, v45, vcc_lo
	v_cmp_class_f32_e64 vcc_lo, v17, 0x1f8
	v_dual_mov_b32 v17, 0 :: v_dual_cndmask_b32 v46, -1, v45
	s_delay_alu instid0(VALU_DEP_4) | instskip(NEXT) | instid1(VALU_DEP_1)
	v_cndmask_b32_e32 v45, -1, v47, vcc_lo
	v_cmpx_lt_i64_e32 -1, v[45:46]
	s_cbranch_execz .LBB61_111
; %bb.100:
	v_mov_b32_e32 v17, 1.0
	s_mov_b32 s14, exec_lo
	v_cmpx_lt_i64_e32 0, v[45:46]
	s_cbranch_execz .LBB61_110
; %bb.101:
	v_cvt_f32_f16_e32 v47, v43
                                        ; implicit-def: $vgpr17
	s_mov_b32 s10, exec_lo
	v_cmpx_ne_u64_e32 1, v[45:46]
	s_xor_b32 s16, exec_lo, s10
	s_cbranch_execz .LBB61_107
; %bb.102:
	v_mov_b32_e32 v17, 0x7fc00000
	s_mov_b32 s17, exec_lo
	v_cmpx_gt_u64_e32 0x81, v[45:46]
	s_cbranch_execz .LBB61_106
; %bb.103:
	v_dual_add_f32 v47, v47, v47 :: v_dual_mov_b32 v48, 1.0
	v_lshlrev_b64 v[45:46], 1, v[45:46]
	s_mov_b64 s[10:11], 2
	s_mov_b32 s18, 0
	s_delay_alu instid0(VALU_DEP_2)
	v_mov_b32_e32 v17, v47
	.p2align	6
.LBB61_104:                             ; =>This Inner Loop Header: Depth=1
	s_clz_i32_u32 s19, s11
	s_delay_alu instid0(SALU_CYCLE_1) | instskip(NEXT) | instid1(SALU_CYCLE_1)
	s_min_u32 s19, s19, 32
	s_lshl_b64 s[20:21], s[10:11], s19
	s_sub_i32 s19, 32, s19
	s_min_u32 s20, s20, 1
	s_delay_alu instid0(SALU_CYCLE_1) | instskip(SKIP_3) | instid1(SALU_CYCLE_1)
	s_or_b32 s20, s21, s20
	s_add_u32 s10, s10, 2
	v_cvt_f32_u32_e32 v49, s20
	s_addc_u32 s11, s11, 0
	v_cmp_ge_u64_e32 vcc_lo, s[10:11], v[45:46]
	s_delay_alu instid0(VALU_DEP_2) | instskip(SKIP_1) | instid1(VALU_DEP_1)
	v_ldexp_f32 v49, v49, s19
	s_or_b32 s18, vcc_lo, s18
	v_dual_mul_f32 v49, v48, v49 :: v_dual_mov_b32 v48, v17
	s_delay_alu instid0(VALU_DEP_1)
	v_fma_f32 v17, v47, v17, -v49
	s_and_not1_b32 exec_lo, exec_lo, s18
	s_cbranch_execnz .LBB61_104
; %bb.105:
	s_or_b32 exec_lo, exec_lo, s18
.LBB61_106:
	s_delay_alu instid0(SALU_CYCLE_1)
	s_or_b32 exec_lo, exec_lo, s17
                                        ; implicit-def: $vgpr47
.LBB61_107:
	s_and_not1_saveexec_b32 s10, s16
; %bb.108:
	v_add_f32_e32 v17, v47, v47
; %bb.109:
	s_or_b32 exec_lo, exec_lo, s10
.LBB61_110:
	s_delay_alu instid0(SALU_CYCLE_1)
	s_or_b32 exec_lo, exec_lo, s14
.LBB61_111:
	s_delay_alu instid0(SALU_CYCLE_1) | instskip(SKIP_2) | instid1(VALU_DEP_1)
	s_or_b32 exec_lo, exec_lo, s13
	v_trunc_f32_e32 v45, v18
	s_mov_b32 s13, exec_lo
	v_mul_f32_e64 v46, 0x2f800000, |v45|
	s_delay_alu instid0(VALU_DEP_1) | instskip(NEXT) | instid1(VALU_DEP_1)
	v_floor_f32_e32 v46, v46
	v_fma_f32 v47, 0xcf800000, v46, |v45|
	v_ashrrev_i32_e32 v45, 31, v45
	v_cvt_u32_f32_e32 v46, v46
	s_delay_alu instid0(VALU_DEP_3) | instskip(NEXT) | instid1(VALU_DEP_2)
	v_cvt_u32_f32_e32 v47, v47
	v_xor_b32_e32 v46, v46, v45
	s_delay_alu instid0(VALU_DEP_2) | instskip(NEXT) | instid1(VALU_DEP_1)
	v_xor_b32_e32 v47, v47, v45
	v_sub_co_u32 v47, vcc_lo, v47, v45
	s_delay_alu instid0(VALU_DEP_3) | instskip(SKIP_2) | instid1(VALU_DEP_3)
	v_sub_co_ci_u32_e32 v45, vcc_lo, v46, v45, vcc_lo
	v_cmp_class_f32_e64 vcc_lo, v18, 0x1f8
	v_mov_b32_e32 v18, 0
	v_dual_cndmask_b32 v46, -1, v45 :: v_dual_cndmask_b32 v45, -1, v47
	s_delay_alu instid0(VALU_DEP_1)
	v_cmpx_lt_i64_e32 -1, v[45:46]
	s_cbranch_execz .LBB61_123
; %bb.112:
	v_mov_b32_e32 v18, 1.0
	s_mov_b32 s14, exec_lo
	v_cmpx_lt_i64_e32 0, v[45:46]
	s_cbranch_execz .LBB61_122
; %bb.113:
	v_lshrrev_b32_e32 v18, 16, v43
	s_mov_b32 s10, exec_lo
	s_delay_alu instid0(VALU_DEP_1)
	v_cvt_f32_f16_e32 v43, v18
	v_cmpx_ne_u64_e32 1, v[45:46]
	s_xor_b32 s16, exec_lo, s10
	s_cbranch_execz .LBB61_119
; %bb.114:
	v_mov_b32_e32 v18, 0x7fc00000
	s_mov_b32 s17, exec_lo
	v_cmpx_gt_u64_e32 0x81, v[45:46]
	s_cbranch_execz .LBB61_118
; %bb.115:
	v_add_f32_e32 v43, v43, v43
	v_lshlrev_b64 v[45:46], 1, v[45:46]
	v_mov_b32_e32 v47, 1.0
	s_mov_b64 s[10:11], 2
	s_mov_b32 s18, 0
	v_mov_b32_e32 v18, v43
	.p2align	6
.LBB61_116:                             ; =>This Inner Loop Header: Depth=1
	s_clz_i32_u32 s19, s11
	s_delay_alu instid0(SALU_CYCLE_1) | instskip(NEXT) | instid1(SALU_CYCLE_1)
	s_min_u32 s19, s19, 32
	s_lshl_b64 s[20:21], s[10:11], s19
	s_sub_i32 s19, 32, s19
	s_min_u32 s20, s20, 1
	s_delay_alu instid0(SALU_CYCLE_1) | instskip(SKIP_3) | instid1(SALU_CYCLE_1)
	s_or_b32 s20, s21, s20
	s_add_u32 s10, s10, 2
	v_cvt_f32_u32_e32 v48, s20
	s_addc_u32 s11, s11, 0
	v_cmp_ge_u64_e32 vcc_lo, s[10:11], v[45:46]
	s_delay_alu instid0(VALU_DEP_2) | instskip(SKIP_1) | instid1(VALU_DEP_1)
	v_ldexp_f32 v48, v48, s19
	s_or_b32 s18, vcc_lo, s18
	v_dual_mul_f32 v48, v47, v48 :: v_dual_mov_b32 v47, v18
	s_delay_alu instid0(VALU_DEP_1)
	v_fma_f32 v18, v43, v18, -v48
	s_and_not1_b32 exec_lo, exec_lo, s18
	s_cbranch_execnz .LBB61_116
; %bb.117:
	s_or_b32 exec_lo, exec_lo, s18
.LBB61_118:
	s_delay_alu instid0(SALU_CYCLE_1)
	s_or_b32 exec_lo, exec_lo, s17
                                        ; implicit-def: $vgpr43
.LBB61_119:
	s_and_not1_saveexec_b32 s10, s16
; %bb.120:
	v_add_f32_e32 v18, v43, v43
; %bb.121:
	s_or_b32 exec_lo, exec_lo, s10
.LBB61_122:
	s_delay_alu instid0(SALU_CYCLE_1)
	s_or_b32 exec_lo, exec_lo, s14
.LBB61_123:
	s_delay_alu instid0(SALU_CYCLE_1) | instskip(SKIP_2) | instid1(VALU_DEP_1)
	s_or_b32 exec_lo, exec_lo, s13
	v_trunc_f32_e32 v43, v19
	s_mov_b32 s13, exec_lo
	v_mul_f32_e64 v45, 0x2f800000, |v43|
	s_delay_alu instid0(VALU_DEP_1) | instskip(NEXT) | instid1(VALU_DEP_1)
	v_floor_f32_e32 v45, v45
	v_fma_f32 v46, 0xcf800000, v45, |v43|
	v_ashrrev_i32_e32 v43, 31, v43
	v_cvt_u32_f32_e32 v45, v45
	s_delay_alu instid0(VALU_DEP_3) | instskip(NEXT) | instid1(VALU_DEP_2)
	v_cvt_u32_f32_e32 v46, v46
	v_xor_b32_e32 v45, v45, v43
	s_delay_alu instid0(VALU_DEP_2) | instskip(NEXT) | instid1(VALU_DEP_1)
	v_xor_b32_e32 v46, v46, v43
	v_sub_co_u32 v47, vcc_lo, v46, v43
	s_delay_alu instid0(VALU_DEP_3) | instskip(SKIP_1) | instid1(VALU_DEP_2)
	v_sub_co_ci_u32_e32 v43, vcc_lo, v45, v43, vcc_lo
	v_cmp_class_f32_e64 vcc_lo, v19, 0x1f8
	v_dual_mov_b32 v19, 0 :: v_dual_cndmask_b32 v46, -1, v43
	s_delay_alu instid0(VALU_DEP_4) | instskip(NEXT) | instid1(VALU_DEP_1)
	v_cndmask_b32_e32 v45, -1, v47, vcc_lo
	v_cmpx_lt_i64_e32 -1, v[45:46]
	s_cbranch_execz .LBB61_135
; %bb.124:
	v_mov_b32_e32 v19, 1.0
	s_mov_b32 s14, exec_lo
	v_cmpx_lt_i64_e32 0, v[45:46]
	s_cbranch_execz .LBB61_134
; %bb.125:
	v_cvt_f32_f16_e32 v43, v44
	s_mov_b32 s10, exec_lo
	v_cmpx_ne_u64_e32 1, v[45:46]
	s_xor_b32 s16, exec_lo, s10
	s_cbranch_execz .LBB61_131
; %bb.126:
	v_mov_b32_e32 v19, 0x7fc00000
	s_mov_b32 s17, exec_lo
	v_cmpx_gt_u64_e32 0x81, v[45:46]
	s_cbranch_execz .LBB61_130
; %bb.127:
	v_add_f32_e32 v43, v43, v43
	v_lshlrev_b64 v[45:46], 1, v[45:46]
	v_mov_b32_e32 v47, 1.0
	s_mov_b64 s[10:11], 2
	s_mov_b32 s18, 0
	v_mov_b32_e32 v19, v43
	.p2align	6
.LBB61_128:                             ; =>This Inner Loop Header: Depth=1
	s_clz_i32_u32 s19, s11
	s_delay_alu instid0(SALU_CYCLE_1) | instskip(NEXT) | instid1(SALU_CYCLE_1)
	s_min_u32 s19, s19, 32
	s_lshl_b64 s[20:21], s[10:11], s19
	s_sub_i32 s19, 32, s19
	s_min_u32 s20, s20, 1
	s_delay_alu instid0(SALU_CYCLE_1) | instskip(SKIP_3) | instid1(SALU_CYCLE_1)
	s_or_b32 s20, s21, s20
	s_add_u32 s10, s10, 2
	v_cvt_f32_u32_e32 v48, s20
	s_addc_u32 s11, s11, 0
	v_cmp_ge_u64_e32 vcc_lo, s[10:11], v[45:46]
	s_delay_alu instid0(VALU_DEP_2) | instskip(SKIP_1) | instid1(VALU_DEP_1)
	v_ldexp_f32 v48, v48, s19
	s_or_b32 s18, vcc_lo, s18
	v_mul_f32_e32 v48, v47, v48
	v_mov_b32_e32 v47, v19
	s_delay_alu instid0(VALU_DEP_2)
	v_fma_f32 v19, v43, v19, -v48
	s_and_not1_b32 exec_lo, exec_lo, s18
	s_cbranch_execnz .LBB61_128
; %bb.129:
	s_or_b32 exec_lo, exec_lo, s18
.LBB61_130:
	s_delay_alu instid0(SALU_CYCLE_1)
	s_or_b32 exec_lo, exec_lo, s17
                                        ; implicit-def: $vgpr43
.LBB61_131:
	s_and_not1_saveexec_b32 s10, s16
; %bb.132:
	v_add_f32_e32 v19, v43, v43
; %bb.133:
	s_or_b32 exec_lo, exec_lo, s10
.LBB61_134:
	s_delay_alu instid0(SALU_CYCLE_1)
	s_or_b32 exec_lo, exec_lo, s14
.LBB61_135:
	s_delay_alu instid0(SALU_CYCLE_1) | instskip(SKIP_2) | instid1(VALU_DEP_1)
	s_or_b32 exec_lo, exec_lo, s13
	v_trunc_f32_e32 v43, v20
	s_mov_b32 s13, exec_lo
	v_mul_f32_e64 v45, 0x2f800000, |v43|
	s_delay_alu instid0(VALU_DEP_1) | instskip(NEXT) | instid1(VALU_DEP_1)
	v_floor_f32_e32 v45, v45
	v_fma_f32 v46, 0xcf800000, v45, |v43|
	v_ashrrev_i32_e32 v43, 31, v43
	v_cvt_u32_f32_e32 v45, v45
	s_delay_alu instid0(VALU_DEP_3) | instskip(NEXT) | instid1(VALU_DEP_2)
	v_cvt_u32_f32_e32 v46, v46
	v_xor_b32_e32 v45, v45, v43
	s_delay_alu instid0(VALU_DEP_2) | instskip(NEXT) | instid1(VALU_DEP_1)
	v_xor_b32_e32 v46, v46, v43
	v_sub_co_u32 v47, vcc_lo, v46, v43
	s_delay_alu instid0(VALU_DEP_3) | instskip(SKIP_2) | instid1(VALU_DEP_3)
	v_sub_co_ci_u32_e32 v43, vcc_lo, v45, v43, vcc_lo
	v_cmp_class_f32_e64 vcc_lo, v20, 0x1f8
	v_mov_b32_e32 v20, 0
	v_cndmask_b32_e32 v46, -1, v43, vcc_lo
	v_cndmask_b32_e32 v45, -1, v47, vcc_lo
	s_delay_alu instid0(VALU_DEP_1)
	v_cmpx_lt_i64_e32 -1, v[45:46]
	s_cbranch_execz .LBB61_147
; %bb.136:
	v_mov_b32_e32 v20, 1.0
	s_mov_b32 s14, exec_lo
	v_cmpx_lt_i64_e32 0, v[45:46]
	s_cbranch_execz .LBB61_146
; %bb.137:
	v_lshrrev_b32_e32 v20, 16, v44
	s_mov_b32 s10, exec_lo
	s_delay_alu instid0(VALU_DEP_1)
	v_cvt_f32_f16_e32 v43, v20
	v_cmpx_ne_u64_e32 1, v[45:46]
	s_xor_b32 s16, exec_lo, s10
	s_cbranch_execz .LBB61_143
; %bb.138:
	v_mov_b32_e32 v20, 0x7fc00000
	s_mov_b32 s17, exec_lo
	v_cmpx_gt_u64_e32 0x81, v[45:46]
	s_cbranch_execz .LBB61_142
; %bb.139:
	v_add_f32_e32 v47, v43, v43
	v_lshlrev_b64 v[43:44], 1, v[45:46]
	v_mov_b32_e32 v45, 1.0
	s_mov_b64 s[10:11], 2
	s_mov_b32 s18, 0
	v_mov_b32_e32 v20, v47
	.p2align	6
.LBB61_140:                             ; =>This Inner Loop Header: Depth=1
	s_clz_i32_u32 s19, s11
	s_delay_alu instid0(SALU_CYCLE_1) | instskip(NEXT) | instid1(SALU_CYCLE_1)
	s_min_u32 s19, s19, 32
	s_lshl_b64 s[20:21], s[10:11], s19
	s_sub_i32 s19, 32, s19
	s_min_u32 s20, s20, 1
	s_delay_alu instid0(SALU_CYCLE_1) | instskip(SKIP_3) | instid1(SALU_CYCLE_1)
	s_or_b32 s20, s21, s20
	s_add_u32 s10, s10, 2
	v_cvt_f32_u32_e32 v46, s20
	s_addc_u32 s11, s11, 0
	v_cmp_ge_u64_e32 vcc_lo, s[10:11], v[43:44]
	s_delay_alu instid0(VALU_DEP_2) | instskip(SKIP_1) | instid1(VALU_DEP_1)
	v_ldexp_f32 v46, v46, s19
	s_or_b32 s18, vcc_lo, s18
	v_dual_mul_f32 v46, v45, v46 :: v_dual_mov_b32 v45, v20
	s_delay_alu instid0(VALU_DEP_1)
	v_fma_f32 v20, v47, v20, -v46
	s_and_not1_b32 exec_lo, exec_lo, s18
	s_cbranch_execnz .LBB61_140
; %bb.141:
	s_or_b32 exec_lo, exec_lo, s18
.LBB61_142:
	s_delay_alu instid0(SALU_CYCLE_1)
	s_or_b32 exec_lo, exec_lo, s17
                                        ; implicit-def: $vgpr43
.LBB61_143:
	s_and_not1_saveexec_b32 s10, s16
; %bb.144:
	v_add_f32_e32 v20, v43, v43
; %bb.145:
	s_or_b32 exec_lo, exec_lo, s10
.LBB61_146:
	s_delay_alu instid0(SALU_CYCLE_1)
	s_or_b32 exec_lo, exec_lo, s14
.LBB61_147:
	s_delay_alu instid0(SALU_CYCLE_1) | instskip(SKIP_3) | instid1(VALU_DEP_1)
	s_or_b32 exec_lo, exec_lo, s13
	s_waitcnt vmcnt(4)
	v_trunc_f32_e32 v43, v25
	s_mov_b32 s13, exec_lo
	v_mul_f32_e64 v44, 0x2f800000, |v43|
	s_delay_alu instid0(VALU_DEP_1) | instskip(NEXT) | instid1(VALU_DEP_1)
	v_floor_f32_e32 v44, v44
	v_fma_f32 v45, 0xcf800000, v44, |v43|
	v_ashrrev_i32_e32 v43, 31, v43
	v_cvt_u32_f32_e32 v44, v44
	s_delay_alu instid0(VALU_DEP_3) | instskip(NEXT) | instid1(VALU_DEP_2)
	v_cvt_u32_f32_e32 v45, v45
	v_xor_b32_e32 v44, v44, v43
	s_delay_alu instid0(VALU_DEP_2) | instskip(NEXT) | instid1(VALU_DEP_1)
	v_xor_b32_e32 v45, v45, v43
	v_sub_co_u32 v45, vcc_lo, v45, v43
	s_delay_alu instid0(VALU_DEP_3) | instskip(SKIP_1) | instid1(VALU_DEP_2)
	v_sub_co_ci_u32_e32 v43, vcc_lo, v44, v43, vcc_lo
	v_cmp_class_f32_e64 vcc_lo, v25, 0x1f8
	v_dual_mov_b32 v25, 0 :: v_dual_cndmask_b32 v44, -1, v43
	s_delay_alu instid0(VALU_DEP_4) | instskip(NEXT) | instid1(VALU_DEP_1)
	v_cndmask_b32_e32 v43, -1, v45, vcc_lo
	v_cmpx_lt_i64_e32 -1, v[43:44]
	s_cbranch_execz .LBB61_159
; %bb.148:
	v_mov_b32_e32 v25, 1.0
	s_mov_b32 s14, exec_lo
	v_cmpx_lt_i64_e32 0, v[43:44]
	s_cbranch_execz .LBB61_158
; %bb.149:
	v_cvt_f32_f16_e32 v45, v41
                                        ; implicit-def: $vgpr25
	s_mov_b32 s10, exec_lo
	v_cmpx_ne_u64_e32 1, v[43:44]
	s_xor_b32 s16, exec_lo, s10
	s_cbranch_execz .LBB61_155
; %bb.150:
	v_mov_b32_e32 v25, 0x7fc00000
	s_mov_b32 s17, exec_lo
	v_cmpx_gt_u64_e32 0x81, v[43:44]
	s_cbranch_execz .LBB61_154
; %bb.151:
	v_dual_add_f32 v45, v45, v45 :: v_dual_mov_b32 v46, 1.0
	v_lshlrev_b64 v[43:44], 1, v[43:44]
	s_mov_b64 s[10:11], 2
	s_mov_b32 s18, 0
	s_delay_alu instid0(VALU_DEP_2)
	v_mov_b32_e32 v25, v45
	.p2align	6
.LBB61_152:                             ; =>This Inner Loop Header: Depth=1
	s_clz_i32_u32 s19, s11
	s_delay_alu instid0(SALU_CYCLE_1) | instskip(NEXT) | instid1(SALU_CYCLE_1)
	s_min_u32 s19, s19, 32
	s_lshl_b64 s[20:21], s[10:11], s19
	s_sub_i32 s19, 32, s19
	s_min_u32 s20, s20, 1
	s_delay_alu instid0(SALU_CYCLE_1) | instskip(SKIP_3) | instid1(SALU_CYCLE_1)
	s_or_b32 s20, s21, s20
	s_add_u32 s10, s10, 2
	v_cvt_f32_u32_e32 v47, s20
	s_addc_u32 s11, s11, 0
	v_cmp_ge_u64_e32 vcc_lo, s[10:11], v[43:44]
	s_delay_alu instid0(VALU_DEP_2) | instskip(SKIP_1) | instid1(VALU_DEP_1)
	v_ldexp_f32 v47, v47, s19
	s_or_b32 s18, vcc_lo, s18
	v_dual_mul_f32 v47, v46, v47 :: v_dual_mov_b32 v46, v25
	s_delay_alu instid0(VALU_DEP_1)
	v_fma_f32 v25, v45, v25, -v47
	s_and_not1_b32 exec_lo, exec_lo, s18
	s_cbranch_execnz .LBB61_152
; %bb.153:
	s_or_b32 exec_lo, exec_lo, s18
.LBB61_154:
	s_delay_alu instid0(SALU_CYCLE_1)
	s_or_b32 exec_lo, exec_lo, s17
                                        ; implicit-def: $vgpr45
.LBB61_155:
	s_and_not1_saveexec_b32 s10, s16
; %bb.156:
	v_add_f32_e32 v25, v45, v45
; %bb.157:
	s_or_b32 exec_lo, exec_lo, s10
.LBB61_158:
	s_delay_alu instid0(SALU_CYCLE_1)
	s_or_b32 exec_lo, exec_lo, s14
.LBB61_159:
	s_delay_alu instid0(SALU_CYCLE_1) | instskip(SKIP_2) | instid1(VALU_DEP_1)
	s_or_b32 exec_lo, exec_lo, s13
	v_trunc_f32_e32 v43, v26
	s_mov_b32 s13, exec_lo
	v_mul_f32_e64 v44, 0x2f800000, |v43|
	s_delay_alu instid0(VALU_DEP_1) | instskip(NEXT) | instid1(VALU_DEP_1)
	v_floor_f32_e32 v44, v44
	v_fma_f32 v45, 0xcf800000, v44, |v43|
	v_ashrrev_i32_e32 v43, 31, v43
	v_cvt_u32_f32_e32 v44, v44
	s_delay_alu instid0(VALU_DEP_3) | instskip(NEXT) | instid1(VALU_DEP_2)
	v_cvt_u32_f32_e32 v45, v45
	v_xor_b32_e32 v44, v44, v43
	s_delay_alu instid0(VALU_DEP_2) | instskip(NEXT) | instid1(VALU_DEP_1)
	v_xor_b32_e32 v45, v45, v43
	v_sub_co_u32 v45, vcc_lo, v45, v43
	s_delay_alu instid0(VALU_DEP_3) | instskip(SKIP_2) | instid1(VALU_DEP_3)
	v_sub_co_ci_u32_e32 v43, vcc_lo, v44, v43, vcc_lo
	v_cmp_class_f32_e64 vcc_lo, v26, 0x1f8
	v_mov_b32_e32 v26, 0
	v_dual_cndmask_b32 v44, -1, v43 :: v_dual_cndmask_b32 v43, -1, v45
	s_delay_alu instid0(VALU_DEP_1)
	v_cmpx_lt_i64_e32 -1, v[43:44]
	s_cbranch_execz .LBB61_171
; %bb.160:
	v_mov_b32_e32 v26, 1.0
	s_mov_b32 s14, exec_lo
	v_cmpx_lt_i64_e32 0, v[43:44]
	s_cbranch_execz .LBB61_170
; %bb.161:
	v_lshrrev_b32_e32 v26, 16, v41
	s_mov_b32 s10, exec_lo
	s_delay_alu instid0(VALU_DEP_1)
	v_cvt_f32_f16_e32 v41, v26
	v_cmpx_ne_u64_e32 1, v[43:44]
	s_xor_b32 s16, exec_lo, s10
	s_cbranch_execz .LBB61_167
; %bb.162:
	v_mov_b32_e32 v26, 0x7fc00000
	s_mov_b32 s17, exec_lo
	v_cmpx_gt_u64_e32 0x81, v[43:44]
	s_cbranch_execz .LBB61_166
; %bb.163:
	v_add_f32_e32 v41, v41, v41
	v_lshlrev_b64 v[43:44], 1, v[43:44]
	v_mov_b32_e32 v45, 1.0
	s_mov_b64 s[10:11], 2
	s_mov_b32 s18, 0
	v_mov_b32_e32 v26, v41
	.p2align	6
.LBB61_164:                             ; =>This Inner Loop Header: Depth=1
	s_clz_i32_u32 s19, s11
	s_delay_alu instid0(SALU_CYCLE_1) | instskip(NEXT) | instid1(SALU_CYCLE_1)
	s_min_u32 s19, s19, 32
	s_lshl_b64 s[20:21], s[10:11], s19
	s_sub_i32 s19, 32, s19
	s_min_u32 s20, s20, 1
	s_delay_alu instid0(SALU_CYCLE_1) | instskip(SKIP_3) | instid1(SALU_CYCLE_1)
	s_or_b32 s20, s21, s20
	s_add_u32 s10, s10, 2
	v_cvt_f32_u32_e32 v46, s20
	s_addc_u32 s11, s11, 0
	v_cmp_ge_u64_e32 vcc_lo, s[10:11], v[43:44]
	s_delay_alu instid0(VALU_DEP_2) | instskip(SKIP_1) | instid1(VALU_DEP_1)
	v_ldexp_f32 v46, v46, s19
	s_or_b32 s18, vcc_lo, s18
	v_dual_mul_f32 v46, v45, v46 :: v_dual_mov_b32 v45, v26
	s_delay_alu instid0(VALU_DEP_1)
	v_fma_f32 v26, v41, v26, -v46
	s_and_not1_b32 exec_lo, exec_lo, s18
	s_cbranch_execnz .LBB61_164
; %bb.165:
	s_or_b32 exec_lo, exec_lo, s18
.LBB61_166:
	s_delay_alu instid0(SALU_CYCLE_1)
	s_or_b32 exec_lo, exec_lo, s17
                                        ; implicit-def: $vgpr41
.LBB61_167:
	s_and_not1_saveexec_b32 s10, s16
; %bb.168:
	v_add_f32_e32 v26, v41, v41
; %bb.169:
	s_or_b32 exec_lo, exec_lo, s10
.LBB61_170:
	s_delay_alu instid0(SALU_CYCLE_1)
	s_or_b32 exec_lo, exec_lo, s14
.LBB61_171:
	s_delay_alu instid0(SALU_CYCLE_1) | instskip(SKIP_2) | instid1(VALU_DEP_1)
	s_or_b32 exec_lo, exec_lo, s13
	v_trunc_f32_e32 v41, v27
	s_mov_b32 s13, exec_lo
	v_mul_f32_e64 v43, 0x2f800000, |v41|
	s_delay_alu instid0(VALU_DEP_1) | instskip(NEXT) | instid1(VALU_DEP_1)
	v_floor_f32_e32 v43, v43
	v_fma_f32 v44, 0xcf800000, v43, |v41|
	v_ashrrev_i32_e32 v41, 31, v41
	v_cvt_u32_f32_e32 v43, v43
	s_delay_alu instid0(VALU_DEP_3) | instskip(NEXT) | instid1(VALU_DEP_2)
	v_cvt_u32_f32_e32 v44, v44
	v_xor_b32_e32 v43, v43, v41
	s_delay_alu instid0(VALU_DEP_2) | instskip(NEXT) | instid1(VALU_DEP_1)
	v_xor_b32_e32 v44, v44, v41
	v_sub_co_u32 v45, vcc_lo, v44, v41
	s_delay_alu instid0(VALU_DEP_3) | instskip(SKIP_1) | instid1(VALU_DEP_2)
	v_sub_co_ci_u32_e32 v41, vcc_lo, v43, v41, vcc_lo
	v_cmp_class_f32_e64 vcc_lo, v27, 0x1f8
	v_dual_mov_b32 v27, 0 :: v_dual_cndmask_b32 v44, -1, v41
	s_delay_alu instid0(VALU_DEP_4) | instskip(NEXT) | instid1(VALU_DEP_1)
	v_cndmask_b32_e32 v43, -1, v45, vcc_lo
	v_cmpx_lt_i64_e32 -1, v[43:44]
	s_cbranch_execz .LBB61_183
; %bb.172:
	v_mov_b32_e32 v27, 1.0
	s_mov_b32 s14, exec_lo
	v_cmpx_lt_i64_e32 0, v[43:44]
	s_cbranch_execz .LBB61_182
; %bb.173:
	v_cvt_f32_f16_e32 v41, v42
	s_mov_b32 s10, exec_lo
	v_cmpx_ne_u64_e32 1, v[43:44]
	s_xor_b32 s16, exec_lo, s10
	s_cbranch_execz .LBB61_179
; %bb.174:
	v_mov_b32_e32 v27, 0x7fc00000
	s_mov_b32 s17, exec_lo
	v_cmpx_gt_u64_e32 0x81, v[43:44]
	s_cbranch_execz .LBB61_178
; %bb.175:
	v_add_f32_e32 v41, v41, v41
	v_lshlrev_b64 v[43:44], 1, v[43:44]
	v_mov_b32_e32 v45, 1.0
	s_mov_b64 s[10:11], 2
	s_mov_b32 s18, 0
	v_mov_b32_e32 v27, v41
	.p2align	6
.LBB61_176:                             ; =>This Inner Loop Header: Depth=1
	s_clz_i32_u32 s19, s11
	s_delay_alu instid0(SALU_CYCLE_1) | instskip(NEXT) | instid1(SALU_CYCLE_1)
	s_min_u32 s19, s19, 32
	s_lshl_b64 s[20:21], s[10:11], s19
	s_sub_i32 s19, 32, s19
	s_min_u32 s20, s20, 1
	s_delay_alu instid0(SALU_CYCLE_1) | instskip(SKIP_3) | instid1(SALU_CYCLE_1)
	s_or_b32 s20, s21, s20
	s_add_u32 s10, s10, 2
	v_cvt_f32_u32_e32 v46, s20
	s_addc_u32 s11, s11, 0
	v_cmp_ge_u64_e32 vcc_lo, s[10:11], v[43:44]
	s_delay_alu instid0(VALU_DEP_2) | instskip(SKIP_1) | instid1(VALU_DEP_1)
	v_ldexp_f32 v46, v46, s19
	s_or_b32 s18, vcc_lo, s18
	v_dual_mul_f32 v46, v45, v46 :: v_dual_mov_b32 v45, v27
	s_delay_alu instid0(VALU_DEP_1)
	v_fma_f32 v27, v41, v27, -v46
	s_and_not1_b32 exec_lo, exec_lo, s18
	s_cbranch_execnz .LBB61_176
; %bb.177:
	s_or_b32 exec_lo, exec_lo, s18
.LBB61_178:
	s_delay_alu instid0(SALU_CYCLE_1)
	s_or_b32 exec_lo, exec_lo, s17
                                        ; implicit-def: $vgpr41
.LBB61_179:
	s_and_not1_saveexec_b32 s10, s16
; %bb.180:
	v_add_f32_e32 v27, v41, v41
; %bb.181:
	s_or_b32 exec_lo, exec_lo, s10
.LBB61_182:
	s_delay_alu instid0(SALU_CYCLE_1)
	s_or_b32 exec_lo, exec_lo, s14
.LBB61_183:
	s_delay_alu instid0(SALU_CYCLE_1) | instskip(SKIP_2) | instid1(VALU_DEP_1)
	s_or_b32 exec_lo, exec_lo, s13
	v_trunc_f32_e32 v41, v28
	s_mov_b32 s13, exec_lo
	v_mul_f32_e64 v43, 0x2f800000, |v41|
	s_delay_alu instid0(VALU_DEP_1) | instskip(NEXT) | instid1(VALU_DEP_1)
	v_floor_f32_e32 v43, v43
	v_fma_f32 v44, 0xcf800000, v43, |v41|
	v_ashrrev_i32_e32 v41, 31, v41
	v_cvt_u32_f32_e32 v43, v43
	s_delay_alu instid0(VALU_DEP_3) | instskip(NEXT) | instid1(VALU_DEP_2)
	v_cvt_u32_f32_e32 v44, v44
	v_xor_b32_e32 v43, v43, v41
	s_delay_alu instid0(VALU_DEP_2) | instskip(NEXT) | instid1(VALU_DEP_1)
	v_xor_b32_e32 v44, v44, v41
	v_sub_co_u32 v45, vcc_lo, v44, v41
	s_delay_alu instid0(VALU_DEP_3) | instskip(SKIP_2) | instid1(VALU_DEP_3)
	v_sub_co_ci_u32_e32 v41, vcc_lo, v43, v41, vcc_lo
	v_cmp_class_f32_e64 vcc_lo, v28, 0x1f8
	v_mov_b32_e32 v28, 0
	v_cndmask_b32_e32 v44, -1, v41, vcc_lo
	v_cndmask_b32_e32 v43, -1, v45, vcc_lo
	s_delay_alu instid0(VALU_DEP_1)
	v_cmpx_lt_i64_e32 -1, v[43:44]
	s_cbranch_execz .LBB61_195
; %bb.184:
	v_mov_b32_e32 v28, 1.0
	s_mov_b32 s14, exec_lo
	v_cmpx_lt_i64_e32 0, v[43:44]
	s_cbranch_execz .LBB61_194
; %bb.185:
	v_lshrrev_b32_e32 v28, 16, v42
	s_mov_b32 s10, exec_lo
	s_delay_alu instid0(VALU_DEP_1)
	v_cvt_f32_f16_e32 v41, v28
	v_cmpx_ne_u64_e32 1, v[43:44]
	s_xor_b32 s16, exec_lo, s10
	s_cbranch_execz .LBB61_191
; %bb.186:
	v_mov_b32_e32 v28, 0x7fc00000
	s_mov_b32 s17, exec_lo
	v_cmpx_gt_u64_e32 0x81, v[43:44]
	s_cbranch_execz .LBB61_190
; %bb.187:
	v_add_f32_e32 v45, v41, v41
	v_lshlrev_b64 v[41:42], 1, v[43:44]
	v_mov_b32_e32 v43, 1.0
	s_mov_b64 s[10:11], 2
	s_mov_b32 s18, 0
	v_mov_b32_e32 v28, v45
	.p2align	6
.LBB61_188:                             ; =>This Inner Loop Header: Depth=1
	s_clz_i32_u32 s19, s11
	s_delay_alu instid0(SALU_CYCLE_1) | instskip(NEXT) | instid1(SALU_CYCLE_1)
	s_min_u32 s19, s19, 32
	s_lshl_b64 s[20:21], s[10:11], s19
	s_sub_i32 s19, 32, s19
	s_min_u32 s20, s20, 1
	s_delay_alu instid0(SALU_CYCLE_1) | instskip(SKIP_3) | instid1(SALU_CYCLE_1)
	s_or_b32 s20, s21, s20
	s_add_u32 s10, s10, 2
	v_cvt_f32_u32_e32 v44, s20
	s_addc_u32 s11, s11, 0
	v_cmp_ge_u64_e32 vcc_lo, s[10:11], v[41:42]
	s_delay_alu instid0(VALU_DEP_2) | instskip(SKIP_1) | instid1(VALU_DEP_1)
	v_ldexp_f32 v44, v44, s19
	s_or_b32 s18, vcc_lo, s18
	v_dual_mul_f32 v44, v43, v44 :: v_dual_mov_b32 v43, v28
	s_delay_alu instid0(VALU_DEP_1)
	v_fma_f32 v28, v45, v28, -v44
	s_and_not1_b32 exec_lo, exec_lo, s18
	s_cbranch_execnz .LBB61_188
; %bb.189:
	s_or_b32 exec_lo, exec_lo, s18
.LBB61_190:
	s_delay_alu instid0(SALU_CYCLE_1)
	s_or_b32 exec_lo, exec_lo, s17
                                        ; implicit-def: $vgpr41
.LBB61_191:
	s_and_not1_saveexec_b32 s10, s16
; %bb.192:
	v_add_f32_e32 v28, v41, v41
; %bb.193:
	s_or_b32 exec_lo, exec_lo, s10
.LBB61_194:
	s_delay_alu instid0(SALU_CYCLE_1)
	s_or_b32 exec_lo, exec_lo, s14
.LBB61_195:
	s_delay_alu instid0(SALU_CYCLE_1) | instskip(SKIP_3) | instid1(VALU_DEP_1)
	s_or_b32 exec_lo, exec_lo, s13
	s_waitcnt vmcnt(3)
	v_trunc_f32_e32 v41, v29
	s_mov_b32 s13, exec_lo
	v_mul_f32_e64 v42, 0x2f800000, |v41|
	s_delay_alu instid0(VALU_DEP_1) | instskip(NEXT) | instid1(VALU_DEP_1)
	v_floor_f32_e32 v42, v42
	v_fma_f32 v43, 0xcf800000, v42, |v41|
	v_ashrrev_i32_e32 v41, 31, v41
	v_cvt_u32_f32_e32 v42, v42
	s_delay_alu instid0(VALU_DEP_3) | instskip(NEXT) | instid1(VALU_DEP_2)
	v_cvt_u32_f32_e32 v43, v43
	v_xor_b32_e32 v42, v42, v41
	s_delay_alu instid0(VALU_DEP_2) | instskip(NEXT) | instid1(VALU_DEP_1)
	v_xor_b32_e32 v43, v43, v41
	v_sub_co_u32 v43, vcc_lo, v43, v41
	s_delay_alu instid0(VALU_DEP_3) | instskip(SKIP_1) | instid1(VALU_DEP_2)
	v_sub_co_ci_u32_e32 v41, vcc_lo, v42, v41, vcc_lo
	v_cmp_class_f32_e64 vcc_lo, v29, 0x1f8
	v_dual_mov_b32 v29, 0 :: v_dual_cndmask_b32 v42, -1, v41
	s_delay_alu instid0(VALU_DEP_4) | instskip(NEXT) | instid1(VALU_DEP_1)
	v_cndmask_b32_e32 v41, -1, v43, vcc_lo
	v_cmpx_lt_i64_e32 -1, v[41:42]
	s_cbranch_execz .LBB61_207
; %bb.196:
	v_mov_b32_e32 v29, 1.0
	s_mov_b32 s14, exec_lo
	v_cmpx_lt_i64_e32 0, v[41:42]
	s_cbranch_execz .LBB61_206
; %bb.197:
	v_cvt_f32_f16_e32 v43, v39
                                        ; implicit-def: $vgpr29
	s_mov_b32 s10, exec_lo
	v_cmpx_ne_u64_e32 1, v[41:42]
	s_xor_b32 s16, exec_lo, s10
	s_cbranch_execz .LBB61_203
; %bb.198:
	v_mov_b32_e32 v29, 0x7fc00000
	s_mov_b32 s17, exec_lo
	v_cmpx_gt_u64_e32 0x81, v[41:42]
	s_cbranch_execz .LBB61_202
; %bb.199:
	v_dual_add_f32 v43, v43, v43 :: v_dual_mov_b32 v44, 1.0
	v_lshlrev_b64 v[41:42], 1, v[41:42]
	s_mov_b64 s[10:11], 2
	s_mov_b32 s18, 0
	s_delay_alu instid0(VALU_DEP_2)
	v_mov_b32_e32 v29, v43
	.p2align	6
.LBB61_200:                             ; =>This Inner Loop Header: Depth=1
	s_clz_i32_u32 s19, s11
	s_delay_alu instid0(SALU_CYCLE_1) | instskip(NEXT) | instid1(SALU_CYCLE_1)
	s_min_u32 s19, s19, 32
	s_lshl_b64 s[20:21], s[10:11], s19
	s_sub_i32 s19, 32, s19
	s_min_u32 s20, s20, 1
	s_delay_alu instid0(SALU_CYCLE_1) | instskip(SKIP_3) | instid1(SALU_CYCLE_1)
	s_or_b32 s20, s21, s20
	s_add_u32 s10, s10, 2
	v_cvt_f32_u32_e32 v45, s20
	s_addc_u32 s11, s11, 0
	v_cmp_ge_u64_e32 vcc_lo, s[10:11], v[41:42]
	s_delay_alu instid0(VALU_DEP_2) | instskip(SKIP_1) | instid1(VALU_DEP_1)
	v_ldexp_f32 v45, v45, s19
	s_or_b32 s18, vcc_lo, s18
	v_dual_mul_f32 v45, v44, v45 :: v_dual_mov_b32 v44, v29
	s_delay_alu instid0(VALU_DEP_1)
	v_fma_f32 v29, v43, v29, -v45
	s_and_not1_b32 exec_lo, exec_lo, s18
	s_cbranch_execnz .LBB61_200
; %bb.201:
	s_or_b32 exec_lo, exec_lo, s18
.LBB61_202:
	s_delay_alu instid0(SALU_CYCLE_1)
	s_or_b32 exec_lo, exec_lo, s17
                                        ; implicit-def: $vgpr43
.LBB61_203:
	s_and_not1_saveexec_b32 s10, s16
; %bb.204:
	v_add_f32_e32 v29, v43, v43
; %bb.205:
	s_or_b32 exec_lo, exec_lo, s10
.LBB61_206:
	s_delay_alu instid0(SALU_CYCLE_1)
	s_or_b32 exec_lo, exec_lo, s14
.LBB61_207:
	s_delay_alu instid0(SALU_CYCLE_1) | instskip(SKIP_2) | instid1(VALU_DEP_1)
	s_or_b32 exec_lo, exec_lo, s13
	v_trunc_f32_e32 v41, v30
	s_mov_b32 s13, exec_lo
	v_mul_f32_e64 v42, 0x2f800000, |v41|
	s_delay_alu instid0(VALU_DEP_1) | instskip(NEXT) | instid1(VALU_DEP_1)
	v_floor_f32_e32 v42, v42
	v_fma_f32 v43, 0xcf800000, v42, |v41|
	v_ashrrev_i32_e32 v41, 31, v41
	v_cvt_u32_f32_e32 v42, v42
	s_delay_alu instid0(VALU_DEP_3) | instskip(NEXT) | instid1(VALU_DEP_2)
	v_cvt_u32_f32_e32 v43, v43
	v_xor_b32_e32 v42, v42, v41
	s_delay_alu instid0(VALU_DEP_2) | instskip(NEXT) | instid1(VALU_DEP_1)
	v_xor_b32_e32 v43, v43, v41
	v_sub_co_u32 v43, vcc_lo, v43, v41
	s_delay_alu instid0(VALU_DEP_3) | instskip(SKIP_2) | instid1(VALU_DEP_3)
	v_sub_co_ci_u32_e32 v41, vcc_lo, v42, v41, vcc_lo
	v_cmp_class_f32_e64 vcc_lo, v30, 0x1f8
	v_mov_b32_e32 v30, 0
	v_dual_cndmask_b32 v42, -1, v41 :: v_dual_cndmask_b32 v41, -1, v43
	s_delay_alu instid0(VALU_DEP_1)
	v_cmpx_lt_i64_e32 -1, v[41:42]
	s_cbranch_execz .LBB61_219
; %bb.208:
	v_mov_b32_e32 v30, 1.0
	s_mov_b32 s14, exec_lo
	v_cmpx_lt_i64_e32 0, v[41:42]
	s_cbranch_execz .LBB61_218
; %bb.209:
	v_lshrrev_b32_e32 v30, 16, v39
	s_mov_b32 s10, exec_lo
	s_delay_alu instid0(VALU_DEP_1)
	v_cvt_f32_f16_e32 v39, v30
	v_cmpx_ne_u64_e32 1, v[41:42]
	s_xor_b32 s16, exec_lo, s10
	s_cbranch_execz .LBB61_215
; %bb.210:
	v_mov_b32_e32 v30, 0x7fc00000
	s_mov_b32 s17, exec_lo
	v_cmpx_gt_u64_e32 0x81, v[41:42]
	s_cbranch_execz .LBB61_214
; %bb.211:
	v_add_f32_e32 v39, v39, v39
	v_lshlrev_b64 v[41:42], 1, v[41:42]
	v_mov_b32_e32 v43, 1.0
	s_mov_b64 s[10:11], 2
	s_mov_b32 s18, 0
	v_mov_b32_e32 v30, v39
	.p2align	6
.LBB61_212:                             ; =>This Inner Loop Header: Depth=1
	s_clz_i32_u32 s19, s11
	s_delay_alu instid0(SALU_CYCLE_1) | instskip(NEXT) | instid1(SALU_CYCLE_1)
	s_min_u32 s19, s19, 32
	s_lshl_b64 s[20:21], s[10:11], s19
	s_sub_i32 s19, 32, s19
	s_min_u32 s20, s20, 1
	s_delay_alu instid0(SALU_CYCLE_1) | instskip(SKIP_3) | instid1(SALU_CYCLE_1)
	s_or_b32 s20, s21, s20
	s_add_u32 s10, s10, 2
	v_cvt_f32_u32_e32 v44, s20
	s_addc_u32 s11, s11, 0
	v_cmp_ge_u64_e32 vcc_lo, s[10:11], v[41:42]
	s_delay_alu instid0(VALU_DEP_2) | instskip(SKIP_1) | instid1(VALU_DEP_1)
	v_ldexp_f32 v44, v44, s19
	s_or_b32 s18, vcc_lo, s18
	v_dual_mul_f32 v44, v43, v44 :: v_dual_mov_b32 v43, v30
	s_delay_alu instid0(VALU_DEP_1)
	v_fma_f32 v30, v39, v30, -v44
	s_and_not1_b32 exec_lo, exec_lo, s18
	s_cbranch_execnz .LBB61_212
; %bb.213:
	s_or_b32 exec_lo, exec_lo, s18
.LBB61_214:
	s_delay_alu instid0(SALU_CYCLE_1)
	s_or_b32 exec_lo, exec_lo, s17
                                        ; implicit-def: $vgpr39
.LBB61_215:
	s_and_not1_saveexec_b32 s10, s16
; %bb.216:
	v_add_f32_e32 v30, v39, v39
; %bb.217:
	s_or_b32 exec_lo, exec_lo, s10
.LBB61_218:
	s_delay_alu instid0(SALU_CYCLE_1)
	s_or_b32 exec_lo, exec_lo, s14
.LBB61_219:
	s_delay_alu instid0(SALU_CYCLE_1) | instskip(SKIP_2) | instid1(VALU_DEP_1)
	s_or_b32 exec_lo, exec_lo, s13
	v_trunc_f32_e32 v39, v31
	s_mov_b32 s13, exec_lo
	v_mul_f32_e64 v41, 0x2f800000, |v39|
	s_delay_alu instid0(VALU_DEP_1) | instskip(NEXT) | instid1(VALU_DEP_1)
	v_floor_f32_e32 v41, v41
	v_fma_f32 v42, 0xcf800000, v41, |v39|
	v_ashrrev_i32_e32 v39, 31, v39
	v_cvt_u32_f32_e32 v41, v41
	s_delay_alu instid0(VALU_DEP_3) | instskip(NEXT) | instid1(VALU_DEP_2)
	v_cvt_u32_f32_e32 v42, v42
	v_xor_b32_e32 v41, v41, v39
	s_delay_alu instid0(VALU_DEP_2) | instskip(NEXT) | instid1(VALU_DEP_1)
	v_xor_b32_e32 v42, v42, v39
	v_sub_co_u32 v43, vcc_lo, v42, v39
	s_delay_alu instid0(VALU_DEP_3) | instskip(SKIP_1) | instid1(VALU_DEP_2)
	v_sub_co_ci_u32_e32 v39, vcc_lo, v41, v39, vcc_lo
	v_cmp_class_f32_e64 vcc_lo, v31, 0x1f8
	v_dual_mov_b32 v31, 0 :: v_dual_cndmask_b32 v42, -1, v39
	s_delay_alu instid0(VALU_DEP_4) | instskip(NEXT) | instid1(VALU_DEP_1)
	v_cndmask_b32_e32 v41, -1, v43, vcc_lo
	v_cmpx_lt_i64_e32 -1, v[41:42]
	s_cbranch_execz .LBB61_231
; %bb.220:
	v_mov_b32_e32 v31, 1.0
	s_mov_b32 s14, exec_lo
	v_cmpx_lt_i64_e32 0, v[41:42]
	s_cbranch_execz .LBB61_230
; %bb.221:
	v_cvt_f32_f16_e32 v39, v40
	s_mov_b32 s10, exec_lo
	v_cmpx_ne_u64_e32 1, v[41:42]
	s_xor_b32 s16, exec_lo, s10
	s_cbranch_execz .LBB61_227
; %bb.222:
	v_mov_b32_e32 v31, 0x7fc00000
	s_mov_b32 s17, exec_lo
	v_cmpx_gt_u64_e32 0x81, v[41:42]
	s_cbranch_execz .LBB61_226
; %bb.223:
	v_add_f32_e32 v39, v39, v39
	v_lshlrev_b64 v[41:42], 1, v[41:42]
	v_mov_b32_e32 v43, 1.0
	s_mov_b64 s[10:11], 2
	s_mov_b32 s18, 0
	v_mov_b32_e32 v31, v39
	.p2align	6
.LBB61_224:                             ; =>This Inner Loop Header: Depth=1
	s_clz_i32_u32 s19, s11
	s_delay_alu instid0(SALU_CYCLE_1) | instskip(NEXT) | instid1(SALU_CYCLE_1)
	s_min_u32 s19, s19, 32
	s_lshl_b64 s[20:21], s[10:11], s19
	s_sub_i32 s19, 32, s19
	s_min_u32 s20, s20, 1
	s_delay_alu instid0(SALU_CYCLE_1) | instskip(SKIP_3) | instid1(SALU_CYCLE_1)
	s_or_b32 s20, s21, s20
	s_add_u32 s10, s10, 2
	v_cvt_f32_u32_e32 v44, s20
	s_addc_u32 s11, s11, 0
	v_cmp_ge_u64_e32 vcc_lo, s[10:11], v[41:42]
	s_delay_alu instid0(VALU_DEP_2) | instskip(SKIP_1) | instid1(VALU_DEP_1)
	v_ldexp_f32 v44, v44, s19
	s_or_b32 s18, vcc_lo, s18
	v_mul_f32_e32 v44, v43, v44
	v_mov_b32_e32 v43, v31
	s_delay_alu instid0(VALU_DEP_2)
	v_fma_f32 v31, v39, v31, -v44
	s_and_not1_b32 exec_lo, exec_lo, s18
	s_cbranch_execnz .LBB61_224
; %bb.225:
	s_or_b32 exec_lo, exec_lo, s18
.LBB61_226:
	s_delay_alu instid0(SALU_CYCLE_1)
	s_or_b32 exec_lo, exec_lo, s17
                                        ; implicit-def: $vgpr39
.LBB61_227:
	s_and_not1_saveexec_b32 s10, s16
; %bb.228:
	v_add_f32_e32 v31, v39, v39
; %bb.229:
	s_or_b32 exec_lo, exec_lo, s10
.LBB61_230:
	s_delay_alu instid0(SALU_CYCLE_1)
	s_or_b32 exec_lo, exec_lo, s14
.LBB61_231:
	s_delay_alu instid0(SALU_CYCLE_1) | instskip(SKIP_2) | instid1(VALU_DEP_1)
	s_or_b32 exec_lo, exec_lo, s13
	v_trunc_f32_e32 v39, v32
	s_mov_b32 s13, exec_lo
	v_mul_f32_e64 v41, 0x2f800000, |v39|
	s_delay_alu instid0(VALU_DEP_1) | instskip(NEXT) | instid1(VALU_DEP_1)
	v_floor_f32_e32 v41, v41
	v_fma_f32 v42, 0xcf800000, v41, |v39|
	v_ashrrev_i32_e32 v39, 31, v39
	v_cvt_u32_f32_e32 v41, v41
	s_delay_alu instid0(VALU_DEP_3) | instskip(NEXT) | instid1(VALU_DEP_2)
	v_cvt_u32_f32_e32 v42, v42
	v_xor_b32_e32 v41, v41, v39
	s_delay_alu instid0(VALU_DEP_2) | instskip(NEXT) | instid1(VALU_DEP_1)
	v_xor_b32_e32 v42, v42, v39
	v_sub_co_u32 v43, vcc_lo, v42, v39
	s_delay_alu instid0(VALU_DEP_3) | instskip(SKIP_2) | instid1(VALU_DEP_3)
	v_sub_co_ci_u32_e32 v39, vcc_lo, v41, v39, vcc_lo
	v_cmp_class_f32_e64 vcc_lo, v32, 0x1f8
	v_mov_b32_e32 v32, 0
	v_cndmask_b32_e32 v42, -1, v39, vcc_lo
	v_cndmask_b32_e32 v41, -1, v43, vcc_lo
	s_delay_alu instid0(VALU_DEP_1)
	v_cmpx_lt_i64_e32 -1, v[41:42]
	s_cbranch_execz .LBB61_243
; %bb.232:
	v_mov_b32_e32 v32, 1.0
	s_mov_b32 s14, exec_lo
	v_cmpx_lt_i64_e32 0, v[41:42]
	s_cbranch_execz .LBB61_242
; %bb.233:
	v_lshrrev_b32_e32 v32, 16, v40
	s_mov_b32 s10, exec_lo
	s_delay_alu instid0(VALU_DEP_1)
	v_cvt_f32_f16_e32 v39, v32
	v_cmpx_ne_u64_e32 1, v[41:42]
	s_xor_b32 s16, exec_lo, s10
	s_cbranch_execz .LBB61_239
; %bb.234:
	v_mov_b32_e32 v32, 0x7fc00000
	s_mov_b32 s17, exec_lo
	v_cmpx_gt_u64_e32 0x81, v[41:42]
	s_cbranch_execz .LBB61_238
; %bb.235:
	v_add_f32_e32 v43, v39, v39
	v_lshlrev_b64 v[39:40], 1, v[41:42]
	v_mov_b32_e32 v41, 1.0
	s_mov_b64 s[10:11], 2
	s_mov_b32 s18, 0
	v_mov_b32_e32 v32, v43
	.p2align	6
.LBB61_236:                             ; =>This Inner Loop Header: Depth=1
	s_clz_i32_u32 s19, s11
	s_delay_alu instid0(SALU_CYCLE_1) | instskip(NEXT) | instid1(SALU_CYCLE_1)
	s_min_u32 s19, s19, 32
	s_lshl_b64 s[20:21], s[10:11], s19
	s_sub_i32 s19, 32, s19
	s_min_u32 s20, s20, 1
	s_delay_alu instid0(SALU_CYCLE_1) | instskip(SKIP_3) | instid1(SALU_CYCLE_1)
	s_or_b32 s20, s21, s20
	s_add_u32 s10, s10, 2
	v_cvt_f32_u32_e32 v42, s20
	s_addc_u32 s11, s11, 0
	v_cmp_ge_u64_e32 vcc_lo, s[10:11], v[39:40]
	s_delay_alu instid0(VALU_DEP_2) | instskip(SKIP_1) | instid1(VALU_DEP_1)
	v_ldexp_f32 v42, v42, s19
	s_or_b32 s18, vcc_lo, s18
	v_dual_mul_f32 v42, v41, v42 :: v_dual_mov_b32 v41, v32
	s_delay_alu instid0(VALU_DEP_1)
	v_fma_f32 v32, v43, v32, -v42
	s_and_not1_b32 exec_lo, exec_lo, s18
	s_cbranch_execnz .LBB61_236
; %bb.237:
	s_or_b32 exec_lo, exec_lo, s18
.LBB61_238:
	s_delay_alu instid0(SALU_CYCLE_1)
	s_or_b32 exec_lo, exec_lo, s17
                                        ; implicit-def: $vgpr39
.LBB61_239:
	s_and_not1_saveexec_b32 s10, s16
; %bb.240:
	v_add_f32_e32 v32, v39, v39
; %bb.241:
	s_or_b32 exec_lo, exec_lo, s10
.LBB61_242:
	s_delay_alu instid0(SALU_CYCLE_1)
	s_or_b32 exec_lo, exec_lo, s14
.LBB61_243:
	s_delay_alu instid0(SALU_CYCLE_1) | instskip(SKIP_3) | instid1(VALU_DEP_1)
	s_or_b32 exec_lo, exec_lo, s13
	s_waitcnt vmcnt(2)
	v_trunc_f32_e32 v39, v21
	s_mov_b32 s13, exec_lo
	v_mul_f32_e64 v40, 0x2f800000, |v39|
	s_delay_alu instid0(VALU_DEP_1) | instskip(NEXT) | instid1(VALU_DEP_1)
	v_floor_f32_e32 v40, v40
	v_fma_f32 v41, 0xcf800000, v40, |v39|
	v_ashrrev_i32_e32 v39, 31, v39
	v_cvt_u32_f32_e32 v40, v40
	s_delay_alu instid0(VALU_DEP_3) | instskip(NEXT) | instid1(VALU_DEP_2)
	v_cvt_u32_f32_e32 v41, v41
	v_xor_b32_e32 v40, v40, v39
	s_delay_alu instid0(VALU_DEP_2) | instskip(NEXT) | instid1(VALU_DEP_1)
	v_xor_b32_e32 v41, v41, v39
	v_sub_co_u32 v41, vcc_lo, v41, v39
	s_delay_alu instid0(VALU_DEP_3) | instskip(SKIP_1) | instid1(VALU_DEP_2)
	v_sub_co_ci_u32_e32 v39, vcc_lo, v40, v39, vcc_lo
	v_cmp_class_f32_e64 vcc_lo, v21, 0x1f8
	v_dual_mov_b32 v21, 0 :: v_dual_cndmask_b32 v40, -1, v39
	s_delay_alu instid0(VALU_DEP_4) | instskip(NEXT) | instid1(VALU_DEP_1)
	v_cndmask_b32_e32 v39, -1, v41, vcc_lo
	v_cmpx_lt_i64_e32 -1, v[39:40]
	s_cbranch_execz .LBB61_255
; %bb.244:
	v_mov_b32_e32 v21, 1.0
	s_mov_b32 s14, exec_lo
	v_cmpx_lt_i64_e32 0, v[39:40]
	s_cbranch_execz .LBB61_254
; %bb.245:
	v_cvt_f32_f16_e32 v41, v37
                                        ; implicit-def: $vgpr21
	s_mov_b32 s10, exec_lo
	v_cmpx_ne_u64_e32 1, v[39:40]
	s_xor_b32 s16, exec_lo, s10
	s_cbranch_execz .LBB61_251
; %bb.246:
	v_mov_b32_e32 v21, 0x7fc00000
	s_mov_b32 s17, exec_lo
	v_cmpx_gt_u64_e32 0x81, v[39:40]
	s_cbranch_execz .LBB61_250
; %bb.247:
	v_dual_add_f32 v41, v41, v41 :: v_dual_mov_b32 v42, 1.0
	v_lshlrev_b64 v[39:40], 1, v[39:40]
	s_mov_b64 s[10:11], 2
	s_mov_b32 s18, 0
	s_delay_alu instid0(VALU_DEP_2)
	v_mov_b32_e32 v21, v41
	.p2align	6
.LBB61_248:                             ; =>This Inner Loop Header: Depth=1
	s_clz_i32_u32 s19, s11
	s_delay_alu instid0(SALU_CYCLE_1) | instskip(NEXT) | instid1(SALU_CYCLE_1)
	s_min_u32 s19, s19, 32
	s_lshl_b64 s[20:21], s[10:11], s19
	s_sub_i32 s19, 32, s19
	s_min_u32 s20, s20, 1
	s_delay_alu instid0(SALU_CYCLE_1) | instskip(SKIP_3) | instid1(SALU_CYCLE_1)
	s_or_b32 s20, s21, s20
	s_add_u32 s10, s10, 2
	v_cvt_f32_u32_e32 v43, s20
	s_addc_u32 s11, s11, 0
	v_cmp_ge_u64_e32 vcc_lo, s[10:11], v[39:40]
	s_delay_alu instid0(VALU_DEP_2) | instskip(SKIP_1) | instid1(VALU_DEP_1)
	v_ldexp_f32 v43, v43, s19
	s_or_b32 s18, vcc_lo, s18
	v_dual_mul_f32 v43, v42, v43 :: v_dual_mov_b32 v42, v21
	s_delay_alu instid0(VALU_DEP_1)
	v_fma_f32 v21, v41, v21, -v43
	s_and_not1_b32 exec_lo, exec_lo, s18
	s_cbranch_execnz .LBB61_248
; %bb.249:
	s_or_b32 exec_lo, exec_lo, s18
.LBB61_250:
	s_delay_alu instid0(SALU_CYCLE_1)
	s_or_b32 exec_lo, exec_lo, s17
                                        ; implicit-def: $vgpr41
.LBB61_251:
	s_and_not1_saveexec_b32 s10, s16
; %bb.252:
	v_add_f32_e32 v21, v41, v41
; %bb.253:
	s_or_b32 exec_lo, exec_lo, s10
.LBB61_254:
	s_delay_alu instid0(SALU_CYCLE_1)
	s_or_b32 exec_lo, exec_lo, s14
.LBB61_255:
	s_delay_alu instid0(SALU_CYCLE_1) | instskip(SKIP_2) | instid1(VALU_DEP_1)
	s_or_b32 exec_lo, exec_lo, s13
	v_trunc_f32_e32 v39, v22
	s_mov_b32 s13, exec_lo
	v_mul_f32_e64 v40, 0x2f800000, |v39|
	s_delay_alu instid0(VALU_DEP_1) | instskip(NEXT) | instid1(VALU_DEP_1)
	v_floor_f32_e32 v40, v40
	v_fma_f32 v41, 0xcf800000, v40, |v39|
	v_ashrrev_i32_e32 v39, 31, v39
	v_cvt_u32_f32_e32 v40, v40
	s_delay_alu instid0(VALU_DEP_3) | instskip(NEXT) | instid1(VALU_DEP_2)
	v_cvt_u32_f32_e32 v41, v41
	v_xor_b32_e32 v40, v40, v39
	s_delay_alu instid0(VALU_DEP_2) | instskip(NEXT) | instid1(VALU_DEP_1)
	v_xor_b32_e32 v41, v41, v39
	v_sub_co_u32 v41, vcc_lo, v41, v39
	s_delay_alu instid0(VALU_DEP_3) | instskip(SKIP_2) | instid1(VALU_DEP_3)
	v_sub_co_ci_u32_e32 v39, vcc_lo, v40, v39, vcc_lo
	v_cmp_class_f32_e64 vcc_lo, v22, 0x1f8
	v_mov_b32_e32 v22, 0
	v_dual_cndmask_b32 v40, -1, v39 :: v_dual_cndmask_b32 v39, -1, v41
	s_delay_alu instid0(VALU_DEP_1)
	v_cmpx_lt_i64_e32 -1, v[39:40]
	s_cbranch_execz .LBB61_267
; %bb.256:
	v_mov_b32_e32 v22, 1.0
	s_mov_b32 s14, exec_lo
	v_cmpx_lt_i64_e32 0, v[39:40]
	s_cbranch_execz .LBB61_266
; %bb.257:
	v_lshrrev_b32_e32 v22, 16, v37
	s_mov_b32 s10, exec_lo
	s_delay_alu instid0(VALU_DEP_1)
	v_cvt_f32_f16_e32 v37, v22
	v_cmpx_ne_u64_e32 1, v[39:40]
	s_xor_b32 s16, exec_lo, s10
	s_cbranch_execz .LBB61_263
; %bb.258:
	v_mov_b32_e32 v22, 0x7fc00000
	s_mov_b32 s17, exec_lo
	v_cmpx_gt_u64_e32 0x81, v[39:40]
	s_cbranch_execz .LBB61_262
; %bb.259:
	v_add_f32_e32 v37, v37, v37
	v_lshlrev_b64 v[39:40], 1, v[39:40]
	v_mov_b32_e32 v41, 1.0
	s_mov_b64 s[10:11], 2
	s_mov_b32 s18, 0
	v_mov_b32_e32 v22, v37
	.p2align	6
.LBB61_260:                             ; =>This Inner Loop Header: Depth=1
	s_clz_i32_u32 s19, s11
	s_delay_alu instid0(SALU_CYCLE_1) | instskip(NEXT) | instid1(SALU_CYCLE_1)
	s_min_u32 s19, s19, 32
	s_lshl_b64 s[20:21], s[10:11], s19
	s_sub_i32 s19, 32, s19
	s_min_u32 s20, s20, 1
	s_delay_alu instid0(SALU_CYCLE_1) | instskip(SKIP_3) | instid1(SALU_CYCLE_1)
	s_or_b32 s20, s21, s20
	s_add_u32 s10, s10, 2
	v_cvt_f32_u32_e32 v42, s20
	s_addc_u32 s11, s11, 0
	v_cmp_ge_u64_e32 vcc_lo, s[10:11], v[39:40]
	s_delay_alu instid0(VALU_DEP_2) | instskip(SKIP_1) | instid1(VALU_DEP_1)
	v_ldexp_f32 v42, v42, s19
	s_or_b32 s18, vcc_lo, s18
	v_dual_mul_f32 v42, v41, v42 :: v_dual_mov_b32 v41, v22
	s_delay_alu instid0(VALU_DEP_1)
	v_fma_f32 v22, v37, v22, -v42
	s_and_not1_b32 exec_lo, exec_lo, s18
	s_cbranch_execnz .LBB61_260
; %bb.261:
	s_or_b32 exec_lo, exec_lo, s18
.LBB61_262:
	s_delay_alu instid0(SALU_CYCLE_1)
	s_or_b32 exec_lo, exec_lo, s17
                                        ; implicit-def: $vgpr37
.LBB61_263:
	s_and_not1_saveexec_b32 s10, s16
; %bb.264:
	v_add_f32_e32 v22, v37, v37
; %bb.265:
	s_or_b32 exec_lo, exec_lo, s10
.LBB61_266:
	s_delay_alu instid0(SALU_CYCLE_1)
	s_or_b32 exec_lo, exec_lo, s14
.LBB61_267:
	s_delay_alu instid0(SALU_CYCLE_1) | instskip(SKIP_2) | instid1(VALU_DEP_1)
	s_or_b32 exec_lo, exec_lo, s13
	v_trunc_f32_e32 v37, v23
	s_mov_b32 s13, exec_lo
	v_mul_f32_e64 v39, 0x2f800000, |v37|
	s_delay_alu instid0(VALU_DEP_1) | instskip(NEXT) | instid1(VALU_DEP_1)
	v_floor_f32_e32 v39, v39
	v_fma_f32 v40, 0xcf800000, v39, |v37|
	v_ashrrev_i32_e32 v37, 31, v37
	v_cvt_u32_f32_e32 v39, v39
	s_delay_alu instid0(VALU_DEP_3) | instskip(NEXT) | instid1(VALU_DEP_2)
	v_cvt_u32_f32_e32 v40, v40
	v_xor_b32_e32 v39, v39, v37
	s_delay_alu instid0(VALU_DEP_2) | instskip(NEXT) | instid1(VALU_DEP_1)
	v_xor_b32_e32 v40, v40, v37
	v_sub_co_u32 v41, vcc_lo, v40, v37
	s_delay_alu instid0(VALU_DEP_3) | instskip(SKIP_1) | instid1(VALU_DEP_2)
	v_sub_co_ci_u32_e32 v37, vcc_lo, v39, v37, vcc_lo
	v_cmp_class_f32_e64 vcc_lo, v23, 0x1f8
	v_dual_mov_b32 v23, 0 :: v_dual_cndmask_b32 v40, -1, v37
	s_delay_alu instid0(VALU_DEP_4) | instskip(NEXT) | instid1(VALU_DEP_1)
	v_cndmask_b32_e32 v39, -1, v41, vcc_lo
	v_cmpx_lt_i64_e32 -1, v[39:40]
	s_cbranch_execz .LBB61_279
; %bb.268:
	v_mov_b32_e32 v23, 1.0
	s_mov_b32 s14, exec_lo
	v_cmpx_lt_i64_e32 0, v[39:40]
	s_cbranch_execz .LBB61_278
; %bb.269:
	v_cvt_f32_f16_e32 v37, v38
	s_mov_b32 s10, exec_lo
	v_cmpx_ne_u64_e32 1, v[39:40]
	s_xor_b32 s16, exec_lo, s10
	s_cbranch_execz .LBB61_275
; %bb.270:
	v_mov_b32_e32 v23, 0x7fc00000
	s_mov_b32 s17, exec_lo
	v_cmpx_gt_u64_e32 0x81, v[39:40]
	s_cbranch_execz .LBB61_274
; %bb.271:
	v_add_f32_e32 v37, v37, v37
	v_lshlrev_b64 v[39:40], 1, v[39:40]
	v_mov_b32_e32 v41, 1.0
	s_mov_b64 s[10:11], 2
	s_mov_b32 s18, 0
	v_mov_b32_e32 v23, v37
	.p2align	6
.LBB61_272:                             ; =>This Inner Loop Header: Depth=1
	s_clz_i32_u32 s19, s11
	s_delay_alu instid0(SALU_CYCLE_1) | instskip(NEXT) | instid1(SALU_CYCLE_1)
	s_min_u32 s19, s19, 32
	s_lshl_b64 s[20:21], s[10:11], s19
	s_sub_i32 s19, 32, s19
	s_min_u32 s20, s20, 1
	s_delay_alu instid0(SALU_CYCLE_1) | instskip(SKIP_3) | instid1(SALU_CYCLE_1)
	s_or_b32 s20, s21, s20
	s_add_u32 s10, s10, 2
	v_cvt_f32_u32_e32 v42, s20
	s_addc_u32 s11, s11, 0
	v_cmp_ge_u64_e32 vcc_lo, s[10:11], v[39:40]
	s_delay_alu instid0(VALU_DEP_2) | instskip(SKIP_1) | instid1(VALU_DEP_1)
	v_ldexp_f32 v42, v42, s19
	s_or_b32 s18, vcc_lo, s18
	v_dual_mul_f32 v42, v41, v42 :: v_dual_mov_b32 v41, v23
	s_delay_alu instid0(VALU_DEP_1)
	v_fma_f32 v23, v37, v23, -v42
	s_and_not1_b32 exec_lo, exec_lo, s18
	s_cbranch_execnz .LBB61_272
; %bb.273:
	s_or_b32 exec_lo, exec_lo, s18
.LBB61_274:
	s_delay_alu instid0(SALU_CYCLE_1)
	s_or_b32 exec_lo, exec_lo, s17
                                        ; implicit-def: $vgpr37
.LBB61_275:
	s_and_not1_saveexec_b32 s10, s16
; %bb.276:
	v_add_f32_e32 v23, v37, v37
; %bb.277:
	s_or_b32 exec_lo, exec_lo, s10
.LBB61_278:
	s_delay_alu instid0(SALU_CYCLE_1)
	s_or_b32 exec_lo, exec_lo, s14
.LBB61_279:
	s_delay_alu instid0(SALU_CYCLE_1) | instskip(SKIP_2) | instid1(VALU_DEP_1)
	s_or_b32 exec_lo, exec_lo, s13
	v_trunc_f32_e32 v37, v24
	s_mov_b32 s13, exec_lo
	v_mul_f32_e64 v39, 0x2f800000, |v37|
	s_delay_alu instid0(VALU_DEP_1) | instskip(NEXT) | instid1(VALU_DEP_1)
	v_floor_f32_e32 v39, v39
	v_fma_f32 v40, 0xcf800000, v39, |v37|
	v_ashrrev_i32_e32 v37, 31, v37
	v_cvt_u32_f32_e32 v39, v39
	s_delay_alu instid0(VALU_DEP_3) | instskip(NEXT) | instid1(VALU_DEP_2)
	v_cvt_u32_f32_e32 v40, v40
	v_xor_b32_e32 v39, v39, v37
	s_delay_alu instid0(VALU_DEP_2) | instskip(NEXT) | instid1(VALU_DEP_1)
	v_xor_b32_e32 v40, v40, v37
	v_sub_co_u32 v41, vcc_lo, v40, v37
	s_delay_alu instid0(VALU_DEP_3) | instskip(SKIP_2) | instid1(VALU_DEP_3)
	v_sub_co_ci_u32_e32 v37, vcc_lo, v39, v37, vcc_lo
	v_cmp_class_f32_e64 vcc_lo, v24, 0x1f8
	v_mov_b32_e32 v24, 0
	v_cndmask_b32_e32 v40, -1, v37, vcc_lo
	v_cndmask_b32_e32 v39, -1, v41, vcc_lo
	s_delay_alu instid0(VALU_DEP_1)
	v_cmpx_lt_i64_e32 -1, v[39:40]
	s_cbranch_execz .LBB61_291
; %bb.280:
	v_mov_b32_e32 v24, 1.0
	s_mov_b32 s14, exec_lo
	v_cmpx_lt_i64_e32 0, v[39:40]
	s_cbranch_execz .LBB61_290
; %bb.281:
	v_lshrrev_b32_e32 v24, 16, v38
	s_mov_b32 s10, exec_lo
	s_delay_alu instid0(VALU_DEP_1)
	v_cvt_f32_f16_e32 v37, v24
	v_cmpx_ne_u64_e32 1, v[39:40]
	s_xor_b32 s16, exec_lo, s10
	s_cbranch_execz .LBB61_287
; %bb.282:
	v_mov_b32_e32 v24, 0x7fc00000
	s_mov_b32 s17, exec_lo
	v_cmpx_gt_u64_e32 0x81, v[39:40]
	s_cbranch_execz .LBB61_286
; %bb.283:
	v_add_f32_e32 v41, v37, v37
	v_lshlrev_b64 v[37:38], 1, v[39:40]
	v_mov_b32_e32 v39, 1.0
	s_mov_b64 s[10:11], 2
	s_mov_b32 s18, 0
	v_mov_b32_e32 v24, v41
	.p2align	6
.LBB61_284:                             ; =>This Inner Loop Header: Depth=1
	s_clz_i32_u32 s19, s11
	s_delay_alu instid0(SALU_CYCLE_1) | instskip(NEXT) | instid1(SALU_CYCLE_1)
	s_min_u32 s19, s19, 32
	s_lshl_b64 s[20:21], s[10:11], s19
	s_sub_i32 s19, 32, s19
	s_min_u32 s20, s20, 1
	s_delay_alu instid0(SALU_CYCLE_1) | instskip(SKIP_3) | instid1(SALU_CYCLE_1)
	s_or_b32 s20, s21, s20
	s_add_u32 s10, s10, 2
	v_cvt_f32_u32_e32 v40, s20
	s_addc_u32 s11, s11, 0
	v_cmp_ge_u64_e32 vcc_lo, s[10:11], v[37:38]
	s_delay_alu instid0(VALU_DEP_2) | instskip(SKIP_1) | instid1(VALU_DEP_1)
	v_ldexp_f32 v40, v40, s19
	s_or_b32 s18, vcc_lo, s18
	v_dual_mul_f32 v40, v39, v40 :: v_dual_mov_b32 v39, v24
	s_delay_alu instid0(VALU_DEP_1)
	v_fma_f32 v24, v41, v24, -v40
	s_and_not1_b32 exec_lo, exec_lo, s18
	s_cbranch_execnz .LBB61_284
; %bb.285:
	s_or_b32 exec_lo, exec_lo, s18
.LBB61_286:
	s_delay_alu instid0(SALU_CYCLE_1)
	s_or_b32 exec_lo, exec_lo, s17
                                        ; implicit-def: $vgpr37
.LBB61_287:
	s_and_not1_saveexec_b32 s10, s16
; %bb.288:
	v_add_f32_e32 v24, v37, v37
; %bb.289:
	s_or_b32 exec_lo, exec_lo, s10
.LBB61_290:
	s_delay_alu instid0(SALU_CYCLE_1)
	s_or_b32 exec_lo, exec_lo, s14
.LBB61_291:
	s_delay_alu instid0(SALU_CYCLE_1) | instskip(SKIP_3) | instid1(VALU_DEP_1)
	s_or_b32 exec_lo, exec_lo, s13
	s_waitcnt vmcnt(1)
	v_trunc_f32_e32 v37, v13
	s_mov_b32 s13, exec_lo
	v_mul_f32_e64 v38, 0x2f800000, |v37|
	s_delay_alu instid0(VALU_DEP_1) | instskip(NEXT) | instid1(VALU_DEP_1)
	v_floor_f32_e32 v38, v38
	v_fma_f32 v39, 0xcf800000, v38, |v37|
	v_ashrrev_i32_e32 v37, 31, v37
	v_cvt_u32_f32_e32 v38, v38
	s_delay_alu instid0(VALU_DEP_3) | instskip(NEXT) | instid1(VALU_DEP_2)
	v_cvt_u32_f32_e32 v39, v39
	v_xor_b32_e32 v38, v38, v37
	s_delay_alu instid0(VALU_DEP_2) | instskip(NEXT) | instid1(VALU_DEP_1)
	v_xor_b32_e32 v39, v39, v37
	v_sub_co_u32 v39, vcc_lo, v39, v37
	s_delay_alu instid0(VALU_DEP_3) | instskip(SKIP_1) | instid1(VALU_DEP_2)
	v_sub_co_ci_u32_e32 v37, vcc_lo, v38, v37, vcc_lo
	v_cmp_class_f32_e64 vcc_lo, v13, 0x1f8
	v_dual_mov_b32 v13, 0 :: v_dual_cndmask_b32 v38, -1, v37
	s_delay_alu instid0(VALU_DEP_4) | instskip(NEXT) | instid1(VALU_DEP_1)
	v_cndmask_b32_e32 v37, -1, v39, vcc_lo
	v_cmpx_lt_i64_e32 -1, v[37:38]
	s_cbranch_execz .LBB61_303
; %bb.292:
	v_mov_b32_e32 v13, 1.0
	s_mov_b32 s14, exec_lo
	v_cmpx_lt_i64_e32 0, v[37:38]
	s_cbranch_execz .LBB61_302
; %bb.293:
	v_cvt_f32_f16_e32 v39, v35
                                        ; implicit-def: $vgpr13
	s_mov_b32 s10, exec_lo
	v_cmpx_ne_u64_e32 1, v[37:38]
	s_xor_b32 s16, exec_lo, s10
	s_cbranch_execz .LBB61_299
; %bb.294:
	v_mov_b32_e32 v13, 0x7fc00000
	s_mov_b32 s17, exec_lo
	v_cmpx_gt_u64_e32 0x81, v[37:38]
	s_cbranch_execz .LBB61_298
; %bb.295:
	v_dual_add_f32 v39, v39, v39 :: v_dual_mov_b32 v40, 1.0
	v_lshlrev_b64 v[37:38], 1, v[37:38]
	s_mov_b64 s[10:11], 2
	s_mov_b32 s18, 0
	s_delay_alu instid0(VALU_DEP_2)
	v_mov_b32_e32 v13, v39
	.p2align	6
.LBB61_296:                             ; =>This Inner Loop Header: Depth=1
	s_clz_i32_u32 s19, s11
	s_delay_alu instid0(SALU_CYCLE_1) | instskip(NEXT) | instid1(SALU_CYCLE_1)
	s_min_u32 s19, s19, 32
	s_lshl_b64 s[20:21], s[10:11], s19
	s_sub_i32 s19, 32, s19
	s_min_u32 s20, s20, 1
	s_delay_alu instid0(SALU_CYCLE_1) | instskip(SKIP_3) | instid1(SALU_CYCLE_1)
	s_or_b32 s20, s21, s20
	s_add_u32 s10, s10, 2
	v_cvt_f32_u32_e32 v41, s20
	s_addc_u32 s11, s11, 0
	v_cmp_ge_u64_e32 vcc_lo, s[10:11], v[37:38]
	s_delay_alu instid0(VALU_DEP_2) | instskip(SKIP_1) | instid1(VALU_DEP_1)
	v_ldexp_f32 v41, v41, s19
	s_or_b32 s18, vcc_lo, s18
	v_dual_mul_f32 v41, v40, v41 :: v_dual_mov_b32 v40, v13
	s_delay_alu instid0(VALU_DEP_1)
	v_fma_f32 v13, v39, v13, -v41
	s_and_not1_b32 exec_lo, exec_lo, s18
	s_cbranch_execnz .LBB61_296
; %bb.297:
	s_or_b32 exec_lo, exec_lo, s18
.LBB61_298:
	s_delay_alu instid0(SALU_CYCLE_1)
	s_or_b32 exec_lo, exec_lo, s17
                                        ; implicit-def: $vgpr39
.LBB61_299:
	s_and_not1_saveexec_b32 s10, s16
; %bb.300:
	v_add_f32_e32 v13, v39, v39
; %bb.301:
	s_or_b32 exec_lo, exec_lo, s10
.LBB61_302:
	s_delay_alu instid0(SALU_CYCLE_1)
	s_or_b32 exec_lo, exec_lo, s14
.LBB61_303:
	s_delay_alu instid0(SALU_CYCLE_1) | instskip(SKIP_2) | instid1(VALU_DEP_1)
	s_or_b32 exec_lo, exec_lo, s13
	v_trunc_f32_e32 v37, v14
	s_mov_b32 s13, exec_lo
	v_mul_f32_e64 v38, 0x2f800000, |v37|
	s_delay_alu instid0(VALU_DEP_1) | instskip(NEXT) | instid1(VALU_DEP_1)
	v_floor_f32_e32 v38, v38
	v_fma_f32 v39, 0xcf800000, v38, |v37|
	v_ashrrev_i32_e32 v37, 31, v37
	v_cvt_u32_f32_e32 v38, v38
	s_delay_alu instid0(VALU_DEP_3) | instskip(NEXT) | instid1(VALU_DEP_2)
	v_cvt_u32_f32_e32 v39, v39
	v_xor_b32_e32 v38, v38, v37
	s_delay_alu instid0(VALU_DEP_2) | instskip(NEXT) | instid1(VALU_DEP_1)
	v_xor_b32_e32 v39, v39, v37
	v_sub_co_u32 v39, vcc_lo, v39, v37
	s_delay_alu instid0(VALU_DEP_3) | instskip(SKIP_2) | instid1(VALU_DEP_3)
	v_sub_co_ci_u32_e32 v37, vcc_lo, v38, v37, vcc_lo
	v_cmp_class_f32_e64 vcc_lo, v14, 0x1f8
	v_mov_b32_e32 v14, 0
	v_dual_cndmask_b32 v38, -1, v37 :: v_dual_cndmask_b32 v37, -1, v39
	s_delay_alu instid0(VALU_DEP_1)
	v_cmpx_lt_i64_e32 -1, v[37:38]
	s_cbranch_execz .LBB61_315
; %bb.304:
	v_mov_b32_e32 v14, 1.0
	s_mov_b32 s14, exec_lo
	v_cmpx_lt_i64_e32 0, v[37:38]
	s_cbranch_execz .LBB61_314
; %bb.305:
	v_lshrrev_b32_e32 v14, 16, v35
	s_mov_b32 s10, exec_lo
	s_delay_alu instid0(VALU_DEP_1)
	v_cvt_f32_f16_e32 v35, v14
	v_cmpx_ne_u64_e32 1, v[37:38]
	s_xor_b32 s16, exec_lo, s10
	s_cbranch_execz .LBB61_311
; %bb.306:
	v_mov_b32_e32 v14, 0x7fc00000
	s_mov_b32 s17, exec_lo
	v_cmpx_gt_u64_e32 0x81, v[37:38]
	s_cbranch_execz .LBB61_310
; %bb.307:
	v_add_f32_e32 v35, v35, v35
	v_lshlrev_b64 v[37:38], 1, v[37:38]
	v_mov_b32_e32 v39, 1.0
	s_mov_b64 s[10:11], 2
	s_mov_b32 s18, 0
	v_mov_b32_e32 v14, v35
	.p2align	6
.LBB61_308:                             ; =>This Inner Loop Header: Depth=1
	s_clz_i32_u32 s19, s11
	s_delay_alu instid0(SALU_CYCLE_1) | instskip(NEXT) | instid1(SALU_CYCLE_1)
	s_min_u32 s19, s19, 32
	s_lshl_b64 s[20:21], s[10:11], s19
	s_sub_i32 s19, 32, s19
	s_min_u32 s20, s20, 1
	s_delay_alu instid0(SALU_CYCLE_1) | instskip(SKIP_3) | instid1(SALU_CYCLE_1)
	s_or_b32 s20, s21, s20
	s_add_u32 s10, s10, 2
	v_cvt_f32_u32_e32 v40, s20
	s_addc_u32 s11, s11, 0
	v_cmp_ge_u64_e32 vcc_lo, s[10:11], v[37:38]
	s_delay_alu instid0(VALU_DEP_2) | instskip(SKIP_1) | instid1(VALU_DEP_1)
	v_ldexp_f32 v40, v40, s19
	s_or_b32 s18, vcc_lo, s18
	v_dual_mul_f32 v40, v39, v40 :: v_dual_mov_b32 v39, v14
	s_delay_alu instid0(VALU_DEP_1)
	v_fma_f32 v14, v35, v14, -v40
	s_and_not1_b32 exec_lo, exec_lo, s18
	s_cbranch_execnz .LBB61_308
; %bb.309:
	s_or_b32 exec_lo, exec_lo, s18
.LBB61_310:
	s_delay_alu instid0(SALU_CYCLE_1)
	s_or_b32 exec_lo, exec_lo, s17
                                        ; implicit-def: $vgpr35
.LBB61_311:
	s_and_not1_saveexec_b32 s10, s16
; %bb.312:
	v_add_f32_e32 v14, v35, v35
; %bb.313:
	s_or_b32 exec_lo, exec_lo, s10
.LBB61_314:
	s_delay_alu instid0(SALU_CYCLE_1)
	s_or_b32 exec_lo, exec_lo, s14
.LBB61_315:
	s_delay_alu instid0(SALU_CYCLE_1) | instskip(SKIP_2) | instid1(VALU_DEP_1)
	s_or_b32 exec_lo, exec_lo, s13
	v_trunc_f32_e32 v35, v15
	s_mov_b32 s13, exec_lo
	v_mul_f32_e64 v37, 0x2f800000, |v35|
	s_delay_alu instid0(VALU_DEP_1) | instskip(NEXT) | instid1(VALU_DEP_1)
	v_floor_f32_e32 v37, v37
	v_fma_f32 v38, 0xcf800000, v37, |v35|
	v_ashrrev_i32_e32 v35, 31, v35
	v_cvt_u32_f32_e32 v37, v37
	s_delay_alu instid0(VALU_DEP_3) | instskip(NEXT) | instid1(VALU_DEP_2)
	v_cvt_u32_f32_e32 v38, v38
	v_xor_b32_e32 v37, v37, v35
	s_delay_alu instid0(VALU_DEP_2) | instskip(NEXT) | instid1(VALU_DEP_1)
	v_xor_b32_e32 v38, v38, v35
	v_sub_co_u32 v39, vcc_lo, v38, v35
	s_delay_alu instid0(VALU_DEP_3) | instskip(SKIP_1) | instid1(VALU_DEP_2)
	v_sub_co_ci_u32_e32 v35, vcc_lo, v37, v35, vcc_lo
	v_cmp_class_f32_e64 vcc_lo, v15, 0x1f8
	v_dual_mov_b32 v15, 0 :: v_dual_cndmask_b32 v38, -1, v35
	s_delay_alu instid0(VALU_DEP_4) | instskip(NEXT) | instid1(VALU_DEP_1)
	v_cndmask_b32_e32 v37, -1, v39, vcc_lo
	v_cmpx_lt_i64_e32 -1, v[37:38]
	s_cbranch_execz .LBB61_327
; %bb.316:
	v_mov_b32_e32 v15, 1.0
	s_mov_b32 s14, exec_lo
	v_cmpx_lt_i64_e32 0, v[37:38]
	s_cbranch_execz .LBB61_326
; %bb.317:
	v_cvt_f32_f16_e32 v35, v36
	s_mov_b32 s10, exec_lo
	v_cmpx_ne_u64_e32 1, v[37:38]
	s_xor_b32 s16, exec_lo, s10
	s_cbranch_execz .LBB61_323
; %bb.318:
	v_mov_b32_e32 v15, 0x7fc00000
	s_mov_b32 s17, exec_lo
	v_cmpx_gt_u64_e32 0x81, v[37:38]
	s_cbranch_execz .LBB61_322
; %bb.319:
	v_add_f32_e32 v35, v35, v35
	v_lshlrev_b64 v[37:38], 1, v[37:38]
	v_mov_b32_e32 v39, 1.0
	s_mov_b64 s[10:11], 2
	s_mov_b32 s18, 0
	v_mov_b32_e32 v15, v35
	.p2align	6
.LBB61_320:                             ; =>This Inner Loop Header: Depth=1
	s_clz_i32_u32 s19, s11
	s_delay_alu instid0(SALU_CYCLE_1) | instskip(NEXT) | instid1(SALU_CYCLE_1)
	s_min_u32 s19, s19, 32
	s_lshl_b64 s[20:21], s[10:11], s19
	s_sub_i32 s19, 32, s19
	s_min_u32 s20, s20, 1
	s_delay_alu instid0(SALU_CYCLE_1) | instskip(SKIP_3) | instid1(SALU_CYCLE_1)
	s_or_b32 s20, s21, s20
	s_add_u32 s10, s10, 2
	v_cvt_f32_u32_e32 v40, s20
	s_addc_u32 s11, s11, 0
	v_cmp_ge_u64_e32 vcc_lo, s[10:11], v[37:38]
	s_delay_alu instid0(VALU_DEP_2) | instskip(SKIP_1) | instid1(VALU_DEP_1)
	v_ldexp_f32 v40, v40, s19
	s_or_b32 s18, vcc_lo, s18
	v_mul_f32_e32 v40, v39, v40
	v_mov_b32_e32 v39, v15
	s_delay_alu instid0(VALU_DEP_2)
	v_fma_f32 v15, v35, v15, -v40
	s_and_not1_b32 exec_lo, exec_lo, s18
	s_cbranch_execnz .LBB61_320
; %bb.321:
	s_or_b32 exec_lo, exec_lo, s18
.LBB61_322:
	s_delay_alu instid0(SALU_CYCLE_1)
	s_or_b32 exec_lo, exec_lo, s17
                                        ; implicit-def: $vgpr35
.LBB61_323:
	s_and_not1_saveexec_b32 s10, s16
; %bb.324:
	v_add_f32_e32 v15, v35, v35
; %bb.325:
	s_or_b32 exec_lo, exec_lo, s10
.LBB61_326:
	s_delay_alu instid0(SALU_CYCLE_1)
	s_or_b32 exec_lo, exec_lo, s14
.LBB61_327:
	s_delay_alu instid0(SALU_CYCLE_1) | instskip(SKIP_2) | instid1(VALU_DEP_1)
	s_or_b32 exec_lo, exec_lo, s13
	v_trunc_f32_e32 v35, v16
	s_mov_b32 s13, exec_lo
	v_mul_f32_e64 v37, 0x2f800000, |v35|
	s_delay_alu instid0(VALU_DEP_1) | instskip(NEXT) | instid1(VALU_DEP_1)
	v_floor_f32_e32 v37, v37
	v_fma_f32 v38, 0xcf800000, v37, |v35|
	v_ashrrev_i32_e32 v35, 31, v35
	v_cvt_u32_f32_e32 v37, v37
	s_delay_alu instid0(VALU_DEP_3) | instskip(NEXT) | instid1(VALU_DEP_2)
	v_cvt_u32_f32_e32 v38, v38
	v_xor_b32_e32 v37, v37, v35
	s_delay_alu instid0(VALU_DEP_2) | instskip(NEXT) | instid1(VALU_DEP_1)
	v_xor_b32_e32 v38, v38, v35
	v_sub_co_u32 v39, vcc_lo, v38, v35
	s_delay_alu instid0(VALU_DEP_3) | instskip(SKIP_2) | instid1(VALU_DEP_3)
	v_sub_co_ci_u32_e32 v35, vcc_lo, v37, v35, vcc_lo
	v_cmp_class_f32_e64 vcc_lo, v16, 0x1f8
	v_mov_b32_e32 v16, 0
	v_cndmask_b32_e32 v38, -1, v35, vcc_lo
	v_cndmask_b32_e32 v37, -1, v39, vcc_lo
	s_delay_alu instid0(VALU_DEP_1)
	v_cmpx_lt_i64_e32 -1, v[37:38]
	s_cbranch_execz .LBB61_339
; %bb.328:
	v_mov_b32_e32 v16, 1.0
	s_mov_b32 s14, exec_lo
	v_cmpx_lt_i64_e32 0, v[37:38]
	s_cbranch_execz .LBB61_338
; %bb.329:
	v_lshrrev_b32_e32 v16, 16, v36
	s_mov_b32 s10, exec_lo
	s_delay_alu instid0(VALU_DEP_1)
	v_cvt_f32_f16_e32 v35, v16
	v_cmpx_ne_u64_e32 1, v[37:38]
	s_xor_b32 s16, exec_lo, s10
	s_cbranch_execz .LBB61_335
; %bb.330:
	v_mov_b32_e32 v16, 0x7fc00000
	s_mov_b32 s17, exec_lo
	v_cmpx_gt_u64_e32 0x81, v[37:38]
	s_cbranch_execz .LBB61_334
; %bb.331:
	v_add_f32_e32 v39, v35, v35
	v_lshlrev_b64 v[35:36], 1, v[37:38]
	v_mov_b32_e32 v37, 1.0
	s_mov_b64 s[10:11], 2
	s_mov_b32 s18, 0
	v_mov_b32_e32 v16, v39
	.p2align	6
.LBB61_332:                             ; =>This Inner Loop Header: Depth=1
	s_clz_i32_u32 s19, s11
	s_delay_alu instid0(SALU_CYCLE_1) | instskip(NEXT) | instid1(SALU_CYCLE_1)
	s_min_u32 s19, s19, 32
	s_lshl_b64 s[20:21], s[10:11], s19
	s_sub_i32 s19, 32, s19
	s_min_u32 s20, s20, 1
	s_delay_alu instid0(SALU_CYCLE_1) | instskip(SKIP_3) | instid1(SALU_CYCLE_1)
	s_or_b32 s20, s21, s20
	s_add_u32 s10, s10, 2
	v_cvt_f32_u32_e32 v38, s20
	s_addc_u32 s11, s11, 0
	v_cmp_ge_u64_e32 vcc_lo, s[10:11], v[35:36]
	s_delay_alu instid0(VALU_DEP_2) | instskip(SKIP_1) | instid1(VALU_DEP_1)
	v_ldexp_f32 v38, v38, s19
	s_or_b32 s18, vcc_lo, s18
	v_dual_mul_f32 v38, v37, v38 :: v_dual_mov_b32 v37, v16
	s_delay_alu instid0(VALU_DEP_1)
	v_fma_f32 v16, v39, v16, -v38
	s_and_not1_b32 exec_lo, exec_lo, s18
	s_cbranch_execnz .LBB61_332
; %bb.333:
	s_or_b32 exec_lo, exec_lo, s18
.LBB61_334:
	s_delay_alu instid0(SALU_CYCLE_1)
	s_or_b32 exec_lo, exec_lo, s17
                                        ; implicit-def: $vgpr35
.LBB61_335:
	s_and_not1_saveexec_b32 s10, s16
; %bb.336:
	v_add_f32_e32 v16, v35, v35
; %bb.337:
	s_or_b32 exec_lo, exec_lo, s10
.LBB61_338:
	s_delay_alu instid0(SALU_CYCLE_1)
	s_or_b32 exec_lo, exec_lo, s14
.LBB61_339:
	s_delay_alu instid0(SALU_CYCLE_1) | instskip(SKIP_3) | instid1(VALU_DEP_1)
	s_or_b32 exec_lo, exec_lo, s13
	s_waitcnt vmcnt(0)
	v_trunc_f32_e32 v35, v5
	s_mov_b32 s13, exec_lo
	v_mul_f32_e64 v36, 0x2f800000, |v35|
	s_delay_alu instid0(VALU_DEP_1) | instskip(NEXT) | instid1(VALU_DEP_1)
	v_floor_f32_e32 v36, v36
	v_fma_f32 v37, 0xcf800000, v36, |v35|
	v_ashrrev_i32_e32 v35, 31, v35
	v_cvt_u32_f32_e32 v36, v36
	s_delay_alu instid0(VALU_DEP_3) | instskip(NEXT) | instid1(VALU_DEP_2)
	v_cvt_u32_f32_e32 v37, v37
	v_xor_b32_e32 v36, v36, v35
	s_delay_alu instid0(VALU_DEP_2) | instskip(NEXT) | instid1(VALU_DEP_1)
	v_xor_b32_e32 v37, v37, v35
	v_sub_co_u32 v37, vcc_lo, v37, v35
	s_delay_alu instid0(VALU_DEP_3) | instskip(SKIP_1) | instid1(VALU_DEP_2)
	v_sub_co_ci_u32_e32 v35, vcc_lo, v36, v35, vcc_lo
	v_cmp_class_f32_e64 vcc_lo, v5, 0x1f8
	v_dual_mov_b32 v5, 0 :: v_dual_cndmask_b32 v36, -1, v35
	s_delay_alu instid0(VALU_DEP_4) | instskip(NEXT) | instid1(VALU_DEP_1)
	v_cndmask_b32_e32 v35, -1, v37, vcc_lo
	v_cmpx_lt_i64_e32 -1, v[35:36]
	s_cbranch_execz .LBB61_351
; %bb.340:
	v_mov_b32_e32 v5, 1.0
	s_mov_b32 s14, exec_lo
	v_cmpx_lt_i64_e32 0, v[35:36]
	s_cbranch_execz .LBB61_350
; %bb.341:
	v_cvt_f32_f16_e32 v37, v33
                                        ; implicit-def: $vgpr5
	s_mov_b32 s10, exec_lo
	v_cmpx_ne_u64_e32 1, v[35:36]
	s_xor_b32 s16, exec_lo, s10
	s_cbranch_execz .LBB61_347
; %bb.342:
	v_mov_b32_e32 v5, 0x7fc00000
	s_mov_b32 s17, exec_lo
	v_cmpx_gt_u64_e32 0x81, v[35:36]
	s_cbranch_execz .LBB61_346
; %bb.343:
	v_dual_add_f32 v37, v37, v37 :: v_dual_mov_b32 v38, 1.0
	v_lshlrev_b64 v[35:36], 1, v[35:36]
	s_mov_b64 s[10:11], 2
	s_mov_b32 s18, 0
	s_delay_alu instid0(VALU_DEP_2)
	v_mov_b32_e32 v5, v37
	.p2align	6
.LBB61_344:                             ; =>This Inner Loop Header: Depth=1
	s_clz_i32_u32 s19, s11
	s_delay_alu instid0(SALU_CYCLE_1) | instskip(NEXT) | instid1(SALU_CYCLE_1)
	s_min_u32 s19, s19, 32
	s_lshl_b64 s[20:21], s[10:11], s19
	s_sub_i32 s19, 32, s19
	s_min_u32 s20, s20, 1
	s_delay_alu instid0(SALU_CYCLE_1) | instskip(SKIP_3) | instid1(SALU_CYCLE_1)
	s_or_b32 s20, s21, s20
	s_add_u32 s10, s10, 2
	v_cvt_f32_u32_e32 v39, s20
	s_addc_u32 s11, s11, 0
	v_cmp_ge_u64_e32 vcc_lo, s[10:11], v[35:36]
	s_delay_alu instid0(VALU_DEP_2) | instskip(SKIP_1) | instid1(VALU_DEP_1)
	v_ldexp_f32 v39, v39, s19
	s_or_b32 s18, vcc_lo, s18
	v_dual_mul_f32 v39, v38, v39 :: v_dual_mov_b32 v38, v5
	s_delay_alu instid0(VALU_DEP_1)
	v_fma_f32 v5, v37, v5, -v39
	s_and_not1_b32 exec_lo, exec_lo, s18
	s_cbranch_execnz .LBB61_344
; %bb.345:
	s_or_b32 exec_lo, exec_lo, s18
.LBB61_346:
	s_delay_alu instid0(SALU_CYCLE_1)
	s_or_b32 exec_lo, exec_lo, s17
                                        ; implicit-def: $vgpr37
.LBB61_347:
	s_and_not1_saveexec_b32 s10, s16
; %bb.348:
	v_add_f32_e32 v5, v37, v37
; %bb.349:
	s_or_b32 exec_lo, exec_lo, s10
.LBB61_350:
	s_delay_alu instid0(SALU_CYCLE_1)
	s_or_b32 exec_lo, exec_lo, s14
.LBB61_351:
	s_delay_alu instid0(SALU_CYCLE_1) | instskip(SKIP_2) | instid1(VALU_DEP_1)
	s_or_b32 exec_lo, exec_lo, s13
	v_trunc_f32_e32 v35, v6
	s_mov_b32 s13, exec_lo
	v_mul_f32_e64 v36, 0x2f800000, |v35|
	s_delay_alu instid0(VALU_DEP_1) | instskip(NEXT) | instid1(VALU_DEP_1)
	v_floor_f32_e32 v36, v36
	v_fma_f32 v37, 0xcf800000, v36, |v35|
	v_ashrrev_i32_e32 v35, 31, v35
	v_cvt_u32_f32_e32 v36, v36
	s_delay_alu instid0(VALU_DEP_3) | instskip(NEXT) | instid1(VALU_DEP_2)
	v_cvt_u32_f32_e32 v37, v37
	v_xor_b32_e32 v36, v36, v35
	s_delay_alu instid0(VALU_DEP_2) | instskip(NEXT) | instid1(VALU_DEP_1)
	v_xor_b32_e32 v37, v37, v35
	v_sub_co_u32 v37, vcc_lo, v37, v35
	s_delay_alu instid0(VALU_DEP_3) | instskip(SKIP_2) | instid1(VALU_DEP_3)
	v_sub_co_ci_u32_e32 v35, vcc_lo, v36, v35, vcc_lo
	v_cmp_class_f32_e64 vcc_lo, v6, 0x1f8
	v_mov_b32_e32 v6, 0
	v_dual_cndmask_b32 v36, -1, v35 :: v_dual_cndmask_b32 v35, -1, v37
	s_delay_alu instid0(VALU_DEP_1)
	v_cmpx_lt_i64_e32 -1, v[35:36]
	s_cbranch_execz .LBB61_363
; %bb.352:
	v_mov_b32_e32 v6, 1.0
	s_mov_b32 s14, exec_lo
	v_cmpx_lt_i64_e32 0, v[35:36]
	s_cbranch_execz .LBB61_362
; %bb.353:
	v_lshrrev_b32_e32 v6, 16, v33
	s_mov_b32 s10, exec_lo
	s_delay_alu instid0(VALU_DEP_1)
	v_cvt_f32_f16_e32 v33, v6
	v_cmpx_ne_u64_e32 1, v[35:36]
	s_xor_b32 s16, exec_lo, s10
	s_cbranch_execz .LBB61_359
; %bb.354:
	v_mov_b32_e32 v6, 0x7fc00000
	s_mov_b32 s17, exec_lo
	v_cmpx_gt_u64_e32 0x81, v[35:36]
	s_cbranch_execz .LBB61_358
; %bb.355:
	v_add_f32_e32 v33, v33, v33
	v_lshlrev_b64 v[35:36], 1, v[35:36]
	v_mov_b32_e32 v37, 1.0
	s_mov_b64 s[10:11], 2
	s_mov_b32 s18, 0
	v_mov_b32_e32 v6, v33
	.p2align	6
.LBB61_356:                             ; =>This Inner Loop Header: Depth=1
	s_clz_i32_u32 s19, s11
	s_delay_alu instid0(SALU_CYCLE_1) | instskip(NEXT) | instid1(SALU_CYCLE_1)
	s_min_u32 s19, s19, 32
	s_lshl_b64 s[20:21], s[10:11], s19
	s_sub_i32 s19, 32, s19
	s_min_u32 s20, s20, 1
	s_delay_alu instid0(SALU_CYCLE_1) | instskip(SKIP_3) | instid1(SALU_CYCLE_1)
	s_or_b32 s20, s21, s20
	s_add_u32 s10, s10, 2
	v_cvt_f32_u32_e32 v38, s20
	s_addc_u32 s11, s11, 0
	v_cmp_ge_u64_e32 vcc_lo, s[10:11], v[35:36]
	s_delay_alu instid0(VALU_DEP_2) | instskip(SKIP_1) | instid1(VALU_DEP_1)
	v_ldexp_f32 v38, v38, s19
	s_or_b32 s18, vcc_lo, s18
	v_dual_mul_f32 v38, v37, v38 :: v_dual_mov_b32 v37, v6
	s_delay_alu instid0(VALU_DEP_1)
	v_fma_f32 v6, v33, v6, -v38
	s_and_not1_b32 exec_lo, exec_lo, s18
	s_cbranch_execnz .LBB61_356
; %bb.357:
	s_or_b32 exec_lo, exec_lo, s18
.LBB61_358:
	s_delay_alu instid0(SALU_CYCLE_1)
	s_or_b32 exec_lo, exec_lo, s17
                                        ; implicit-def: $vgpr33
.LBB61_359:
	s_and_not1_saveexec_b32 s10, s16
; %bb.360:
	v_add_f32_e32 v6, v33, v33
; %bb.361:
	s_or_b32 exec_lo, exec_lo, s10
.LBB61_362:
	s_delay_alu instid0(SALU_CYCLE_1)
	s_or_b32 exec_lo, exec_lo, s14
.LBB61_363:
	s_delay_alu instid0(SALU_CYCLE_1) | instskip(SKIP_2) | instid1(VALU_DEP_1)
	s_or_b32 exec_lo, exec_lo, s13
	v_trunc_f32_e32 v33, v7
	s_mov_b32 s13, exec_lo
	v_mul_f32_e64 v35, 0x2f800000, |v33|
	s_delay_alu instid0(VALU_DEP_1) | instskip(NEXT) | instid1(VALU_DEP_1)
	v_floor_f32_e32 v35, v35
	v_fma_f32 v36, 0xcf800000, v35, |v33|
	v_ashrrev_i32_e32 v33, 31, v33
	v_cvt_u32_f32_e32 v35, v35
	s_delay_alu instid0(VALU_DEP_3) | instskip(NEXT) | instid1(VALU_DEP_2)
	v_cvt_u32_f32_e32 v36, v36
	v_xor_b32_e32 v35, v35, v33
	s_delay_alu instid0(VALU_DEP_2) | instskip(NEXT) | instid1(VALU_DEP_1)
	v_xor_b32_e32 v36, v36, v33
	v_sub_co_u32 v37, vcc_lo, v36, v33
	s_delay_alu instid0(VALU_DEP_3) | instskip(SKIP_1) | instid1(VALU_DEP_2)
	v_sub_co_ci_u32_e32 v33, vcc_lo, v35, v33, vcc_lo
	v_cmp_class_f32_e64 vcc_lo, v7, 0x1f8
	v_dual_mov_b32 v7, 0 :: v_dual_cndmask_b32 v36, -1, v33
	s_delay_alu instid0(VALU_DEP_4) | instskip(NEXT) | instid1(VALU_DEP_1)
	v_cndmask_b32_e32 v35, -1, v37, vcc_lo
	v_cmpx_lt_i64_e32 -1, v[35:36]
	s_cbranch_execz .LBB61_375
; %bb.364:
	v_mov_b32_e32 v7, 1.0
	s_mov_b32 s14, exec_lo
	v_cmpx_lt_i64_e32 0, v[35:36]
	s_cbranch_execz .LBB61_374
; %bb.365:
	v_cvt_f32_f16_e32 v33, v34
	s_mov_b32 s10, exec_lo
	v_cmpx_ne_u64_e32 1, v[35:36]
	s_xor_b32 s16, exec_lo, s10
	s_cbranch_execz .LBB61_371
; %bb.366:
	v_mov_b32_e32 v7, 0x7fc00000
	s_mov_b32 s17, exec_lo
	v_cmpx_gt_u64_e32 0x81, v[35:36]
	s_cbranch_execz .LBB61_370
; %bb.367:
	v_add_f32_e32 v33, v33, v33
	v_lshlrev_b64 v[35:36], 1, v[35:36]
	v_mov_b32_e32 v37, 1.0
	s_mov_b64 s[10:11], 2
	s_mov_b32 s18, 0
	v_mov_b32_e32 v7, v33
	.p2align	6
.LBB61_368:                             ; =>This Inner Loop Header: Depth=1
	s_clz_i32_u32 s19, s11
	s_delay_alu instid0(SALU_CYCLE_1) | instskip(NEXT) | instid1(SALU_CYCLE_1)
	s_min_u32 s19, s19, 32
	s_lshl_b64 s[20:21], s[10:11], s19
	s_sub_i32 s19, 32, s19
	s_min_u32 s20, s20, 1
	s_delay_alu instid0(SALU_CYCLE_1) | instskip(SKIP_3) | instid1(SALU_CYCLE_1)
	s_or_b32 s20, s21, s20
	s_add_u32 s10, s10, 2
	v_cvt_f32_u32_e32 v38, s20
	s_addc_u32 s11, s11, 0
	v_cmp_ge_u64_e32 vcc_lo, s[10:11], v[35:36]
	s_delay_alu instid0(VALU_DEP_2) | instskip(SKIP_1) | instid1(VALU_DEP_1)
	v_ldexp_f32 v38, v38, s19
	s_or_b32 s18, vcc_lo, s18
	v_dual_mul_f32 v38, v37, v38 :: v_dual_mov_b32 v37, v7
	s_delay_alu instid0(VALU_DEP_1)
	v_fma_f32 v7, v33, v7, -v38
	s_and_not1_b32 exec_lo, exec_lo, s18
	s_cbranch_execnz .LBB61_368
; %bb.369:
	s_or_b32 exec_lo, exec_lo, s18
.LBB61_370:
	s_delay_alu instid0(SALU_CYCLE_1)
	s_or_b32 exec_lo, exec_lo, s17
                                        ; implicit-def: $vgpr33
.LBB61_371:
	s_and_not1_saveexec_b32 s10, s16
; %bb.372:
	v_add_f32_e32 v7, v33, v33
; %bb.373:
	s_or_b32 exec_lo, exec_lo, s10
.LBB61_374:
	s_delay_alu instid0(SALU_CYCLE_1)
	s_or_b32 exec_lo, exec_lo, s14
.LBB61_375:
	s_delay_alu instid0(SALU_CYCLE_1) | instskip(SKIP_2) | instid1(VALU_DEP_1)
	s_or_b32 exec_lo, exec_lo, s13
	v_trunc_f32_e32 v33, v8
	s_mov_b32 s13, exec_lo
	v_mul_f32_e64 v35, 0x2f800000, |v33|
	s_delay_alu instid0(VALU_DEP_1) | instskip(NEXT) | instid1(VALU_DEP_1)
	v_floor_f32_e32 v35, v35
	v_fma_f32 v36, 0xcf800000, v35, |v33|
	v_ashrrev_i32_e32 v33, 31, v33
	v_cvt_u32_f32_e32 v35, v35
	s_delay_alu instid0(VALU_DEP_3) | instskip(NEXT) | instid1(VALU_DEP_2)
	v_cvt_u32_f32_e32 v36, v36
	v_xor_b32_e32 v35, v35, v33
	s_delay_alu instid0(VALU_DEP_2) | instskip(NEXT) | instid1(VALU_DEP_1)
	v_xor_b32_e32 v36, v36, v33
	v_sub_co_u32 v37, vcc_lo, v36, v33
	s_delay_alu instid0(VALU_DEP_3) | instskip(SKIP_2) | instid1(VALU_DEP_3)
	v_sub_co_ci_u32_e32 v33, vcc_lo, v35, v33, vcc_lo
	v_cmp_class_f32_e64 vcc_lo, v8, 0x1f8
	v_mov_b32_e32 v8, 0
	v_cndmask_b32_e32 v36, -1, v33, vcc_lo
	v_cndmask_b32_e32 v35, -1, v37, vcc_lo
	s_delay_alu instid0(VALU_DEP_1)
	v_cmpx_lt_i64_e32 -1, v[35:36]
	s_cbranch_execz .LBB61_387
; %bb.376:
	v_mov_b32_e32 v8, 1.0
	s_mov_b32 s14, exec_lo
	v_cmpx_lt_i64_e32 0, v[35:36]
	s_cbranch_execz .LBB61_386
; %bb.377:
	v_lshrrev_b32_e32 v8, 16, v34
	s_mov_b32 s10, exec_lo
	s_delay_alu instid0(VALU_DEP_1)
	v_cvt_f32_f16_e32 v33, v8
	v_cmpx_ne_u64_e32 1, v[35:36]
	s_xor_b32 s16, exec_lo, s10
	s_cbranch_execz .LBB61_383
; %bb.378:
	v_mov_b32_e32 v8, 0x7fc00000
	s_mov_b32 s17, exec_lo
	v_cmpx_gt_u64_e32 0x81, v[35:36]
	s_cbranch_execz .LBB61_382
; %bb.379:
	v_add_f32_e32 v37, v33, v33
	v_lshlrev_b64 v[33:34], 1, v[35:36]
	v_mov_b32_e32 v35, 1.0
	s_mov_b64 s[10:11], 2
	s_mov_b32 s18, 0
	v_mov_b32_e32 v8, v37
	.p2align	6
.LBB61_380:                             ; =>This Inner Loop Header: Depth=1
	s_clz_i32_u32 s19, s11
	s_delay_alu instid0(SALU_CYCLE_1) | instskip(NEXT) | instid1(SALU_CYCLE_1)
	s_min_u32 s19, s19, 32
	s_lshl_b64 s[20:21], s[10:11], s19
	s_sub_i32 s19, 32, s19
	s_min_u32 s20, s20, 1
	s_delay_alu instid0(SALU_CYCLE_1) | instskip(SKIP_3) | instid1(SALU_CYCLE_1)
	s_or_b32 s20, s21, s20
	s_add_u32 s10, s10, 2
	v_cvt_f32_u32_e32 v36, s20
	s_addc_u32 s11, s11, 0
	v_cmp_ge_u64_e32 vcc_lo, s[10:11], v[33:34]
	s_delay_alu instid0(VALU_DEP_2) | instskip(SKIP_1) | instid1(VALU_DEP_1)
	v_ldexp_f32 v36, v36, s19
	s_or_b32 s18, vcc_lo, s18
	v_dual_mul_f32 v36, v35, v36 :: v_dual_mov_b32 v35, v8
	s_delay_alu instid0(VALU_DEP_1)
	v_fma_f32 v8, v37, v8, -v36
	s_and_not1_b32 exec_lo, exec_lo, s18
	s_cbranch_execnz .LBB61_380
; %bb.381:
	s_or_b32 exec_lo, exec_lo, s18
.LBB61_382:
	s_delay_alu instid0(SALU_CYCLE_1)
	s_or_b32 exec_lo, exec_lo, s17
                                        ; implicit-def: $vgpr33
.LBB61_383:
	s_and_not1_saveexec_b32 s10, s16
; %bb.384:
	v_add_f32_e32 v8, v33, v33
; %bb.385:
	s_or_b32 exec_lo, exec_lo, s10
.LBB61_386:
	s_delay_alu instid0(SALU_CYCLE_1)
	s_or_b32 exec_lo, exec_lo, s14
.LBB61_387:
	s_delay_alu instid0(SALU_CYCLE_1) | instskip(SKIP_3) | instid1(VALU_DEP_1)
	s_or_b32 exec_lo, exec_lo, s13
	s_add_u32 s10, s4, s8
	s_addc_u32 s11, s5, s9
	v_add_co_u32 v35, s8, s10, v53
	v_add_co_ci_u32_e64 v36, null, s11, 0, s8
	s_clause 0x1
	global_store_b128 v53, v[1:4], s[10:11]
	global_store_b128 v54, v[17:20], s[10:11]
	v_add_co_u32 v33, vcc_lo, 0x2000, v35
	v_add_co_ci_u32_e32 v34, vcc_lo, 0, v36, vcc_lo
	v_add_co_u32 v1, vcc_lo, 0x6000, v35
	v_add_co_ci_u32_e32 v2, vcc_lo, 0, v36, vcc_lo
	;; [unrolled: 2-line block ×4, first 2 shown]
	s_clause 0x5
	global_store_b128 v[33:34], v[9:12], off
	global_store_b128 v[1:2], v[25:28], off
	global_store_b128 v51, v[29:32], s[10:11]
	global_store_b128 v52, v[13:16], s[10:11]
	global_store_b128 v[3:4], v[21:24], off
	global_store_b128 v[17:18], v[5:8], off
	s_branch .LBB61_2
.LBB61_388:
	s_clause 0x1
	s_load_b32 s10, s[0:1], 0x24
	s_load_b128 s[16:19], s[0:1], 0x28
	v_dual_mov_b32 v31, v0 :: v_dual_mov_b32 v0, s4
	v_dual_mov_b32 v1, s5 :: v_dual_mov_b32 v2, s6
	;; [unrolled: 1-line block ×4, first 2 shown]
	s_add_u32 s8, s0, 56
	s_addc_u32 s9, s1, 0
	s_mov_b32 s12, s15
	s_getpc_b64 s[0:1]
	s_add_u32 s0, s0, _ZN2at6native25elementwise_kernel_helperILb1ENS0_13BinaryFunctorIfffZZZNS0_12_GLOBAL__N_132hermite_polynomial_h_kernel_cudaERNS_18TensorIteratorBaseEENKUlvE_clEvENKUlvE0_clEvEUlffE_EENS0_6memory8policies11unroll_baseILi512ESt5arrayIPcLm3EE23TrivialOffsetCalculatorILi2EjESG_ILi1EjENSA_12LoadWithCastILi2EEENSA_13StoreWithCastILi1EEELi32ELi1EEEEEvT0_T1_@rel32@lo+4
	s_addc_u32 s1, s1, _ZN2at6native25elementwise_kernel_helperILb1ENS0_13BinaryFunctorIfffZZZNS0_12_GLOBAL__N_132hermite_polynomial_h_kernel_cudaERNS_18TensorIteratorBaseEENKUlvE_clEvENKUlvE0_clEvEUlffE_EENS0_6memory8policies11unroll_baseILi512ESt5arrayIPcLm3EE23TrivialOffsetCalculatorILi2EjESG_ILi1EjENSA_12LoadWithCastILi2EEENSA_13StoreWithCastILi1EEELi32ELi1EEEEEvT0_T1_@rel32@hi+12
	s_waitcnt lgkmcnt(0)
	v_lshrrev_b16 v8, 8, s10
	v_dual_mov_b32 v7, s10 :: v_dual_mov_b32 v10, s17
	v_dual_mov_b32 v9, s16 :: v_dual_mov_b32 v12, s19
	v_mov_b32_e32 v11, s18
	s_swappc_b64 s[30:31], s[0:1]
	s_endpgm
	.section	.rodata,"a",@progbits
	.p2align	6, 0x0
	.amdhsa_kernel _ZN2at6native39vectorized_templated_elementwise_kernelILi4ENS0_13BinaryFunctorIfffZZZNS0_12_GLOBAL__N_132hermite_polynomial_h_kernel_cudaERNS_18TensorIteratorBaseEENKUlvE_clEvENKUlvE0_clEvEUlffE_EESt5arrayIPcLm3EE23TrivialOffsetCalculatorILi2EjESD_ILi1EjENS0_6memory12LoadWithCastILi2EEENSG_13StoreWithCastILi1EEEfJN3c104HalfEfEEEviT0_T1_T2_T3_T4_T5_
		.amdhsa_group_segment_fixed_size 0
		.amdhsa_private_segment_fixed_size 272
		.amdhsa_kernarg_size 312
		.amdhsa_user_sgpr_count 15
		.amdhsa_user_sgpr_dispatch_ptr 0
		.amdhsa_user_sgpr_queue_ptr 0
		.amdhsa_user_sgpr_kernarg_segment_ptr 1
		.amdhsa_user_sgpr_dispatch_id 0
		.amdhsa_user_sgpr_private_segment_size 0
		.amdhsa_wavefront_size32 1
		.amdhsa_uses_dynamic_stack 0
		.amdhsa_enable_private_segment 1
		.amdhsa_system_sgpr_workgroup_id_x 1
		.amdhsa_system_sgpr_workgroup_id_y 0
		.amdhsa_system_sgpr_workgroup_id_z 0
		.amdhsa_system_sgpr_workgroup_info 0
		.amdhsa_system_vgpr_workitem_id 0
		.amdhsa_next_free_vgpr 68
		.amdhsa_next_free_sgpr 77
		.amdhsa_reserve_vcc 1
		.amdhsa_float_round_mode_32 0
		.amdhsa_float_round_mode_16_64 0
		.amdhsa_float_denorm_mode_32 3
		.amdhsa_float_denorm_mode_16_64 3
		.amdhsa_dx10_clamp 1
		.amdhsa_ieee_mode 1
		.amdhsa_fp16_overflow 0
		.amdhsa_workgroup_processor_mode 1
		.amdhsa_memory_ordered 1
		.amdhsa_forward_progress 0
		.amdhsa_shared_vgpr_count 0
		.amdhsa_exception_fp_ieee_invalid_op 0
		.amdhsa_exception_fp_denorm_src 0
		.amdhsa_exception_fp_ieee_div_zero 0
		.amdhsa_exception_fp_ieee_overflow 0
		.amdhsa_exception_fp_ieee_underflow 0
		.amdhsa_exception_fp_ieee_inexact 0
		.amdhsa_exception_int_div_zero 0
	.end_amdhsa_kernel
	.section	.text._ZN2at6native39vectorized_templated_elementwise_kernelILi4ENS0_13BinaryFunctorIfffZZZNS0_12_GLOBAL__N_132hermite_polynomial_h_kernel_cudaERNS_18TensorIteratorBaseEENKUlvE_clEvENKUlvE0_clEvEUlffE_EESt5arrayIPcLm3EE23TrivialOffsetCalculatorILi2EjESD_ILi1EjENS0_6memory12LoadWithCastILi2EEENSG_13StoreWithCastILi1EEEfJN3c104HalfEfEEEviT0_T1_T2_T3_T4_T5_,"axG",@progbits,_ZN2at6native39vectorized_templated_elementwise_kernelILi4ENS0_13BinaryFunctorIfffZZZNS0_12_GLOBAL__N_132hermite_polynomial_h_kernel_cudaERNS_18TensorIteratorBaseEENKUlvE_clEvENKUlvE0_clEvEUlffE_EESt5arrayIPcLm3EE23TrivialOffsetCalculatorILi2EjESD_ILi1EjENS0_6memory12LoadWithCastILi2EEENSG_13StoreWithCastILi1EEEfJN3c104HalfEfEEEviT0_T1_T2_T3_T4_T5_,comdat
.Lfunc_end61:
	.size	_ZN2at6native39vectorized_templated_elementwise_kernelILi4ENS0_13BinaryFunctorIfffZZZNS0_12_GLOBAL__N_132hermite_polynomial_h_kernel_cudaERNS_18TensorIteratorBaseEENKUlvE_clEvENKUlvE0_clEvEUlffE_EESt5arrayIPcLm3EE23TrivialOffsetCalculatorILi2EjESD_ILi1EjENS0_6memory12LoadWithCastILi2EEENSG_13StoreWithCastILi1EEEfJN3c104HalfEfEEEviT0_T1_T2_T3_T4_T5_, .Lfunc_end61-_ZN2at6native39vectorized_templated_elementwise_kernelILi4ENS0_13BinaryFunctorIfffZZZNS0_12_GLOBAL__N_132hermite_polynomial_h_kernel_cudaERNS_18TensorIteratorBaseEENKUlvE_clEvENKUlvE0_clEvEUlffE_EESt5arrayIPcLm3EE23TrivialOffsetCalculatorILi2EjESD_ILi1EjENS0_6memory12LoadWithCastILi2EEENSG_13StoreWithCastILi1EEEfJN3c104HalfEfEEEviT0_T1_T2_T3_T4_T5_
                                        ; -- End function
	.section	.AMDGPU.csdata,"",@progbits
; Kernel info:
; codeLenInByte = 11864
; NumSgprs: 79
; NumVgprs: 68
; ScratchSize: 272
; MemoryBound: 0
; FloatMode: 240
; IeeeMode: 1
; LDSByteSize: 0 bytes/workgroup (compile time only)
; SGPRBlocks: 9
; VGPRBlocks: 8
; NumSGPRsForWavesPerEU: 79
; NumVGPRsForWavesPerEU: 68
; Occupancy: 16
; WaveLimiterHint : 0
; COMPUTE_PGM_RSRC2:SCRATCH_EN: 1
; COMPUTE_PGM_RSRC2:USER_SGPR: 15
; COMPUTE_PGM_RSRC2:TRAP_HANDLER: 0
; COMPUTE_PGM_RSRC2:TGID_X_EN: 1
; COMPUTE_PGM_RSRC2:TGID_Y_EN: 0
; COMPUTE_PGM_RSRC2:TGID_Z_EN: 0
; COMPUTE_PGM_RSRC2:TIDIG_COMP_CNT: 0
	.section	.text._ZN2at6native39vectorized_templated_elementwise_kernelILi2ENS0_13BinaryFunctorIfffZZZNS0_12_GLOBAL__N_132hermite_polynomial_h_kernel_cudaERNS_18TensorIteratorBaseEENKUlvE_clEvENKUlvE0_clEvEUlffE_EESt5arrayIPcLm3EE23TrivialOffsetCalculatorILi2EjESD_ILi1EjENS0_6memory12LoadWithCastILi2EEENSG_13StoreWithCastILi1EEEfJN3c104HalfEfEEEviT0_T1_T2_T3_T4_T5_,"axG",@progbits,_ZN2at6native39vectorized_templated_elementwise_kernelILi2ENS0_13BinaryFunctorIfffZZZNS0_12_GLOBAL__N_132hermite_polynomial_h_kernel_cudaERNS_18TensorIteratorBaseEENKUlvE_clEvENKUlvE0_clEvEUlffE_EESt5arrayIPcLm3EE23TrivialOffsetCalculatorILi2EjESD_ILi1EjENS0_6memory12LoadWithCastILi2EEENSG_13StoreWithCastILi1EEEfJN3c104HalfEfEEEviT0_T1_T2_T3_T4_T5_,comdat
	.globl	_ZN2at6native39vectorized_templated_elementwise_kernelILi2ENS0_13BinaryFunctorIfffZZZNS0_12_GLOBAL__N_132hermite_polynomial_h_kernel_cudaERNS_18TensorIteratorBaseEENKUlvE_clEvENKUlvE0_clEvEUlffE_EESt5arrayIPcLm3EE23TrivialOffsetCalculatorILi2EjESD_ILi1EjENS0_6memory12LoadWithCastILi2EEENSG_13StoreWithCastILi1EEEfJN3c104HalfEfEEEviT0_T1_T2_T3_T4_T5_ ; -- Begin function _ZN2at6native39vectorized_templated_elementwise_kernelILi2ENS0_13BinaryFunctorIfffZZZNS0_12_GLOBAL__N_132hermite_polynomial_h_kernel_cudaERNS_18TensorIteratorBaseEENKUlvE_clEvENKUlvE0_clEvEUlffE_EESt5arrayIPcLm3EE23TrivialOffsetCalculatorILi2EjESD_ILi1EjENS0_6memory12LoadWithCastILi2EEENSG_13StoreWithCastILi1EEEfJN3c104HalfEfEEEviT0_T1_T2_T3_T4_T5_
	.p2align	8
	.type	_ZN2at6native39vectorized_templated_elementwise_kernelILi2ENS0_13BinaryFunctorIfffZZZNS0_12_GLOBAL__N_132hermite_polynomial_h_kernel_cudaERNS_18TensorIteratorBaseEENKUlvE_clEvENKUlvE0_clEvEUlffE_EESt5arrayIPcLm3EE23TrivialOffsetCalculatorILi2EjESD_ILi1EjENS0_6memory12LoadWithCastILi2EEENSG_13StoreWithCastILi1EEEfJN3c104HalfEfEEEviT0_T1_T2_T3_T4_T5_,@function
_ZN2at6native39vectorized_templated_elementwise_kernelILi2ENS0_13BinaryFunctorIfffZZZNS0_12_GLOBAL__N_132hermite_polynomial_h_kernel_cudaERNS_18TensorIteratorBaseEENKUlvE_clEvENKUlvE0_clEvEUlffE_EESt5arrayIPcLm3EE23TrivialOffsetCalculatorILi2EjESD_ILi1EjENS0_6memory12LoadWithCastILi2EEENSG_13StoreWithCastILi1EEEfJN3c104HalfEfEEEviT0_T1_T2_T3_T4_T5_: ; @_ZN2at6native39vectorized_templated_elementwise_kernelILi2ENS0_13BinaryFunctorIfffZZZNS0_12_GLOBAL__N_132hermite_polynomial_h_kernel_cudaERNS_18TensorIteratorBaseEENKUlvE_clEvENKUlvE0_clEvEUlffE_EESt5arrayIPcLm3EE23TrivialOffsetCalculatorILi2EjESD_ILi1EjENS0_6memory12LoadWithCastILi2EEENSG_13StoreWithCastILi1EEEfJN3c104HalfEfEEEviT0_T1_T2_T3_T4_T5_
; %bb.0:
	s_clause 0x3
	s_load_b32 s8, s[0:1], 0x38
	s_load_b32 s9, s[0:1], 0x0
	s_load_b64 s[2:3], s[0:1], 0x18
	s_load_b128 s[4:7], s[0:1], 0x8
	s_not_b32 s10, s15
	s_mov_b32 s32, 0
	s_waitcnt lgkmcnt(0)
	s_add_i32 s8, s8, s10
	s_delay_alu instid0(SALU_CYCLE_1) | instskip(NEXT) | instid1(SALU_CYCLE_1)
	s_lshl_b32 s8, s8, 14
	s_sub_i32 s12, s9, s8
	s_mov_b32 s9, -1
	s_cmpk_gt_i32 s12, 0x3fff
	s_cbranch_scc1 .LBB62_3
; %bb.1:
	s_and_b32 vcc_lo, exec_lo, s9
	s_cbranch_vccnz .LBB62_388
.LBB62_2:
	s_nop 0
	s_sendmsg sendmsg(MSG_DEALLOC_VGPRS)
	s_endpgm
.LBB62_3:
	s_ashr_i32 s9, s8, 31
	v_lshlrev_b32_e32 v7, 2, v0
	s_lshl_b64 s[10:11], s[8:9], 1
	v_or_b32_e32 v9, 0x400, v0
	s_add_u32 s10, s6, s10
	s_addc_u32 s11, s7, s11
	v_add_co_u32 v8, s13, s10, v7
	s_delay_alu instid0(VALU_DEP_1) | instskip(SKIP_1) | instid1(VALU_DEP_3)
	v_add_co_ci_u32_e64 v10, null, s11, 0, s13
	v_or_b32_e32 v12, 0x800, v0
	v_add_co_u32 v1, vcc_lo, 0x1000, v8
	s_delay_alu instid0(VALU_DEP_3)
	v_add_co_ci_u32_e32 v2, vcc_lo, 0, v10, vcc_lo
	v_add_co_u32 v3, vcc_lo, 0x2000, v8
	v_or_b32_e32 v14, 0xc00, v0
	v_add_co_ci_u32_e32 v4, vcc_lo, 0, v10, vcc_lo
	v_lshlrev_b32_e32 v11, 2, v9
	v_add_co_u32 v5, vcc_lo, 0x3000, v8
	v_lshlrev_b32_e32 v13, 2, v12
	v_add_co_ci_u32_e32 v6, vcc_lo, 0, v10, vcc_lo
	v_lshlrev_b32_e32 v15, 2, v14
	s_clause 0x7
	global_load_b32 v58, v7, s[10:11]
	global_load_b32 v57, v7, s[10:11] offset:2048
	global_load_b32 v56, v11, s[10:11]
	global_load_b32 v55, v[1:2], off offset:2048
	global_load_b32 v54, v13, s[10:11]
	global_load_b32 v53, v[3:4], off offset:2048
	;; [unrolled: 2-line block ×3, first 2 shown]
	v_add_co_u32 v1, vcc_lo, 0x4000, v8
	v_or_b32_e32 v19, 0x1000, v0
	v_add_co_ci_u32_e32 v2, vcc_lo, 0, v10, vcc_lo
	v_or_b32_e32 v20, 0x1400, v0
	v_add_co_u32 v3, vcc_lo, 0x5000, v8
	v_or_b32_e32 v23, 0x1800, v0
	v_add_co_ci_u32_e32 v4, vcc_lo, 0, v10, vcc_lo
	v_lshlrev_b32_e32 v11, 2, v19
	v_or_b32_e32 v24, 0x1c00, v0
	v_add_co_u32 v5, vcc_lo, 0x6000, v8
	v_lshlrev_b32_e32 v13, 2, v20
	v_add_co_ci_u32_e32 v6, vcc_lo, 0, v10, vcc_lo
	v_add_co_u32 v7, vcc_lo, 0x7000, v8
	s_lshl_b64 s[8:9], s[8:9], 2
	v_lshlrev_b32_e32 v36, 3, v0
	v_lshlrev_b32_e32 v15, 2, v23
	;; [unrolled: 1-line block ×3, first 2 shown]
	v_add_co_ci_u32_e32 v8, vcc_lo, 0, v10, vcc_lo
	s_clause 0x7
	global_load_b32 v50, v11, s[10:11]
	global_load_b32 v49, v[1:2], off offset:2048
	global_load_b32 v48, v13, s[10:11]
	global_load_b32 v47, v[3:4], off offset:2048
	;; [unrolled: 2-line block ×4, first 2 shown]
	s_add_u32 s10, s2, s8
	s_addc_u32 s11, s3, s9
	v_add_co_u32 v27, s13, s10, v36
	global_load_b64 v[1:2], v36, s[10:11]
	v_add_co_ci_u32_e64 v28, null, s11, 0, s13
	v_add_co_u32 v3, vcc_lo, 0x1000, v27
	v_lshlrev_b32_e32 v40, 3, v9
	s_delay_alu instid0(VALU_DEP_3)
	v_add_co_ci_u32_e32 v4, vcc_lo, 0, v28, vcc_lo
	v_add_co_u32 v7, vcc_lo, 0x3000, v27
	v_add_co_ci_u32_e32 v8, vcc_lo, 0, v28, vcc_lo
	v_add_co_u32 v11, vcc_lo, 0x5000, v27
	v_lshlrev_b32_e32 v41, 3, v12
	v_add_co_ci_u32_e32 v12, vcc_lo, 0, v28, vcc_lo
	v_add_co_u32 v15, vcc_lo, 0x7000, v27
	v_add_co_ci_u32_e32 v16, vcc_lo, 0, v28, vcc_lo
	v_lshlrev_b32_e32 v42, 3, v14
	s_clause 0x6
	global_load_b64 v[5:6], v[3:4], off
	global_load_b64 v[9:10], v40, s[10:11]
	global_load_b64 v[13:14], v[7:8], off
	global_load_b64 v[17:18], v41, s[10:11]
	global_load_b64 v[21:22], v[11:12], off
	global_load_b64 v[25:26], v42, s[10:11]
	global_load_b64 v[29:30], v[15:16], off
	v_add_co_u32 v3, vcc_lo, 0x9000, v27
	v_add_co_ci_u32_e32 v4, vcc_lo, 0, v28, vcc_lo
	v_add_co_u32 v7, vcc_lo, 0xb000, v27
	v_add_co_ci_u32_e32 v8, vcc_lo, 0, v28, vcc_lo
	v_lshlrev_b32_e32 v35, 3, v19
	v_add_co_u32 v11, vcc_lo, 0xd000, v27
	v_lshlrev_b32_e32 v37, 3, v20
	v_add_co_ci_u32_e32 v12, vcc_lo, 0, v28, vcc_lo
	v_add_co_u32 v33, vcc_lo, 0xf000, v27
	v_lshlrev_b32_e32 v38, 3, v23
	v_lshlrev_b32_e32 v39, 3, v24
	v_add_co_ci_u32_e32 v34, vcc_lo, 0, v28, vcc_lo
	s_clause 0x7
	global_load_b64 v[31:32], v35, s[10:11]
	global_load_b64 v[27:28], v[3:4], off
	global_load_b64 v[23:24], v37, s[10:11]
	global_load_b64 v[19:20], v[7:8], off
	;; [unrolled: 2-line block ×4, first 2 shown]
	s_mov_b32 s13, exec_lo
	s_waitcnt vmcnt(15)
	v_trunc_f32_e32 v33, v1
	s_delay_alu instid0(VALU_DEP_1) | instskip(NEXT) | instid1(VALU_DEP_1)
	v_mul_f32_e64 v34, 0x2f800000, |v33|
	v_floor_f32_e32 v34, v34
	s_delay_alu instid0(VALU_DEP_1) | instskip(SKIP_2) | instid1(VALU_DEP_3)
	v_fma_f32 v59, 0xcf800000, v34, |v33|
	v_ashrrev_i32_e32 v33, 31, v33
	v_cvt_u32_f32_e32 v34, v34
	v_cvt_u32_f32_e32 v59, v59
	s_delay_alu instid0(VALU_DEP_2) | instskip(NEXT) | instid1(VALU_DEP_2)
	v_xor_b32_e32 v34, v34, v33
	v_xor_b32_e32 v59, v59, v33
	s_delay_alu instid0(VALU_DEP_1) | instskip(NEXT) | instid1(VALU_DEP_3)
	v_sub_co_u32 v59, vcc_lo, v59, v33
	v_sub_co_ci_u32_e32 v33, vcc_lo, v34, v33, vcc_lo
	v_cmp_class_f32_e64 vcc_lo, v1, 0x1f8
	s_delay_alu instid0(VALU_DEP_2) | instskip(NEXT) | instid1(VALU_DEP_4)
	v_dual_mov_b32 v1, 0 :: v_dual_cndmask_b32 v34, -1, v33
	v_cndmask_b32_e32 v33, -1, v59, vcc_lo
	s_delay_alu instid0(VALU_DEP_1)
	v_cmpx_lt_i64_e32 -1, v[33:34]
	s_cbranch_execz .LBB62_15
; %bb.4:
	v_mov_b32_e32 v1, 1.0
	s_mov_b32 s14, exec_lo
	v_cmpx_lt_i64_e32 0, v[33:34]
	s_cbranch_execz .LBB62_14
; %bb.5:
	v_cvt_f32_f16_e32 v59, v58
                                        ; implicit-def: $vgpr1
	s_mov_b32 s10, exec_lo
	v_cmpx_ne_u64_e32 1, v[33:34]
	s_xor_b32 s16, exec_lo, s10
	s_cbranch_execz .LBB62_11
; %bb.6:
	v_mov_b32_e32 v1, 0x7fc00000
	s_mov_b32 s17, exec_lo
	v_cmpx_gt_u64_e32 0x81, v[33:34]
	s_cbranch_execz .LBB62_10
; %bb.7:
	v_dual_add_f32 v59, v59, v59 :: v_dual_mov_b32 v60, 1.0
	v_lshlrev_b64 v[33:34], 1, v[33:34]
	s_mov_b64 s[10:11], 2
	s_mov_b32 s18, 0
	s_delay_alu instid0(VALU_DEP_2)
	v_mov_b32_e32 v1, v59
	.p2align	6
.LBB62_8:                               ; =>This Inner Loop Header: Depth=1
	s_clz_i32_u32 s19, s11
	s_delay_alu instid0(SALU_CYCLE_1) | instskip(NEXT) | instid1(SALU_CYCLE_1)
	s_min_u32 s19, s19, 32
	s_lshl_b64 s[20:21], s[10:11], s19
	s_sub_i32 s19, 32, s19
	s_min_u32 s20, s20, 1
	s_delay_alu instid0(SALU_CYCLE_1) | instskip(SKIP_3) | instid1(SALU_CYCLE_1)
	s_or_b32 s20, s21, s20
	s_add_u32 s10, s10, 2
	v_cvt_f32_u32_e32 v61, s20
	s_addc_u32 s11, s11, 0
	v_cmp_ge_u64_e32 vcc_lo, s[10:11], v[33:34]
	s_delay_alu instid0(VALU_DEP_2) | instskip(SKIP_1) | instid1(VALU_DEP_1)
	v_ldexp_f32 v61, v61, s19
	s_or_b32 s18, vcc_lo, s18
	v_dual_mul_f32 v61, v60, v61 :: v_dual_mov_b32 v60, v1
	s_delay_alu instid0(VALU_DEP_1)
	v_fma_f32 v1, v59, v1, -v61
	s_and_not1_b32 exec_lo, exec_lo, s18
	s_cbranch_execnz .LBB62_8
; %bb.9:
	s_or_b32 exec_lo, exec_lo, s18
.LBB62_10:
	s_delay_alu instid0(SALU_CYCLE_1)
	s_or_b32 exec_lo, exec_lo, s17
                                        ; implicit-def: $vgpr59
.LBB62_11:
	s_and_not1_saveexec_b32 s10, s16
; %bb.12:
	v_add_f32_e32 v1, v59, v59
; %bb.13:
	s_or_b32 exec_lo, exec_lo, s10
.LBB62_14:
	s_delay_alu instid0(SALU_CYCLE_1)
	s_or_b32 exec_lo, exec_lo, s14
.LBB62_15:
	s_delay_alu instid0(SALU_CYCLE_1) | instskip(SKIP_2) | instid1(VALU_DEP_1)
	s_or_b32 exec_lo, exec_lo, s13
	v_trunc_f32_e32 v33, v2
	s_mov_b32 s13, exec_lo
	v_mul_f32_e64 v34, 0x2f800000, |v33|
	s_delay_alu instid0(VALU_DEP_1) | instskip(NEXT) | instid1(VALU_DEP_1)
	v_floor_f32_e32 v34, v34
	v_fma_f32 v59, 0xcf800000, v34, |v33|
	v_ashrrev_i32_e32 v33, 31, v33
	v_cvt_u32_f32_e32 v34, v34
	s_delay_alu instid0(VALU_DEP_3) | instskip(NEXT) | instid1(VALU_DEP_2)
	v_cvt_u32_f32_e32 v59, v59
	v_xor_b32_e32 v34, v34, v33
	s_delay_alu instid0(VALU_DEP_2) | instskip(NEXT) | instid1(VALU_DEP_1)
	v_xor_b32_e32 v59, v59, v33
	v_sub_co_u32 v59, vcc_lo, v59, v33
	s_delay_alu instid0(VALU_DEP_3) | instskip(SKIP_2) | instid1(VALU_DEP_3)
	v_sub_co_ci_u32_e32 v33, vcc_lo, v34, v33, vcc_lo
	v_cmp_class_f32_e64 vcc_lo, v2, 0x1f8
	v_mov_b32_e32 v2, 0
	v_dual_cndmask_b32 v34, -1, v33 :: v_dual_cndmask_b32 v33, -1, v59
	s_delay_alu instid0(VALU_DEP_1)
	v_cmpx_lt_i64_e32 -1, v[33:34]
	s_cbranch_execz .LBB62_27
; %bb.16:
	v_mov_b32_e32 v2, 1.0
	s_mov_b32 s14, exec_lo
	v_cmpx_lt_i64_e32 0, v[33:34]
	s_cbranch_execz .LBB62_26
; %bb.17:
	v_lshrrev_b32_e32 v2, 16, v58
	s_mov_b32 s10, exec_lo
	s_delay_alu instid0(VALU_DEP_1)
	v_cvt_f32_f16_e32 v58, v2
	v_cmpx_ne_u64_e32 1, v[33:34]
	s_xor_b32 s16, exec_lo, s10
	s_cbranch_execz .LBB62_23
; %bb.18:
	v_mov_b32_e32 v2, 0x7fc00000
	s_mov_b32 s17, exec_lo
	v_cmpx_gt_u64_e32 0x81, v[33:34]
	s_cbranch_execz .LBB62_22
; %bb.19:
	v_dual_add_f32 v58, v58, v58 :: v_dual_mov_b32 v59, 1.0
	v_lshlrev_b64 v[33:34], 1, v[33:34]
	s_mov_b64 s[10:11], 2
	s_mov_b32 s18, 0
	s_delay_alu instid0(VALU_DEP_2)
	v_mov_b32_e32 v2, v58
	.p2align	6
.LBB62_20:                              ; =>This Inner Loop Header: Depth=1
	s_clz_i32_u32 s19, s11
	s_delay_alu instid0(SALU_CYCLE_1) | instskip(NEXT) | instid1(SALU_CYCLE_1)
	s_min_u32 s19, s19, 32
	s_lshl_b64 s[20:21], s[10:11], s19
	s_sub_i32 s19, 32, s19
	s_min_u32 s20, s20, 1
	s_delay_alu instid0(SALU_CYCLE_1) | instskip(SKIP_3) | instid1(SALU_CYCLE_1)
	s_or_b32 s20, s21, s20
	s_add_u32 s10, s10, 2
	v_cvt_f32_u32_e32 v60, s20
	s_addc_u32 s11, s11, 0
	v_cmp_ge_u64_e32 vcc_lo, s[10:11], v[33:34]
	s_delay_alu instid0(VALU_DEP_2) | instskip(SKIP_1) | instid1(VALU_DEP_1)
	v_ldexp_f32 v60, v60, s19
	s_or_b32 s18, vcc_lo, s18
	v_dual_mul_f32 v60, v59, v60 :: v_dual_mov_b32 v59, v2
	s_delay_alu instid0(VALU_DEP_1)
	v_fma_f32 v2, v58, v2, -v60
	s_and_not1_b32 exec_lo, exec_lo, s18
	s_cbranch_execnz .LBB62_20
; %bb.21:
	s_or_b32 exec_lo, exec_lo, s18
.LBB62_22:
	s_delay_alu instid0(SALU_CYCLE_1)
	s_or_b32 exec_lo, exec_lo, s17
                                        ; implicit-def: $vgpr58
.LBB62_23:
	s_and_not1_saveexec_b32 s10, s16
; %bb.24:
	v_add_f32_e32 v2, v58, v58
; %bb.25:
	s_or_b32 exec_lo, exec_lo, s10
.LBB62_26:
	s_delay_alu instid0(SALU_CYCLE_1)
	s_or_b32 exec_lo, exec_lo, s14
.LBB62_27:
	s_delay_alu instid0(SALU_CYCLE_1) | instskip(SKIP_3) | instid1(VALU_DEP_1)
	s_or_b32 exec_lo, exec_lo, s13
	s_waitcnt vmcnt(14)
	v_trunc_f32_e32 v33, v5
	s_mov_b32 s13, exec_lo
	v_mul_f32_e64 v34, 0x2f800000, |v33|
	s_delay_alu instid0(VALU_DEP_1) | instskip(NEXT) | instid1(VALU_DEP_1)
	v_floor_f32_e32 v34, v34
	v_fma_f32 v58, 0xcf800000, v34, |v33|
	v_ashrrev_i32_e32 v33, 31, v33
	v_cvt_u32_f32_e32 v34, v34
	s_delay_alu instid0(VALU_DEP_3) | instskip(NEXT) | instid1(VALU_DEP_2)
	v_cvt_u32_f32_e32 v58, v58
	v_xor_b32_e32 v34, v34, v33
	s_delay_alu instid0(VALU_DEP_2) | instskip(NEXT) | instid1(VALU_DEP_1)
	v_xor_b32_e32 v58, v58, v33
	v_sub_co_u32 v58, vcc_lo, v58, v33
	s_delay_alu instid0(VALU_DEP_3) | instskip(SKIP_1) | instid1(VALU_DEP_2)
	v_sub_co_ci_u32_e32 v33, vcc_lo, v34, v33, vcc_lo
	v_cmp_class_f32_e64 vcc_lo, v5, 0x1f8
	v_dual_mov_b32 v5, 0 :: v_dual_cndmask_b32 v34, -1, v33
	s_delay_alu instid0(VALU_DEP_4) | instskip(NEXT) | instid1(VALU_DEP_1)
	v_cndmask_b32_e32 v33, -1, v58, vcc_lo
	v_cmpx_lt_i64_e32 -1, v[33:34]
	s_cbranch_execz .LBB62_39
; %bb.28:
	v_mov_b32_e32 v5, 1.0
	s_mov_b32 s14, exec_lo
	v_cmpx_lt_i64_e32 0, v[33:34]
	s_cbranch_execz .LBB62_38
; %bb.29:
	v_cvt_f32_f16_e32 v58, v57
                                        ; implicit-def: $vgpr5
	s_mov_b32 s10, exec_lo
	v_cmpx_ne_u64_e32 1, v[33:34]
	s_xor_b32 s16, exec_lo, s10
	s_cbranch_execz .LBB62_35
; %bb.30:
	v_mov_b32_e32 v5, 0x7fc00000
	s_mov_b32 s17, exec_lo
	v_cmpx_gt_u64_e32 0x81, v[33:34]
	s_cbranch_execz .LBB62_34
; %bb.31:
	v_dual_add_f32 v58, v58, v58 :: v_dual_mov_b32 v59, 1.0
	v_lshlrev_b64 v[33:34], 1, v[33:34]
	s_mov_b64 s[10:11], 2
	s_mov_b32 s18, 0
	s_delay_alu instid0(VALU_DEP_2)
	v_mov_b32_e32 v5, v58
	.p2align	6
.LBB62_32:                              ; =>This Inner Loop Header: Depth=1
	s_clz_i32_u32 s19, s11
	s_delay_alu instid0(SALU_CYCLE_1) | instskip(NEXT) | instid1(SALU_CYCLE_1)
	s_min_u32 s19, s19, 32
	s_lshl_b64 s[20:21], s[10:11], s19
	s_sub_i32 s19, 32, s19
	s_min_u32 s20, s20, 1
	s_delay_alu instid0(SALU_CYCLE_1) | instskip(SKIP_3) | instid1(SALU_CYCLE_1)
	s_or_b32 s20, s21, s20
	s_add_u32 s10, s10, 2
	v_cvt_f32_u32_e32 v60, s20
	s_addc_u32 s11, s11, 0
	v_cmp_ge_u64_e32 vcc_lo, s[10:11], v[33:34]
	s_delay_alu instid0(VALU_DEP_2) | instskip(SKIP_1) | instid1(VALU_DEP_1)
	v_ldexp_f32 v60, v60, s19
	s_or_b32 s18, vcc_lo, s18
	v_dual_mul_f32 v60, v59, v60 :: v_dual_mov_b32 v59, v5
	s_delay_alu instid0(VALU_DEP_1)
	v_fma_f32 v5, v58, v5, -v60
	s_and_not1_b32 exec_lo, exec_lo, s18
	s_cbranch_execnz .LBB62_32
; %bb.33:
	s_or_b32 exec_lo, exec_lo, s18
.LBB62_34:
	s_delay_alu instid0(SALU_CYCLE_1)
	s_or_b32 exec_lo, exec_lo, s17
                                        ; implicit-def: $vgpr58
.LBB62_35:
	s_and_not1_saveexec_b32 s10, s16
; %bb.36:
	v_add_f32_e32 v5, v58, v58
; %bb.37:
	s_or_b32 exec_lo, exec_lo, s10
.LBB62_38:
	s_delay_alu instid0(SALU_CYCLE_1)
	s_or_b32 exec_lo, exec_lo, s14
.LBB62_39:
	s_delay_alu instid0(SALU_CYCLE_1) | instskip(SKIP_2) | instid1(VALU_DEP_1)
	s_or_b32 exec_lo, exec_lo, s13
	v_trunc_f32_e32 v33, v6
	s_mov_b32 s13, exec_lo
	v_mul_f32_e64 v34, 0x2f800000, |v33|
	s_delay_alu instid0(VALU_DEP_1) | instskip(NEXT) | instid1(VALU_DEP_1)
	v_floor_f32_e32 v34, v34
	v_fma_f32 v58, 0xcf800000, v34, |v33|
	v_ashrrev_i32_e32 v33, 31, v33
	v_cvt_u32_f32_e32 v34, v34
	s_delay_alu instid0(VALU_DEP_3) | instskip(NEXT) | instid1(VALU_DEP_2)
	v_cvt_u32_f32_e32 v58, v58
	v_xor_b32_e32 v34, v34, v33
	s_delay_alu instid0(VALU_DEP_2) | instskip(NEXT) | instid1(VALU_DEP_1)
	v_xor_b32_e32 v58, v58, v33
	v_sub_co_u32 v58, vcc_lo, v58, v33
	s_delay_alu instid0(VALU_DEP_3) | instskip(SKIP_2) | instid1(VALU_DEP_3)
	v_sub_co_ci_u32_e32 v33, vcc_lo, v34, v33, vcc_lo
	v_cmp_class_f32_e64 vcc_lo, v6, 0x1f8
	v_mov_b32_e32 v6, 0
	v_dual_cndmask_b32 v34, -1, v33 :: v_dual_cndmask_b32 v33, -1, v58
	s_delay_alu instid0(VALU_DEP_1)
	v_cmpx_lt_i64_e32 -1, v[33:34]
	s_cbranch_execz .LBB62_51
; %bb.40:
	v_mov_b32_e32 v6, 1.0
	s_mov_b32 s14, exec_lo
	v_cmpx_lt_i64_e32 0, v[33:34]
	s_cbranch_execz .LBB62_50
; %bb.41:
	v_lshrrev_b32_e32 v6, 16, v57
	s_mov_b32 s10, exec_lo
	s_delay_alu instid0(VALU_DEP_1)
	v_cvt_f32_f16_e32 v57, v6
	v_cmpx_ne_u64_e32 1, v[33:34]
	s_xor_b32 s16, exec_lo, s10
	s_cbranch_execz .LBB62_47
; %bb.42:
	v_mov_b32_e32 v6, 0x7fc00000
	s_mov_b32 s17, exec_lo
	v_cmpx_gt_u64_e32 0x81, v[33:34]
	s_cbranch_execz .LBB62_46
; %bb.43:
	v_dual_add_f32 v57, v57, v57 :: v_dual_mov_b32 v58, 1.0
	v_lshlrev_b64 v[33:34], 1, v[33:34]
	s_mov_b64 s[10:11], 2
	s_mov_b32 s18, 0
	s_delay_alu instid0(VALU_DEP_2)
	v_mov_b32_e32 v6, v57
	.p2align	6
.LBB62_44:                              ; =>This Inner Loop Header: Depth=1
	s_clz_i32_u32 s19, s11
	s_delay_alu instid0(SALU_CYCLE_1) | instskip(NEXT) | instid1(SALU_CYCLE_1)
	s_min_u32 s19, s19, 32
	s_lshl_b64 s[20:21], s[10:11], s19
	s_sub_i32 s19, 32, s19
	s_min_u32 s20, s20, 1
	s_delay_alu instid0(SALU_CYCLE_1) | instskip(SKIP_3) | instid1(SALU_CYCLE_1)
	s_or_b32 s20, s21, s20
	s_add_u32 s10, s10, 2
	v_cvt_f32_u32_e32 v59, s20
	s_addc_u32 s11, s11, 0
	v_cmp_ge_u64_e32 vcc_lo, s[10:11], v[33:34]
	s_delay_alu instid0(VALU_DEP_2) | instskip(SKIP_1) | instid1(VALU_DEP_1)
	v_ldexp_f32 v59, v59, s19
	s_or_b32 s18, vcc_lo, s18
	v_mul_f32_e32 v59, v58, v59
	v_mov_b32_e32 v58, v6
	s_delay_alu instid0(VALU_DEP_2)
	v_fma_f32 v6, v57, v6, -v59
	s_and_not1_b32 exec_lo, exec_lo, s18
	s_cbranch_execnz .LBB62_44
; %bb.45:
	s_or_b32 exec_lo, exec_lo, s18
.LBB62_46:
	s_delay_alu instid0(SALU_CYCLE_1)
	s_or_b32 exec_lo, exec_lo, s17
                                        ; implicit-def: $vgpr57
.LBB62_47:
	s_and_not1_saveexec_b32 s10, s16
; %bb.48:
	v_add_f32_e32 v6, v57, v57
; %bb.49:
	s_or_b32 exec_lo, exec_lo, s10
.LBB62_50:
	s_delay_alu instid0(SALU_CYCLE_1)
	s_or_b32 exec_lo, exec_lo, s14
.LBB62_51:
	s_delay_alu instid0(SALU_CYCLE_1) | instskip(SKIP_3) | instid1(VALU_DEP_1)
	s_or_b32 exec_lo, exec_lo, s13
	s_waitcnt vmcnt(13)
	v_trunc_f32_e32 v33, v9
	s_mov_b32 s13, exec_lo
	v_mul_f32_e64 v34, 0x2f800000, |v33|
	s_delay_alu instid0(VALU_DEP_1) | instskip(NEXT) | instid1(VALU_DEP_1)
	v_floor_f32_e32 v34, v34
	v_fma_f32 v57, 0xcf800000, v34, |v33|
	v_ashrrev_i32_e32 v33, 31, v33
	v_cvt_u32_f32_e32 v34, v34
	s_delay_alu instid0(VALU_DEP_3) | instskip(NEXT) | instid1(VALU_DEP_2)
	v_cvt_u32_f32_e32 v57, v57
	v_xor_b32_e32 v34, v34, v33
	s_delay_alu instid0(VALU_DEP_2) | instskip(NEXT) | instid1(VALU_DEP_1)
	v_xor_b32_e32 v57, v57, v33
	v_sub_co_u32 v57, vcc_lo, v57, v33
	s_delay_alu instid0(VALU_DEP_3) | instskip(SKIP_1) | instid1(VALU_DEP_2)
	v_sub_co_ci_u32_e32 v33, vcc_lo, v34, v33, vcc_lo
	v_cmp_class_f32_e64 vcc_lo, v9, 0x1f8
	v_dual_mov_b32 v9, 0 :: v_dual_cndmask_b32 v34, -1, v33
	s_delay_alu instid0(VALU_DEP_4) | instskip(NEXT) | instid1(VALU_DEP_1)
	v_cndmask_b32_e32 v33, -1, v57, vcc_lo
	v_cmpx_lt_i64_e32 -1, v[33:34]
	s_cbranch_execz .LBB62_63
; %bb.52:
	v_mov_b32_e32 v9, 1.0
	s_mov_b32 s14, exec_lo
	v_cmpx_lt_i64_e32 0, v[33:34]
	s_cbranch_execz .LBB62_62
; %bb.53:
	v_cvt_f32_f16_e32 v57, v56
                                        ; implicit-def: $vgpr9
	s_mov_b32 s10, exec_lo
	v_cmpx_ne_u64_e32 1, v[33:34]
	s_xor_b32 s16, exec_lo, s10
	s_cbranch_execz .LBB62_59
; %bb.54:
	v_mov_b32_e32 v9, 0x7fc00000
	s_mov_b32 s17, exec_lo
	v_cmpx_gt_u64_e32 0x81, v[33:34]
	s_cbranch_execz .LBB62_58
; %bb.55:
	v_dual_add_f32 v57, v57, v57 :: v_dual_mov_b32 v58, 1.0
	v_lshlrev_b64 v[33:34], 1, v[33:34]
	s_mov_b64 s[10:11], 2
	s_mov_b32 s18, 0
	s_delay_alu instid0(VALU_DEP_2)
	v_mov_b32_e32 v9, v57
	.p2align	6
.LBB62_56:                              ; =>This Inner Loop Header: Depth=1
	s_clz_i32_u32 s19, s11
	s_delay_alu instid0(SALU_CYCLE_1) | instskip(NEXT) | instid1(SALU_CYCLE_1)
	s_min_u32 s19, s19, 32
	s_lshl_b64 s[20:21], s[10:11], s19
	s_sub_i32 s19, 32, s19
	s_min_u32 s20, s20, 1
	s_delay_alu instid0(SALU_CYCLE_1) | instskip(SKIP_3) | instid1(SALU_CYCLE_1)
	s_or_b32 s20, s21, s20
	s_add_u32 s10, s10, 2
	v_cvt_f32_u32_e32 v59, s20
	s_addc_u32 s11, s11, 0
	v_cmp_ge_u64_e32 vcc_lo, s[10:11], v[33:34]
	s_delay_alu instid0(VALU_DEP_2) | instskip(SKIP_1) | instid1(VALU_DEP_1)
	v_ldexp_f32 v59, v59, s19
	s_or_b32 s18, vcc_lo, s18
	v_dual_mul_f32 v59, v58, v59 :: v_dual_mov_b32 v58, v9
	s_delay_alu instid0(VALU_DEP_1)
	v_fma_f32 v9, v57, v9, -v59
	s_and_not1_b32 exec_lo, exec_lo, s18
	s_cbranch_execnz .LBB62_56
; %bb.57:
	s_or_b32 exec_lo, exec_lo, s18
.LBB62_58:
	s_delay_alu instid0(SALU_CYCLE_1)
	s_or_b32 exec_lo, exec_lo, s17
                                        ; implicit-def: $vgpr57
.LBB62_59:
	s_and_not1_saveexec_b32 s10, s16
; %bb.60:
	v_add_f32_e32 v9, v57, v57
; %bb.61:
	s_or_b32 exec_lo, exec_lo, s10
.LBB62_62:
	s_delay_alu instid0(SALU_CYCLE_1)
	s_or_b32 exec_lo, exec_lo, s14
.LBB62_63:
	s_delay_alu instid0(SALU_CYCLE_1) | instskip(SKIP_2) | instid1(VALU_DEP_1)
	s_or_b32 exec_lo, exec_lo, s13
	v_trunc_f32_e32 v33, v10
	s_mov_b32 s13, exec_lo
	v_mul_f32_e64 v34, 0x2f800000, |v33|
	s_delay_alu instid0(VALU_DEP_1) | instskip(NEXT) | instid1(VALU_DEP_1)
	v_floor_f32_e32 v34, v34
	v_fma_f32 v57, 0xcf800000, v34, |v33|
	v_ashrrev_i32_e32 v33, 31, v33
	v_cvt_u32_f32_e32 v34, v34
	s_delay_alu instid0(VALU_DEP_3) | instskip(NEXT) | instid1(VALU_DEP_2)
	v_cvt_u32_f32_e32 v57, v57
	v_xor_b32_e32 v34, v34, v33
	s_delay_alu instid0(VALU_DEP_2) | instskip(NEXT) | instid1(VALU_DEP_1)
	v_xor_b32_e32 v57, v57, v33
	v_sub_co_u32 v57, vcc_lo, v57, v33
	s_delay_alu instid0(VALU_DEP_3) | instskip(SKIP_2) | instid1(VALU_DEP_3)
	v_sub_co_ci_u32_e32 v33, vcc_lo, v34, v33, vcc_lo
	v_cmp_class_f32_e64 vcc_lo, v10, 0x1f8
	v_mov_b32_e32 v10, 0
	v_cndmask_b32_e32 v34, -1, v33, vcc_lo
	v_cndmask_b32_e32 v33, -1, v57, vcc_lo
	s_delay_alu instid0(VALU_DEP_1)
	v_cmpx_lt_i64_e32 -1, v[33:34]
	s_cbranch_execz .LBB62_75
; %bb.64:
	v_mov_b32_e32 v10, 1.0
	s_mov_b32 s14, exec_lo
	v_cmpx_lt_i64_e32 0, v[33:34]
	s_cbranch_execz .LBB62_74
; %bb.65:
	v_lshrrev_b32_e32 v10, 16, v56
	s_mov_b32 s10, exec_lo
	s_delay_alu instid0(VALU_DEP_1)
	v_cvt_f32_f16_e32 v56, v10
	v_cmpx_ne_u64_e32 1, v[33:34]
	s_xor_b32 s16, exec_lo, s10
	s_cbranch_execz .LBB62_71
; %bb.66:
	v_mov_b32_e32 v10, 0x7fc00000
	s_mov_b32 s17, exec_lo
	v_cmpx_gt_u64_e32 0x81, v[33:34]
	s_cbranch_execz .LBB62_70
; %bb.67:
	v_dual_add_f32 v56, v56, v56 :: v_dual_mov_b32 v57, 1.0
	v_lshlrev_b64 v[33:34], 1, v[33:34]
	s_mov_b64 s[10:11], 2
	s_mov_b32 s18, 0
	s_delay_alu instid0(VALU_DEP_2)
	v_mov_b32_e32 v10, v56
	.p2align	6
.LBB62_68:                              ; =>This Inner Loop Header: Depth=1
	s_clz_i32_u32 s19, s11
	s_delay_alu instid0(SALU_CYCLE_1) | instskip(NEXT) | instid1(SALU_CYCLE_1)
	s_min_u32 s19, s19, 32
	s_lshl_b64 s[20:21], s[10:11], s19
	s_sub_i32 s19, 32, s19
	s_min_u32 s20, s20, 1
	s_delay_alu instid0(SALU_CYCLE_1) | instskip(SKIP_3) | instid1(SALU_CYCLE_1)
	s_or_b32 s20, s21, s20
	s_add_u32 s10, s10, 2
	v_cvt_f32_u32_e32 v58, s20
	s_addc_u32 s11, s11, 0
	v_cmp_ge_u64_e32 vcc_lo, s[10:11], v[33:34]
	s_delay_alu instid0(VALU_DEP_2) | instskip(SKIP_1) | instid1(VALU_DEP_1)
	v_ldexp_f32 v58, v58, s19
	s_or_b32 s18, vcc_lo, s18
	v_dual_mul_f32 v58, v57, v58 :: v_dual_mov_b32 v57, v10
	s_delay_alu instid0(VALU_DEP_1)
	v_fma_f32 v10, v56, v10, -v58
	s_and_not1_b32 exec_lo, exec_lo, s18
	s_cbranch_execnz .LBB62_68
; %bb.69:
	s_or_b32 exec_lo, exec_lo, s18
.LBB62_70:
	s_delay_alu instid0(SALU_CYCLE_1)
	s_or_b32 exec_lo, exec_lo, s17
                                        ; implicit-def: $vgpr56
.LBB62_71:
	s_and_not1_saveexec_b32 s10, s16
; %bb.72:
	v_add_f32_e32 v10, v56, v56
; %bb.73:
	s_or_b32 exec_lo, exec_lo, s10
.LBB62_74:
	s_delay_alu instid0(SALU_CYCLE_1)
	s_or_b32 exec_lo, exec_lo, s14
.LBB62_75:
	s_delay_alu instid0(SALU_CYCLE_1) | instskip(SKIP_3) | instid1(VALU_DEP_1)
	s_or_b32 exec_lo, exec_lo, s13
	s_waitcnt vmcnt(12)
	v_trunc_f32_e32 v33, v13
	s_mov_b32 s13, exec_lo
	v_mul_f32_e64 v34, 0x2f800000, |v33|
	s_delay_alu instid0(VALU_DEP_1) | instskip(NEXT) | instid1(VALU_DEP_1)
	v_floor_f32_e32 v34, v34
	v_fma_f32 v56, 0xcf800000, v34, |v33|
	v_ashrrev_i32_e32 v33, 31, v33
	v_cvt_u32_f32_e32 v34, v34
	s_delay_alu instid0(VALU_DEP_3) | instskip(NEXT) | instid1(VALU_DEP_2)
	v_cvt_u32_f32_e32 v56, v56
	v_xor_b32_e32 v34, v34, v33
	s_delay_alu instid0(VALU_DEP_2) | instskip(NEXT) | instid1(VALU_DEP_1)
	v_xor_b32_e32 v56, v56, v33
	v_sub_co_u32 v56, vcc_lo, v56, v33
	s_delay_alu instid0(VALU_DEP_3) | instskip(SKIP_1) | instid1(VALU_DEP_2)
	v_sub_co_ci_u32_e32 v33, vcc_lo, v34, v33, vcc_lo
	v_cmp_class_f32_e64 vcc_lo, v13, 0x1f8
	v_dual_mov_b32 v13, 0 :: v_dual_cndmask_b32 v34, -1, v33
	s_delay_alu instid0(VALU_DEP_4) | instskip(NEXT) | instid1(VALU_DEP_1)
	v_cndmask_b32_e32 v33, -1, v56, vcc_lo
	v_cmpx_lt_i64_e32 -1, v[33:34]
	s_cbranch_execz .LBB62_87
; %bb.76:
	v_mov_b32_e32 v13, 1.0
	s_mov_b32 s14, exec_lo
	v_cmpx_lt_i64_e32 0, v[33:34]
	s_cbranch_execz .LBB62_86
; %bb.77:
	v_cvt_f32_f16_e32 v56, v55
                                        ; implicit-def: $vgpr13
	s_mov_b32 s10, exec_lo
	v_cmpx_ne_u64_e32 1, v[33:34]
	s_xor_b32 s16, exec_lo, s10
	s_cbranch_execz .LBB62_83
; %bb.78:
	v_mov_b32_e32 v13, 0x7fc00000
	s_mov_b32 s17, exec_lo
	v_cmpx_gt_u64_e32 0x81, v[33:34]
	s_cbranch_execz .LBB62_82
; %bb.79:
	v_dual_add_f32 v56, v56, v56 :: v_dual_mov_b32 v57, 1.0
	v_lshlrev_b64 v[33:34], 1, v[33:34]
	s_mov_b64 s[10:11], 2
	s_mov_b32 s18, 0
	s_delay_alu instid0(VALU_DEP_2)
	v_mov_b32_e32 v13, v56
	.p2align	6
.LBB62_80:                              ; =>This Inner Loop Header: Depth=1
	s_clz_i32_u32 s19, s11
	s_delay_alu instid0(SALU_CYCLE_1) | instskip(NEXT) | instid1(SALU_CYCLE_1)
	s_min_u32 s19, s19, 32
	s_lshl_b64 s[20:21], s[10:11], s19
	s_sub_i32 s19, 32, s19
	s_min_u32 s20, s20, 1
	s_delay_alu instid0(SALU_CYCLE_1) | instskip(SKIP_3) | instid1(SALU_CYCLE_1)
	s_or_b32 s20, s21, s20
	s_add_u32 s10, s10, 2
	v_cvt_f32_u32_e32 v58, s20
	s_addc_u32 s11, s11, 0
	v_cmp_ge_u64_e32 vcc_lo, s[10:11], v[33:34]
	s_delay_alu instid0(VALU_DEP_2) | instskip(SKIP_1) | instid1(VALU_DEP_1)
	v_ldexp_f32 v58, v58, s19
	s_or_b32 s18, vcc_lo, s18
	v_mul_f32_e32 v58, v57, v58
	v_mov_b32_e32 v57, v13
	s_delay_alu instid0(VALU_DEP_2)
	v_fma_f32 v13, v56, v13, -v58
	s_and_not1_b32 exec_lo, exec_lo, s18
	s_cbranch_execnz .LBB62_80
; %bb.81:
	s_or_b32 exec_lo, exec_lo, s18
.LBB62_82:
	s_delay_alu instid0(SALU_CYCLE_1)
	s_or_b32 exec_lo, exec_lo, s17
                                        ; implicit-def: $vgpr56
.LBB62_83:
	s_and_not1_saveexec_b32 s10, s16
; %bb.84:
	v_add_f32_e32 v13, v56, v56
; %bb.85:
	s_or_b32 exec_lo, exec_lo, s10
.LBB62_86:
	s_delay_alu instid0(SALU_CYCLE_1)
	s_or_b32 exec_lo, exec_lo, s14
.LBB62_87:
	s_delay_alu instid0(SALU_CYCLE_1) | instskip(SKIP_2) | instid1(VALU_DEP_1)
	s_or_b32 exec_lo, exec_lo, s13
	v_trunc_f32_e32 v33, v14
	s_mov_b32 s13, exec_lo
	v_mul_f32_e64 v34, 0x2f800000, |v33|
	s_delay_alu instid0(VALU_DEP_1) | instskip(NEXT) | instid1(VALU_DEP_1)
	v_floor_f32_e32 v34, v34
	v_fma_f32 v56, 0xcf800000, v34, |v33|
	v_ashrrev_i32_e32 v33, 31, v33
	v_cvt_u32_f32_e32 v34, v34
	s_delay_alu instid0(VALU_DEP_3) | instskip(NEXT) | instid1(VALU_DEP_2)
	v_cvt_u32_f32_e32 v56, v56
	v_xor_b32_e32 v34, v34, v33
	s_delay_alu instid0(VALU_DEP_2) | instskip(NEXT) | instid1(VALU_DEP_1)
	v_xor_b32_e32 v56, v56, v33
	v_sub_co_u32 v56, vcc_lo, v56, v33
	s_delay_alu instid0(VALU_DEP_3) | instskip(SKIP_2) | instid1(VALU_DEP_3)
	v_sub_co_ci_u32_e32 v33, vcc_lo, v34, v33, vcc_lo
	v_cmp_class_f32_e64 vcc_lo, v14, 0x1f8
	v_mov_b32_e32 v14, 0
	v_dual_cndmask_b32 v34, -1, v33 :: v_dual_cndmask_b32 v33, -1, v56
	s_delay_alu instid0(VALU_DEP_1)
	v_cmpx_lt_i64_e32 -1, v[33:34]
	s_cbranch_execz .LBB62_99
; %bb.88:
	v_mov_b32_e32 v14, 1.0
	s_mov_b32 s14, exec_lo
	v_cmpx_lt_i64_e32 0, v[33:34]
	s_cbranch_execz .LBB62_98
; %bb.89:
	v_lshrrev_b32_e32 v14, 16, v55
	s_mov_b32 s10, exec_lo
	s_delay_alu instid0(VALU_DEP_1)
	v_cvt_f32_f16_e32 v55, v14
	v_cmpx_ne_u64_e32 1, v[33:34]
	s_xor_b32 s16, exec_lo, s10
	s_cbranch_execz .LBB62_95
; %bb.90:
	v_mov_b32_e32 v14, 0x7fc00000
	s_mov_b32 s17, exec_lo
	v_cmpx_gt_u64_e32 0x81, v[33:34]
	s_cbranch_execz .LBB62_94
; %bb.91:
	v_dual_add_f32 v55, v55, v55 :: v_dual_mov_b32 v56, 1.0
	v_lshlrev_b64 v[33:34], 1, v[33:34]
	s_mov_b64 s[10:11], 2
	s_mov_b32 s18, 0
	s_delay_alu instid0(VALU_DEP_2)
	v_mov_b32_e32 v14, v55
	.p2align	6
.LBB62_92:                              ; =>This Inner Loop Header: Depth=1
	s_clz_i32_u32 s19, s11
	s_delay_alu instid0(SALU_CYCLE_1) | instskip(NEXT) | instid1(SALU_CYCLE_1)
	s_min_u32 s19, s19, 32
	s_lshl_b64 s[20:21], s[10:11], s19
	s_sub_i32 s19, 32, s19
	s_min_u32 s20, s20, 1
	s_delay_alu instid0(SALU_CYCLE_1) | instskip(SKIP_3) | instid1(SALU_CYCLE_1)
	s_or_b32 s20, s21, s20
	s_add_u32 s10, s10, 2
	v_cvt_f32_u32_e32 v57, s20
	s_addc_u32 s11, s11, 0
	v_cmp_ge_u64_e32 vcc_lo, s[10:11], v[33:34]
	s_delay_alu instid0(VALU_DEP_2) | instskip(SKIP_1) | instid1(VALU_DEP_1)
	v_ldexp_f32 v57, v57, s19
	s_or_b32 s18, vcc_lo, s18
	v_dual_mul_f32 v57, v56, v57 :: v_dual_mov_b32 v56, v14
	s_delay_alu instid0(VALU_DEP_1)
	v_fma_f32 v14, v55, v14, -v57
	s_and_not1_b32 exec_lo, exec_lo, s18
	s_cbranch_execnz .LBB62_92
; %bb.93:
	s_or_b32 exec_lo, exec_lo, s18
.LBB62_94:
	s_delay_alu instid0(SALU_CYCLE_1)
	s_or_b32 exec_lo, exec_lo, s17
                                        ; implicit-def: $vgpr55
.LBB62_95:
	s_and_not1_saveexec_b32 s10, s16
; %bb.96:
	v_add_f32_e32 v14, v55, v55
; %bb.97:
	s_or_b32 exec_lo, exec_lo, s10
.LBB62_98:
	s_delay_alu instid0(SALU_CYCLE_1)
	s_or_b32 exec_lo, exec_lo, s14
.LBB62_99:
	s_delay_alu instid0(SALU_CYCLE_1) | instskip(SKIP_3) | instid1(VALU_DEP_1)
	s_or_b32 exec_lo, exec_lo, s13
	s_waitcnt vmcnt(11)
	v_trunc_f32_e32 v33, v17
	s_mov_b32 s13, exec_lo
	v_mul_f32_e64 v34, 0x2f800000, |v33|
	s_delay_alu instid0(VALU_DEP_1) | instskip(NEXT) | instid1(VALU_DEP_1)
	v_floor_f32_e32 v34, v34
	v_fma_f32 v55, 0xcf800000, v34, |v33|
	v_ashrrev_i32_e32 v33, 31, v33
	v_cvt_u32_f32_e32 v34, v34
	s_delay_alu instid0(VALU_DEP_3) | instskip(NEXT) | instid1(VALU_DEP_2)
	v_cvt_u32_f32_e32 v55, v55
	v_xor_b32_e32 v34, v34, v33
	s_delay_alu instid0(VALU_DEP_2) | instskip(NEXT) | instid1(VALU_DEP_1)
	v_xor_b32_e32 v55, v55, v33
	v_sub_co_u32 v55, vcc_lo, v55, v33
	s_delay_alu instid0(VALU_DEP_3) | instskip(SKIP_1) | instid1(VALU_DEP_2)
	v_sub_co_ci_u32_e32 v33, vcc_lo, v34, v33, vcc_lo
	v_cmp_class_f32_e64 vcc_lo, v17, 0x1f8
	v_dual_mov_b32 v17, 0 :: v_dual_cndmask_b32 v34, -1, v33
	s_delay_alu instid0(VALU_DEP_4) | instskip(NEXT) | instid1(VALU_DEP_1)
	v_cndmask_b32_e32 v33, -1, v55, vcc_lo
	v_cmpx_lt_i64_e32 -1, v[33:34]
	s_cbranch_execz .LBB62_111
; %bb.100:
	v_mov_b32_e32 v17, 1.0
	s_mov_b32 s14, exec_lo
	v_cmpx_lt_i64_e32 0, v[33:34]
	s_cbranch_execz .LBB62_110
; %bb.101:
	v_cvt_f32_f16_e32 v55, v54
                                        ; implicit-def: $vgpr17
	s_mov_b32 s10, exec_lo
	v_cmpx_ne_u64_e32 1, v[33:34]
	s_xor_b32 s16, exec_lo, s10
	s_cbranch_execz .LBB62_107
; %bb.102:
	v_mov_b32_e32 v17, 0x7fc00000
	s_mov_b32 s17, exec_lo
	v_cmpx_gt_u64_e32 0x81, v[33:34]
	s_cbranch_execz .LBB62_106
; %bb.103:
	v_dual_add_f32 v55, v55, v55 :: v_dual_mov_b32 v56, 1.0
	v_lshlrev_b64 v[33:34], 1, v[33:34]
	s_mov_b64 s[10:11], 2
	s_mov_b32 s18, 0
	s_delay_alu instid0(VALU_DEP_2)
	v_mov_b32_e32 v17, v55
	.p2align	6
.LBB62_104:                             ; =>This Inner Loop Header: Depth=1
	s_clz_i32_u32 s19, s11
	s_delay_alu instid0(SALU_CYCLE_1) | instskip(NEXT) | instid1(SALU_CYCLE_1)
	s_min_u32 s19, s19, 32
	s_lshl_b64 s[20:21], s[10:11], s19
	s_sub_i32 s19, 32, s19
	s_min_u32 s20, s20, 1
	s_delay_alu instid0(SALU_CYCLE_1) | instskip(SKIP_3) | instid1(SALU_CYCLE_1)
	s_or_b32 s20, s21, s20
	s_add_u32 s10, s10, 2
	v_cvt_f32_u32_e32 v57, s20
	s_addc_u32 s11, s11, 0
	v_cmp_ge_u64_e32 vcc_lo, s[10:11], v[33:34]
	s_delay_alu instid0(VALU_DEP_2) | instskip(SKIP_1) | instid1(VALU_DEP_1)
	v_ldexp_f32 v57, v57, s19
	s_or_b32 s18, vcc_lo, s18
	v_dual_mul_f32 v57, v56, v57 :: v_dual_mov_b32 v56, v17
	s_delay_alu instid0(VALU_DEP_1)
	v_fma_f32 v17, v55, v17, -v57
	s_and_not1_b32 exec_lo, exec_lo, s18
	s_cbranch_execnz .LBB62_104
; %bb.105:
	s_or_b32 exec_lo, exec_lo, s18
.LBB62_106:
	s_delay_alu instid0(SALU_CYCLE_1)
	s_or_b32 exec_lo, exec_lo, s17
                                        ; implicit-def: $vgpr55
.LBB62_107:
	s_and_not1_saveexec_b32 s10, s16
; %bb.108:
	v_add_f32_e32 v17, v55, v55
; %bb.109:
	s_or_b32 exec_lo, exec_lo, s10
.LBB62_110:
	s_delay_alu instid0(SALU_CYCLE_1)
	s_or_b32 exec_lo, exec_lo, s14
.LBB62_111:
	s_delay_alu instid0(SALU_CYCLE_1) | instskip(SKIP_2) | instid1(VALU_DEP_1)
	s_or_b32 exec_lo, exec_lo, s13
	v_trunc_f32_e32 v33, v18
	s_mov_b32 s13, exec_lo
	v_mul_f32_e64 v34, 0x2f800000, |v33|
	s_delay_alu instid0(VALU_DEP_1) | instskip(NEXT) | instid1(VALU_DEP_1)
	v_floor_f32_e32 v34, v34
	v_fma_f32 v55, 0xcf800000, v34, |v33|
	v_ashrrev_i32_e32 v33, 31, v33
	v_cvt_u32_f32_e32 v34, v34
	s_delay_alu instid0(VALU_DEP_3) | instskip(NEXT) | instid1(VALU_DEP_2)
	v_cvt_u32_f32_e32 v55, v55
	v_xor_b32_e32 v34, v34, v33
	s_delay_alu instid0(VALU_DEP_2) | instskip(NEXT) | instid1(VALU_DEP_1)
	v_xor_b32_e32 v55, v55, v33
	v_sub_co_u32 v55, vcc_lo, v55, v33
	s_delay_alu instid0(VALU_DEP_3) | instskip(SKIP_2) | instid1(VALU_DEP_3)
	v_sub_co_ci_u32_e32 v33, vcc_lo, v34, v33, vcc_lo
	v_cmp_class_f32_e64 vcc_lo, v18, 0x1f8
	v_mov_b32_e32 v18, 0
	v_dual_cndmask_b32 v34, -1, v33 :: v_dual_cndmask_b32 v33, -1, v55
	s_delay_alu instid0(VALU_DEP_1)
	v_cmpx_lt_i64_e32 -1, v[33:34]
	s_cbranch_execz .LBB62_123
; %bb.112:
	v_mov_b32_e32 v18, 1.0
	s_mov_b32 s14, exec_lo
	v_cmpx_lt_i64_e32 0, v[33:34]
	s_cbranch_execz .LBB62_122
; %bb.113:
	v_lshrrev_b32_e32 v18, 16, v54
	s_mov_b32 s10, exec_lo
	s_delay_alu instid0(VALU_DEP_1)
	v_cvt_f32_f16_e32 v54, v18
	v_cmpx_ne_u64_e32 1, v[33:34]
	s_xor_b32 s16, exec_lo, s10
	s_cbranch_execz .LBB62_119
; %bb.114:
	v_mov_b32_e32 v18, 0x7fc00000
	s_mov_b32 s17, exec_lo
	v_cmpx_gt_u64_e32 0x81, v[33:34]
	s_cbranch_execz .LBB62_118
; %bb.115:
	v_dual_add_f32 v54, v54, v54 :: v_dual_mov_b32 v55, 1.0
	v_lshlrev_b64 v[33:34], 1, v[33:34]
	s_mov_b64 s[10:11], 2
	s_mov_b32 s18, 0
	s_delay_alu instid0(VALU_DEP_2)
	v_mov_b32_e32 v18, v54
	.p2align	6
.LBB62_116:                             ; =>This Inner Loop Header: Depth=1
	s_clz_i32_u32 s19, s11
	s_delay_alu instid0(SALU_CYCLE_1) | instskip(NEXT) | instid1(SALU_CYCLE_1)
	s_min_u32 s19, s19, 32
	s_lshl_b64 s[20:21], s[10:11], s19
	s_sub_i32 s19, 32, s19
	s_min_u32 s20, s20, 1
	s_delay_alu instid0(SALU_CYCLE_1) | instskip(SKIP_3) | instid1(SALU_CYCLE_1)
	s_or_b32 s20, s21, s20
	s_add_u32 s10, s10, 2
	v_cvt_f32_u32_e32 v56, s20
	s_addc_u32 s11, s11, 0
	v_cmp_ge_u64_e32 vcc_lo, s[10:11], v[33:34]
	s_delay_alu instid0(VALU_DEP_2) | instskip(SKIP_1) | instid1(VALU_DEP_1)
	v_ldexp_f32 v56, v56, s19
	s_or_b32 s18, vcc_lo, s18
	v_dual_mul_f32 v56, v55, v56 :: v_dual_mov_b32 v55, v18
	s_delay_alu instid0(VALU_DEP_1)
	v_fma_f32 v18, v54, v18, -v56
	s_and_not1_b32 exec_lo, exec_lo, s18
	s_cbranch_execnz .LBB62_116
; %bb.117:
	s_or_b32 exec_lo, exec_lo, s18
.LBB62_118:
	s_delay_alu instid0(SALU_CYCLE_1)
	s_or_b32 exec_lo, exec_lo, s17
                                        ; implicit-def: $vgpr54
.LBB62_119:
	s_and_not1_saveexec_b32 s10, s16
; %bb.120:
	v_add_f32_e32 v18, v54, v54
; %bb.121:
	s_or_b32 exec_lo, exec_lo, s10
.LBB62_122:
	s_delay_alu instid0(SALU_CYCLE_1)
	s_or_b32 exec_lo, exec_lo, s14
.LBB62_123:
	s_delay_alu instid0(SALU_CYCLE_1) | instskip(SKIP_3) | instid1(VALU_DEP_1)
	s_or_b32 exec_lo, exec_lo, s13
	s_waitcnt vmcnt(10)
	v_trunc_f32_e32 v33, v21
	s_mov_b32 s13, exec_lo
	v_mul_f32_e64 v34, 0x2f800000, |v33|
	s_delay_alu instid0(VALU_DEP_1) | instskip(NEXT) | instid1(VALU_DEP_1)
	v_floor_f32_e32 v34, v34
	v_fma_f32 v54, 0xcf800000, v34, |v33|
	v_ashrrev_i32_e32 v33, 31, v33
	v_cvt_u32_f32_e32 v34, v34
	s_delay_alu instid0(VALU_DEP_3) | instskip(NEXT) | instid1(VALU_DEP_2)
	v_cvt_u32_f32_e32 v54, v54
	v_xor_b32_e32 v34, v34, v33
	s_delay_alu instid0(VALU_DEP_2) | instskip(NEXT) | instid1(VALU_DEP_1)
	v_xor_b32_e32 v54, v54, v33
	v_sub_co_u32 v54, vcc_lo, v54, v33
	s_delay_alu instid0(VALU_DEP_3) | instskip(SKIP_1) | instid1(VALU_DEP_2)
	v_sub_co_ci_u32_e32 v33, vcc_lo, v34, v33, vcc_lo
	v_cmp_class_f32_e64 vcc_lo, v21, 0x1f8
	v_dual_mov_b32 v21, 0 :: v_dual_cndmask_b32 v34, -1, v33
	s_delay_alu instid0(VALU_DEP_4) | instskip(NEXT) | instid1(VALU_DEP_1)
	v_cndmask_b32_e32 v33, -1, v54, vcc_lo
	v_cmpx_lt_i64_e32 -1, v[33:34]
	s_cbranch_execz .LBB62_135
; %bb.124:
	v_mov_b32_e32 v21, 1.0
	s_mov_b32 s14, exec_lo
	v_cmpx_lt_i64_e32 0, v[33:34]
	s_cbranch_execz .LBB62_134
; %bb.125:
	v_cvt_f32_f16_e32 v54, v53
                                        ; implicit-def: $vgpr21
	s_mov_b32 s10, exec_lo
	v_cmpx_ne_u64_e32 1, v[33:34]
	s_xor_b32 s16, exec_lo, s10
	s_cbranch_execz .LBB62_131
; %bb.126:
	v_mov_b32_e32 v21, 0x7fc00000
	s_mov_b32 s17, exec_lo
	v_cmpx_gt_u64_e32 0x81, v[33:34]
	s_cbranch_execz .LBB62_130
; %bb.127:
	v_dual_add_f32 v54, v54, v54 :: v_dual_mov_b32 v55, 1.0
	v_lshlrev_b64 v[33:34], 1, v[33:34]
	s_mov_b64 s[10:11], 2
	s_mov_b32 s18, 0
	s_delay_alu instid0(VALU_DEP_2)
	v_mov_b32_e32 v21, v54
	.p2align	6
.LBB62_128:                             ; =>This Inner Loop Header: Depth=1
	s_clz_i32_u32 s19, s11
	s_delay_alu instid0(SALU_CYCLE_1) | instskip(NEXT) | instid1(SALU_CYCLE_1)
	s_min_u32 s19, s19, 32
	s_lshl_b64 s[20:21], s[10:11], s19
	s_sub_i32 s19, 32, s19
	s_min_u32 s20, s20, 1
	s_delay_alu instid0(SALU_CYCLE_1) | instskip(SKIP_3) | instid1(SALU_CYCLE_1)
	s_or_b32 s20, s21, s20
	s_add_u32 s10, s10, 2
	v_cvt_f32_u32_e32 v56, s20
	s_addc_u32 s11, s11, 0
	v_cmp_ge_u64_e32 vcc_lo, s[10:11], v[33:34]
	s_delay_alu instid0(VALU_DEP_2) | instskip(SKIP_1) | instid1(VALU_DEP_1)
	v_ldexp_f32 v56, v56, s19
	s_or_b32 s18, vcc_lo, s18
	v_dual_mul_f32 v56, v55, v56 :: v_dual_mov_b32 v55, v21
	s_delay_alu instid0(VALU_DEP_1)
	v_fma_f32 v21, v54, v21, -v56
	s_and_not1_b32 exec_lo, exec_lo, s18
	s_cbranch_execnz .LBB62_128
; %bb.129:
	s_or_b32 exec_lo, exec_lo, s18
.LBB62_130:
	s_delay_alu instid0(SALU_CYCLE_1)
	s_or_b32 exec_lo, exec_lo, s17
                                        ; implicit-def: $vgpr54
.LBB62_131:
	s_and_not1_saveexec_b32 s10, s16
; %bb.132:
	v_add_f32_e32 v21, v54, v54
; %bb.133:
	s_or_b32 exec_lo, exec_lo, s10
.LBB62_134:
	s_delay_alu instid0(SALU_CYCLE_1)
	s_or_b32 exec_lo, exec_lo, s14
.LBB62_135:
	s_delay_alu instid0(SALU_CYCLE_1) | instskip(SKIP_2) | instid1(VALU_DEP_1)
	s_or_b32 exec_lo, exec_lo, s13
	v_trunc_f32_e32 v33, v22
	s_mov_b32 s13, exec_lo
	v_mul_f32_e64 v34, 0x2f800000, |v33|
	s_delay_alu instid0(VALU_DEP_1) | instskip(NEXT) | instid1(VALU_DEP_1)
	v_floor_f32_e32 v34, v34
	v_fma_f32 v54, 0xcf800000, v34, |v33|
	v_ashrrev_i32_e32 v33, 31, v33
	v_cvt_u32_f32_e32 v34, v34
	s_delay_alu instid0(VALU_DEP_3) | instskip(NEXT) | instid1(VALU_DEP_2)
	v_cvt_u32_f32_e32 v54, v54
	v_xor_b32_e32 v34, v34, v33
	s_delay_alu instid0(VALU_DEP_2) | instskip(NEXT) | instid1(VALU_DEP_1)
	v_xor_b32_e32 v54, v54, v33
	v_sub_co_u32 v54, vcc_lo, v54, v33
	s_delay_alu instid0(VALU_DEP_3) | instskip(SKIP_2) | instid1(VALU_DEP_3)
	v_sub_co_ci_u32_e32 v33, vcc_lo, v34, v33, vcc_lo
	v_cmp_class_f32_e64 vcc_lo, v22, 0x1f8
	v_mov_b32_e32 v22, 0
	v_dual_cndmask_b32 v34, -1, v33 :: v_dual_cndmask_b32 v33, -1, v54
	s_delay_alu instid0(VALU_DEP_1)
	v_cmpx_lt_i64_e32 -1, v[33:34]
	s_cbranch_execz .LBB62_147
; %bb.136:
	v_mov_b32_e32 v22, 1.0
	s_mov_b32 s14, exec_lo
	v_cmpx_lt_i64_e32 0, v[33:34]
	s_cbranch_execz .LBB62_146
; %bb.137:
	v_lshrrev_b32_e32 v22, 16, v53
	s_mov_b32 s10, exec_lo
	s_delay_alu instid0(VALU_DEP_1)
	v_cvt_f32_f16_e32 v53, v22
	v_cmpx_ne_u64_e32 1, v[33:34]
	s_xor_b32 s16, exec_lo, s10
	s_cbranch_execz .LBB62_143
; %bb.138:
	v_mov_b32_e32 v22, 0x7fc00000
	s_mov_b32 s17, exec_lo
	v_cmpx_gt_u64_e32 0x81, v[33:34]
	s_cbranch_execz .LBB62_142
; %bb.139:
	v_dual_add_f32 v53, v53, v53 :: v_dual_mov_b32 v54, 1.0
	v_lshlrev_b64 v[33:34], 1, v[33:34]
	s_mov_b64 s[10:11], 2
	s_mov_b32 s18, 0
	s_delay_alu instid0(VALU_DEP_2)
	v_mov_b32_e32 v22, v53
	.p2align	6
.LBB62_140:                             ; =>This Inner Loop Header: Depth=1
	s_clz_i32_u32 s19, s11
	s_delay_alu instid0(SALU_CYCLE_1) | instskip(NEXT) | instid1(SALU_CYCLE_1)
	s_min_u32 s19, s19, 32
	s_lshl_b64 s[20:21], s[10:11], s19
	s_sub_i32 s19, 32, s19
	s_min_u32 s20, s20, 1
	s_delay_alu instid0(SALU_CYCLE_1) | instskip(SKIP_3) | instid1(SALU_CYCLE_1)
	s_or_b32 s20, s21, s20
	s_add_u32 s10, s10, 2
	v_cvt_f32_u32_e32 v55, s20
	s_addc_u32 s11, s11, 0
	v_cmp_ge_u64_e32 vcc_lo, s[10:11], v[33:34]
	s_delay_alu instid0(VALU_DEP_2) | instskip(SKIP_1) | instid1(VALU_DEP_1)
	v_ldexp_f32 v55, v55, s19
	s_or_b32 s18, vcc_lo, s18
	v_mul_f32_e32 v55, v54, v55
	v_mov_b32_e32 v54, v22
	s_delay_alu instid0(VALU_DEP_2)
	v_fma_f32 v22, v53, v22, -v55
	s_and_not1_b32 exec_lo, exec_lo, s18
	s_cbranch_execnz .LBB62_140
; %bb.141:
	s_or_b32 exec_lo, exec_lo, s18
.LBB62_142:
	s_delay_alu instid0(SALU_CYCLE_1)
	s_or_b32 exec_lo, exec_lo, s17
                                        ; implicit-def: $vgpr53
.LBB62_143:
	s_and_not1_saveexec_b32 s10, s16
; %bb.144:
	v_add_f32_e32 v22, v53, v53
; %bb.145:
	s_or_b32 exec_lo, exec_lo, s10
.LBB62_146:
	s_delay_alu instid0(SALU_CYCLE_1)
	s_or_b32 exec_lo, exec_lo, s14
.LBB62_147:
	s_delay_alu instid0(SALU_CYCLE_1) | instskip(SKIP_3) | instid1(VALU_DEP_1)
	s_or_b32 exec_lo, exec_lo, s13
	s_waitcnt vmcnt(9)
	v_trunc_f32_e32 v33, v25
	s_mov_b32 s13, exec_lo
	v_mul_f32_e64 v34, 0x2f800000, |v33|
	s_delay_alu instid0(VALU_DEP_1) | instskip(NEXT) | instid1(VALU_DEP_1)
	v_floor_f32_e32 v34, v34
	v_fma_f32 v53, 0xcf800000, v34, |v33|
	v_ashrrev_i32_e32 v33, 31, v33
	v_cvt_u32_f32_e32 v34, v34
	s_delay_alu instid0(VALU_DEP_3) | instskip(NEXT) | instid1(VALU_DEP_2)
	v_cvt_u32_f32_e32 v53, v53
	v_xor_b32_e32 v34, v34, v33
	s_delay_alu instid0(VALU_DEP_2) | instskip(NEXT) | instid1(VALU_DEP_1)
	v_xor_b32_e32 v53, v53, v33
	v_sub_co_u32 v53, vcc_lo, v53, v33
	s_delay_alu instid0(VALU_DEP_3) | instskip(SKIP_1) | instid1(VALU_DEP_2)
	v_sub_co_ci_u32_e32 v33, vcc_lo, v34, v33, vcc_lo
	v_cmp_class_f32_e64 vcc_lo, v25, 0x1f8
	v_dual_mov_b32 v25, 0 :: v_dual_cndmask_b32 v34, -1, v33
	s_delay_alu instid0(VALU_DEP_4) | instskip(NEXT) | instid1(VALU_DEP_1)
	v_cndmask_b32_e32 v33, -1, v53, vcc_lo
	v_cmpx_lt_i64_e32 -1, v[33:34]
	s_cbranch_execz .LBB62_159
; %bb.148:
	v_mov_b32_e32 v25, 1.0
	s_mov_b32 s14, exec_lo
	v_cmpx_lt_i64_e32 0, v[33:34]
	s_cbranch_execz .LBB62_158
; %bb.149:
	v_cvt_f32_f16_e32 v53, v52
                                        ; implicit-def: $vgpr25
	s_mov_b32 s10, exec_lo
	v_cmpx_ne_u64_e32 1, v[33:34]
	s_xor_b32 s16, exec_lo, s10
	s_cbranch_execz .LBB62_155
; %bb.150:
	v_mov_b32_e32 v25, 0x7fc00000
	s_mov_b32 s17, exec_lo
	v_cmpx_gt_u64_e32 0x81, v[33:34]
	s_cbranch_execz .LBB62_154
; %bb.151:
	v_dual_add_f32 v53, v53, v53 :: v_dual_mov_b32 v54, 1.0
	v_lshlrev_b64 v[33:34], 1, v[33:34]
	s_mov_b64 s[10:11], 2
	s_mov_b32 s18, 0
	s_delay_alu instid0(VALU_DEP_2)
	v_mov_b32_e32 v25, v53
	.p2align	6
.LBB62_152:                             ; =>This Inner Loop Header: Depth=1
	s_clz_i32_u32 s19, s11
	s_delay_alu instid0(SALU_CYCLE_1) | instskip(NEXT) | instid1(SALU_CYCLE_1)
	s_min_u32 s19, s19, 32
	s_lshl_b64 s[20:21], s[10:11], s19
	s_sub_i32 s19, 32, s19
	s_min_u32 s20, s20, 1
	s_delay_alu instid0(SALU_CYCLE_1) | instskip(SKIP_3) | instid1(SALU_CYCLE_1)
	s_or_b32 s20, s21, s20
	s_add_u32 s10, s10, 2
	v_cvt_f32_u32_e32 v55, s20
	s_addc_u32 s11, s11, 0
	v_cmp_ge_u64_e32 vcc_lo, s[10:11], v[33:34]
	s_delay_alu instid0(VALU_DEP_2) | instskip(SKIP_1) | instid1(VALU_DEP_1)
	v_ldexp_f32 v55, v55, s19
	s_or_b32 s18, vcc_lo, s18
	v_dual_mul_f32 v55, v54, v55 :: v_dual_mov_b32 v54, v25
	s_delay_alu instid0(VALU_DEP_1)
	v_fma_f32 v25, v53, v25, -v55
	s_and_not1_b32 exec_lo, exec_lo, s18
	s_cbranch_execnz .LBB62_152
; %bb.153:
	s_or_b32 exec_lo, exec_lo, s18
.LBB62_154:
	s_delay_alu instid0(SALU_CYCLE_1)
	s_or_b32 exec_lo, exec_lo, s17
                                        ; implicit-def: $vgpr53
.LBB62_155:
	s_and_not1_saveexec_b32 s10, s16
; %bb.156:
	v_add_f32_e32 v25, v53, v53
; %bb.157:
	s_or_b32 exec_lo, exec_lo, s10
.LBB62_158:
	s_delay_alu instid0(SALU_CYCLE_1)
	s_or_b32 exec_lo, exec_lo, s14
.LBB62_159:
	s_delay_alu instid0(SALU_CYCLE_1) | instskip(SKIP_2) | instid1(VALU_DEP_1)
	s_or_b32 exec_lo, exec_lo, s13
	v_trunc_f32_e32 v33, v26
	s_mov_b32 s13, exec_lo
	v_mul_f32_e64 v34, 0x2f800000, |v33|
	s_delay_alu instid0(VALU_DEP_1) | instskip(NEXT) | instid1(VALU_DEP_1)
	v_floor_f32_e32 v34, v34
	v_fma_f32 v53, 0xcf800000, v34, |v33|
	v_ashrrev_i32_e32 v33, 31, v33
	v_cvt_u32_f32_e32 v34, v34
	s_delay_alu instid0(VALU_DEP_3) | instskip(NEXT) | instid1(VALU_DEP_2)
	v_cvt_u32_f32_e32 v53, v53
	v_xor_b32_e32 v34, v34, v33
	s_delay_alu instid0(VALU_DEP_2) | instskip(NEXT) | instid1(VALU_DEP_1)
	v_xor_b32_e32 v53, v53, v33
	v_sub_co_u32 v53, vcc_lo, v53, v33
	s_delay_alu instid0(VALU_DEP_3) | instskip(SKIP_2) | instid1(VALU_DEP_3)
	v_sub_co_ci_u32_e32 v33, vcc_lo, v34, v33, vcc_lo
	v_cmp_class_f32_e64 vcc_lo, v26, 0x1f8
	v_mov_b32_e32 v26, 0
	v_cndmask_b32_e32 v34, -1, v33, vcc_lo
	v_cndmask_b32_e32 v33, -1, v53, vcc_lo
	s_delay_alu instid0(VALU_DEP_1)
	v_cmpx_lt_i64_e32 -1, v[33:34]
	s_cbranch_execz .LBB62_171
; %bb.160:
	v_mov_b32_e32 v26, 1.0
	s_mov_b32 s14, exec_lo
	v_cmpx_lt_i64_e32 0, v[33:34]
	s_cbranch_execz .LBB62_170
; %bb.161:
	v_lshrrev_b32_e32 v26, 16, v52
	s_mov_b32 s10, exec_lo
	s_delay_alu instid0(VALU_DEP_1)
	v_cvt_f32_f16_e32 v52, v26
	v_cmpx_ne_u64_e32 1, v[33:34]
	s_xor_b32 s16, exec_lo, s10
	s_cbranch_execz .LBB62_167
; %bb.162:
	v_mov_b32_e32 v26, 0x7fc00000
	s_mov_b32 s17, exec_lo
	v_cmpx_gt_u64_e32 0x81, v[33:34]
	s_cbranch_execz .LBB62_166
; %bb.163:
	v_dual_add_f32 v52, v52, v52 :: v_dual_mov_b32 v53, 1.0
	v_lshlrev_b64 v[33:34], 1, v[33:34]
	s_mov_b64 s[10:11], 2
	s_mov_b32 s18, 0
	s_delay_alu instid0(VALU_DEP_2)
	v_mov_b32_e32 v26, v52
	.p2align	6
.LBB62_164:                             ; =>This Inner Loop Header: Depth=1
	s_clz_i32_u32 s19, s11
	s_delay_alu instid0(SALU_CYCLE_1) | instskip(NEXT) | instid1(SALU_CYCLE_1)
	s_min_u32 s19, s19, 32
	s_lshl_b64 s[20:21], s[10:11], s19
	s_sub_i32 s19, 32, s19
	s_min_u32 s20, s20, 1
	s_delay_alu instid0(SALU_CYCLE_1) | instskip(SKIP_3) | instid1(SALU_CYCLE_1)
	s_or_b32 s20, s21, s20
	s_add_u32 s10, s10, 2
	v_cvt_f32_u32_e32 v54, s20
	s_addc_u32 s11, s11, 0
	v_cmp_ge_u64_e32 vcc_lo, s[10:11], v[33:34]
	s_delay_alu instid0(VALU_DEP_2) | instskip(SKIP_1) | instid1(VALU_DEP_1)
	v_ldexp_f32 v54, v54, s19
	s_or_b32 s18, vcc_lo, s18
	v_dual_mul_f32 v54, v53, v54 :: v_dual_mov_b32 v53, v26
	s_delay_alu instid0(VALU_DEP_1)
	v_fma_f32 v26, v52, v26, -v54
	s_and_not1_b32 exec_lo, exec_lo, s18
	s_cbranch_execnz .LBB62_164
; %bb.165:
	s_or_b32 exec_lo, exec_lo, s18
.LBB62_166:
	s_delay_alu instid0(SALU_CYCLE_1)
	s_or_b32 exec_lo, exec_lo, s17
                                        ; implicit-def: $vgpr52
.LBB62_167:
	s_and_not1_saveexec_b32 s10, s16
; %bb.168:
	v_add_f32_e32 v26, v52, v52
; %bb.169:
	s_or_b32 exec_lo, exec_lo, s10
.LBB62_170:
	s_delay_alu instid0(SALU_CYCLE_1)
	s_or_b32 exec_lo, exec_lo, s14
.LBB62_171:
	s_delay_alu instid0(SALU_CYCLE_1) | instskip(SKIP_3) | instid1(VALU_DEP_1)
	s_or_b32 exec_lo, exec_lo, s13
	s_waitcnt vmcnt(8)
	v_trunc_f32_e32 v33, v29
	s_mov_b32 s13, exec_lo
	v_mul_f32_e64 v34, 0x2f800000, |v33|
	s_delay_alu instid0(VALU_DEP_1) | instskip(NEXT) | instid1(VALU_DEP_1)
	v_floor_f32_e32 v34, v34
	v_fma_f32 v52, 0xcf800000, v34, |v33|
	v_ashrrev_i32_e32 v33, 31, v33
	v_cvt_u32_f32_e32 v34, v34
	s_delay_alu instid0(VALU_DEP_3) | instskip(NEXT) | instid1(VALU_DEP_2)
	v_cvt_u32_f32_e32 v52, v52
	v_xor_b32_e32 v34, v34, v33
	s_delay_alu instid0(VALU_DEP_2) | instskip(NEXT) | instid1(VALU_DEP_1)
	v_xor_b32_e32 v52, v52, v33
	v_sub_co_u32 v52, vcc_lo, v52, v33
	s_delay_alu instid0(VALU_DEP_3) | instskip(SKIP_1) | instid1(VALU_DEP_2)
	v_sub_co_ci_u32_e32 v33, vcc_lo, v34, v33, vcc_lo
	v_cmp_class_f32_e64 vcc_lo, v29, 0x1f8
	v_dual_mov_b32 v29, 0 :: v_dual_cndmask_b32 v34, -1, v33
	s_delay_alu instid0(VALU_DEP_4) | instskip(NEXT) | instid1(VALU_DEP_1)
	v_cndmask_b32_e32 v33, -1, v52, vcc_lo
	v_cmpx_lt_i64_e32 -1, v[33:34]
	s_cbranch_execz .LBB62_183
; %bb.172:
	v_mov_b32_e32 v29, 1.0
	s_mov_b32 s14, exec_lo
	v_cmpx_lt_i64_e32 0, v[33:34]
	s_cbranch_execz .LBB62_182
; %bb.173:
	v_cvt_f32_f16_e32 v52, v51
                                        ; implicit-def: $vgpr29
	s_mov_b32 s10, exec_lo
	v_cmpx_ne_u64_e32 1, v[33:34]
	s_xor_b32 s16, exec_lo, s10
	s_cbranch_execz .LBB62_179
; %bb.174:
	v_mov_b32_e32 v29, 0x7fc00000
	s_mov_b32 s17, exec_lo
	v_cmpx_gt_u64_e32 0x81, v[33:34]
	s_cbranch_execz .LBB62_178
; %bb.175:
	v_dual_add_f32 v52, v52, v52 :: v_dual_mov_b32 v53, 1.0
	v_lshlrev_b64 v[33:34], 1, v[33:34]
	s_mov_b64 s[10:11], 2
	s_mov_b32 s18, 0
	s_delay_alu instid0(VALU_DEP_2)
	v_mov_b32_e32 v29, v52
	.p2align	6
.LBB62_176:                             ; =>This Inner Loop Header: Depth=1
	s_clz_i32_u32 s19, s11
	s_delay_alu instid0(SALU_CYCLE_1) | instskip(NEXT) | instid1(SALU_CYCLE_1)
	s_min_u32 s19, s19, 32
	s_lshl_b64 s[20:21], s[10:11], s19
	s_sub_i32 s19, 32, s19
	s_min_u32 s20, s20, 1
	s_delay_alu instid0(SALU_CYCLE_1) | instskip(SKIP_3) | instid1(SALU_CYCLE_1)
	s_or_b32 s20, s21, s20
	s_add_u32 s10, s10, 2
	v_cvt_f32_u32_e32 v54, s20
	s_addc_u32 s11, s11, 0
	v_cmp_ge_u64_e32 vcc_lo, s[10:11], v[33:34]
	s_delay_alu instid0(VALU_DEP_2) | instskip(SKIP_1) | instid1(VALU_DEP_1)
	v_ldexp_f32 v54, v54, s19
	s_or_b32 s18, vcc_lo, s18
	v_mul_f32_e32 v54, v53, v54
	v_mov_b32_e32 v53, v29
	s_delay_alu instid0(VALU_DEP_2)
	v_fma_f32 v29, v52, v29, -v54
	s_and_not1_b32 exec_lo, exec_lo, s18
	s_cbranch_execnz .LBB62_176
; %bb.177:
	s_or_b32 exec_lo, exec_lo, s18
.LBB62_178:
	s_delay_alu instid0(SALU_CYCLE_1)
	s_or_b32 exec_lo, exec_lo, s17
                                        ; implicit-def: $vgpr52
.LBB62_179:
	s_and_not1_saveexec_b32 s10, s16
; %bb.180:
	v_add_f32_e32 v29, v52, v52
; %bb.181:
	s_or_b32 exec_lo, exec_lo, s10
.LBB62_182:
	s_delay_alu instid0(SALU_CYCLE_1)
	s_or_b32 exec_lo, exec_lo, s14
.LBB62_183:
	s_delay_alu instid0(SALU_CYCLE_1) | instskip(SKIP_2) | instid1(VALU_DEP_1)
	s_or_b32 exec_lo, exec_lo, s13
	v_trunc_f32_e32 v33, v30
	s_mov_b32 s13, exec_lo
	v_mul_f32_e64 v34, 0x2f800000, |v33|
	s_delay_alu instid0(VALU_DEP_1) | instskip(NEXT) | instid1(VALU_DEP_1)
	v_floor_f32_e32 v34, v34
	v_fma_f32 v52, 0xcf800000, v34, |v33|
	v_ashrrev_i32_e32 v33, 31, v33
	v_cvt_u32_f32_e32 v34, v34
	s_delay_alu instid0(VALU_DEP_3) | instskip(NEXT) | instid1(VALU_DEP_2)
	v_cvt_u32_f32_e32 v52, v52
	v_xor_b32_e32 v34, v34, v33
	s_delay_alu instid0(VALU_DEP_2) | instskip(NEXT) | instid1(VALU_DEP_1)
	v_xor_b32_e32 v52, v52, v33
	v_sub_co_u32 v52, vcc_lo, v52, v33
	s_delay_alu instid0(VALU_DEP_3) | instskip(SKIP_2) | instid1(VALU_DEP_3)
	v_sub_co_ci_u32_e32 v33, vcc_lo, v34, v33, vcc_lo
	v_cmp_class_f32_e64 vcc_lo, v30, 0x1f8
	v_mov_b32_e32 v30, 0
	v_dual_cndmask_b32 v34, -1, v33 :: v_dual_cndmask_b32 v33, -1, v52
	s_delay_alu instid0(VALU_DEP_1)
	v_cmpx_lt_i64_e32 -1, v[33:34]
	s_cbranch_execz .LBB62_195
; %bb.184:
	v_mov_b32_e32 v30, 1.0
	s_mov_b32 s14, exec_lo
	v_cmpx_lt_i64_e32 0, v[33:34]
	s_cbranch_execz .LBB62_194
; %bb.185:
	v_lshrrev_b32_e32 v30, 16, v51
	s_mov_b32 s10, exec_lo
	s_delay_alu instid0(VALU_DEP_1)
	v_cvt_f32_f16_e32 v51, v30
	v_cmpx_ne_u64_e32 1, v[33:34]
	s_xor_b32 s16, exec_lo, s10
	s_cbranch_execz .LBB62_191
; %bb.186:
	v_mov_b32_e32 v30, 0x7fc00000
	s_mov_b32 s17, exec_lo
	v_cmpx_gt_u64_e32 0x81, v[33:34]
	s_cbranch_execz .LBB62_190
; %bb.187:
	v_dual_add_f32 v51, v51, v51 :: v_dual_mov_b32 v52, 1.0
	v_lshlrev_b64 v[33:34], 1, v[33:34]
	s_mov_b64 s[10:11], 2
	s_mov_b32 s18, 0
	s_delay_alu instid0(VALU_DEP_2)
	v_mov_b32_e32 v30, v51
	.p2align	6
.LBB62_188:                             ; =>This Inner Loop Header: Depth=1
	s_clz_i32_u32 s19, s11
	s_delay_alu instid0(SALU_CYCLE_1) | instskip(NEXT) | instid1(SALU_CYCLE_1)
	s_min_u32 s19, s19, 32
	s_lshl_b64 s[20:21], s[10:11], s19
	s_sub_i32 s19, 32, s19
	s_min_u32 s20, s20, 1
	s_delay_alu instid0(SALU_CYCLE_1) | instskip(SKIP_3) | instid1(SALU_CYCLE_1)
	s_or_b32 s20, s21, s20
	s_add_u32 s10, s10, 2
	v_cvt_f32_u32_e32 v53, s20
	s_addc_u32 s11, s11, 0
	v_cmp_ge_u64_e32 vcc_lo, s[10:11], v[33:34]
	s_delay_alu instid0(VALU_DEP_2) | instskip(SKIP_1) | instid1(VALU_DEP_1)
	v_ldexp_f32 v53, v53, s19
	s_or_b32 s18, vcc_lo, s18
	v_dual_mul_f32 v53, v52, v53 :: v_dual_mov_b32 v52, v30
	s_delay_alu instid0(VALU_DEP_1)
	v_fma_f32 v30, v51, v30, -v53
	s_and_not1_b32 exec_lo, exec_lo, s18
	s_cbranch_execnz .LBB62_188
; %bb.189:
	s_or_b32 exec_lo, exec_lo, s18
.LBB62_190:
	s_delay_alu instid0(SALU_CYCLE_1)
	s_or_b32 exec_lo, exec_lo, s17
                                        ; implicit-def: $vgpr51
.LBB62_191:
	s_and_not1_saveexec_b32 s10, s16
; %bb.192:
	v_add_f32_e32 v30, v51, v51
; %bb.193:
	s_or_b32 exec_lo, exec_lo, s10
.LBB62_194:
	s_delay_alu instid0(SALU_CYCLE_1)
	s_or_b32 exec_lo, exec_lo, s14
.LBB62_195:
	s_delay_alu instid0(SALU_CYCLE_1) | instskip(SKIP_3) | instid1(VALU_DEP_1)
	s_or_b32 exec_lo, exec_lo, s13
	s_waitcnt vmcnt(7)
	v_trunc_f32_e32 v33, v31
	s_mov_b32 s13, exec_lo
	v_mul_f32_e64 v34, 0x2f800000, |v33|
	s_delay_alu instid0(VALU_DEP_1) | instskip(NEXT) | instid1(VALU_DEP_1)
	v_floor_f32_e32 v34, v34
	v_fma_f32 v51, 0xcf800000, v34, |v33|
	v_ashrrev_i32_e32 v33, 31, v33
	v_cvt_u32_f32_e32 v34, v34
	s_delay_alu instid0(VALU_DEP_3) | instskip(NEXT) | instid1(VALU_DEP_2)
	v_cvt_u32_f32_e32 v51, v51
	v_xor_b32_e32 v34, v34, v33
	s_delay_alu instid0(VALU_DEP_2) | instskip(NEXT) | instid1(VALU_DEP_1)
	v_xor_b32_e32 v51, v51, v33
	v_sub_co_u32 v51, vcc_lo, v51, v33
	s_delay_alu instid0(VALU_DEP_3) | instskip(SKIP_1) | instid1(VALU_DEP_2)
	v_sub_co_ci_u32_e32 v33, vcc_lo, v34, v33, vcc_lo
	v_cmp_class_f32_e64 vcc_lo, v31, 0x1f8
	v_dual_mov_b32 v31, 0 :: v_dual_cndmask_b32 v34, -1, v33
	s_delay_alu instid0(VALU_DEP_4) | instskip(NEXT) | instid1(VALU_DEP_1)
	v_cndmask_b32_e32 v33, -1, v51, vcc_lo
	v_cmpx_lt_i64_e32 -1, v[33:34]
	s_cbranch_execz .LBB62_207
; %bb.196:
	v_mov_b32_e32 v31, 1.0
	s_mov_b32 s14, exec_lo
	v_cmpx_lt_i64_e32 0, v[33:34]
	s_cbranch_execz .LBB62_206
; %bb.197:
	v_cvt_f32_f16_e32 v51, v50
                                        ; implicit-def: $vgpr31
	s_mov_b32 s10, exec_lo
	v_cmpx_ne_u64_e32 1, v[33:34]
	s_xor_b32 s16, exec_lo, s10
	s_cbranch_execz .LBB62_203
; %bb.198:
	v_mov_b32_e32 v31, 0x7fc00000
	s_mov_b32 s17, exec_lo
	v_cmpx_gt_u64_e32 0x81, v[33:34]
	s_cbranch_execz .LBB62_202
; %bb.199:
	v_dual_add_f32 v51, v51, v51 :: v_dual_mov_b32 v52, 1.0
	v_lshlrev_b64 v[33:34], 1, v[33:34]
	s_mov_b64 s[10:11], 2
	s_mov_b32 s18, 0
	s_delay_alu instid0(VALU_DEP_2)
	v_mov_b32_e32 v31, v51
	.p2align	6
.LBB62_200:                             ; =>This Inner Loop Header: Depth=1
	s_clz_i32_u32 s19, s11
	s_delay_alu instid0(SALU_CYCLE_1) | instskip(NEXT) | instid1(SALU_CYCLE_1)
	s_min_u32 s19, s19, 32
	s_lshl_b64 s[20:21], s[10:11], s19
	s_sub_i32 s19, 32, s19
	s_min_u32 s20, s20, 1
	s_delay_alu instid0(SALU_CYCLE_1) | instskip(SKIP_3) | instid1(SALU_CYCLE_1)
	s_or_b32 s20, s21, s20
	s_add_u32 s10, s10, 2
	v_cvt_f32_u32_e32 v53, s20
	s_addc_u32 s11, s11, 0
	v_cmp_ge_u64_e32 vcc_lo, s[10:11], v[33:34]
	s_delay_alu instid0(VALU_DEP_2) | instskip(SKIP_1) | instid1(VALU_DEP_1)
	v_ldexp_f32 v53, v53, s19
	s_or_b32 s18, vcc_lo, s18
	v_dual_mul_f32 v53, v52, v53 :: v_dual_mov_b32 v52, v31
	s_delay_alu instid0(VALU_DEP_1)
	v_fma_f32 v31, v51, v31, -v53
	s_and_not1_b32 exec_lo, exec_lo, s18
	s_cbranch_execnz .LBB62_200
; %bb.201:
	s_or_b32 exec_lo, exec_lo, s18
.LBB62_202:
	s_delay_alu instid0(SALU_CYCLE_1)
	s_or_b32 exec_lo, exec_lo, s17
                                        ; implicit-def: $vgpr51
.LBB62_203:
	s_and_not1_saveexec_b32 s10, s16
; %bb.204:
	v_add_f32_e32 v31, v51, v51
; %bb.205:
	s_or_b32 exec_lo, exec_lo, s10
.LBB62_206:
	s_delay_alu instid0(SALU_CYCLE_1)
	s_or_b32 exec_lo, exec_lo, s14
.LBB62_207:
	s_delay_alu instid0(SALU_CYCLE_1) | instskip(SKIP_2) | instid1(VALU_DEP_1)
	s_or_b32 exec_lo, exec_lo, s13
	v_trunc_f32_e32 v33, v32
	s_mov_b32 s13, exec_lo
	v_mul_f32_e64 v34, 0x2f800000, |v33|
	s_delay_alu instid0(VALU_DEP_1) | instskip(NEXT) | instid1(VALU_DEP_1)
	v_floor_f32_e32 v34, v34
	v_fma_f32 v51, 0xcf800000, v34, |v33|
	v_ashrrev_i32_e32 v33, 31, v33
	v_cvt_u32_f32_e32 v34, v34
	s_delay_alu instid0(VALU_DEP_3) | instskip(NEXT) | instid1(VALU_DEP_2)
	v_cvt_u32_f32_e32 v51, v51
	v_xor_b32_e32 v34, v34, v33
	s_delay_alu instid0(VALU_DEP_2) | instskip(NEXT) | instid1(VALU_DEP_1)
	v_xor_b32_e32 v51, v51, v33
	v_sub_co_u32 v51, vcc_lo, v51, v33
	s_delay_alu instid0(VALU_DEP_3) | instskip(SKIP_2) | instid1(VALU_DEP_3)
	v_sub_co_ci_u32_e32 v33, vcc_lo, v34, v33, vcc_lo
	v_cmp_class_f32_e64 vcc_lo, v32, 0x1f8
	v_mov_b32_e32 v32, 0
	v_dual_cndmask_b32 v34, -1, v33 :: v_dual_cndmask_b32 v33, -1, v51
	s_delay_alu instid0(VALU_DEP_1)
	v_cmpx_lt_i64_e32 -1, v[33:34]
	s_cbranch_execz .LBB62_219
; %bb.208:
	v_mov_b32_e32 v32, 1.0
	s_mov_b32 s14, exec_lo
	v_cmpx_lt_i64_e32 0, v[33:34]
	s_cbranch_execz .LBB62_218
; %bb.209:
	v_lshrrev_b32_e32 v32, 16, v50
	s_mov_b32 s10, exec_lo
	s_delay_alu instid0(VALU_DEP_1)
	v_cvt_f32_f16_e32 v50, v32
	v_cmpx_ne_u64_e32 1, v[33:34]
	s_xor_b32 s16, exec_lo, s10
	s_cbranch_execz .LBB62_215
; %bb.210:
	v_mov_b32_e32 v32, 0x7fc00000
	s_mov_b32 s17, exec_lo
	v_cmpx_gt_u64_e32 0x81, v[33:34]
	s_cbranch_execz .LBB62_214
; %bb.211:
	v_dual_add_f32 v50, v50, v50 :: v_dual_mov_b32 v51, 1.0
	v_lshlrev_b64 v[33:34], 1, v[33:34]
	s_mov_b64 s[10:11], 2
	s_mov_b32 s18, 0
	s_delay_alu instid0(VALU_DEP_2)
	v_mov_b32_e32 v32, v50
	.p2align	6
.LBB62_212:                             ; =>This Inner Loop Header: Depth=1
	s_clz_i32_u32 s19, s11
	s_delay_alu instid0(SALU_CYCLE_1) | instskip(NEXT) | instid1(SALU_CYCLE_1)
	s_min_u32 s19, s19, 32
	s_lshl_b64 s[20:21], s[10:11], s19
	s_sub_i32 s19, 32, s19
	s_min_u32 s20, s20, 1
	s_delay_alu instid0(SALU_CYCLE_1) | instskip(SKIP_3) | instid1(SALU_CYCLE_1)
	s_or_b32 s20, s21, s20
	s_add_u32 s10, s10, 2
	v_cvt_f32_u32_e32 v52, s20
	s_addc_u32 s11, s11, 0
	v_cmp_ge_u64_e32 vcc_lo, s[10:11], v[33:34]
	s_delay_alu instid0(VALU_DEP_2) | instskip(SKIP_1) | instid1(VALU_DEP_1)
	v_ldexp_f32 v52, v52, s19
	s_or_b32 s18, vcc_lo, s18
	v_dual_mul_f32 v52, v51, v52 :: v_dual_mov_b32 v51, v32
	s_delay_alu instid0(VALU_DEP_1)
	v_fma_f32 v32, v50, v32, -v52
	s_and_not1_b32 exec_lo, exec_lo, s18
	s_cbranch_execnz .LBB62_212
; %bb.213:
	s_or_b32 exec_lo, exec_lo, s18
.LBB62_214:
	s_delay_alu instid0(SALU_CYCLE_1)
	s_or_b32 exec_lo, exec_lo, s17
                                        ; implicit-def: $vgpr50
.LBB62_215:
	s_and_not1_saveexec_b32 s10, s16
; %bb.216:
	v_add_f32_e32 v32, v50, v50
; %bb.217:
	s_or_b32 exec_lo, exec_lo, s10
.LBB62_218:
	s_delay_alu instid0(SALU_CYCLE_1)
	s_or_b32 exec_lo, exec_lo, s14
.LBB62_219:
	s_delay_alu instid0(SALU_CYCLE_1) | instskip(SKIP_3) | instid1(VALU_DEP_1)
	s_or_b32 exec_lo, exec_lo, s13
	s_waitcnt vmcnt(6)
	v_trunc_f32_e32 v33, v27
	s_mov_b32 s13, exec_lo
	v_mul_f32_e64 v34, 0x2f800000, |v33|
	s_delay_alu instid0(VALU_DEP_1) | instskip(NEXT) | instid1(VALU_DEP_1)
	v_floor_f32_e32 v34, v34
	v_fma_f32 v50, 0xcf800000, v34, |v33|
	v_ashrrev_i32_e32 v33, 31, v33
	v_cvt_u32_f32_e32 v34, v34
	s_delay_alu instid0(VALU_DEP_3) | instskip(NEXT) | instid1(VALU_DEP_2)
	v_cvt_u32_f32_e32 v50, v50
	v_xor_b32_e32 v34, v34, v33
	s_delay_alu instid0(VALU_DEP_2) | instskip(NEXT) | instid1(VALU_DEP_1)
	v_xor_b32_e32 v50, v50, v33
	v_sub_co_u32 v50, vcc_lo, v50, v33
	s_delay_alu instid0(VALU_DEP_3) | instskip(SKIP_1) | instid1(VALU_DEP_2)
	v_sub_co_ci_u32_e32 v33, vcc_lo, v34, v33, vcc_lo
	v_cmp_class_f32_e64 vcc_lo, v27, 0x1f8
	v_dual_mov_b32 v27, 0 :: v_dual_cndmask_b32 v34, -1, v33
	s_delay_alu instid0(VALU_DEP_4) | instskip(NEXT) | instid1(VALU_DEP_1)
	v_cndmask_b32_e32 v33, -1, v50, vcc_lo
	v_cmpx_lt_i64_e32 -1, v[33:34]
	s_cbranch_execz .LBB62_231
; %bb.220:
	v_mov_b32_e32 v27, 1.0
	s_mov_b32 s14, exec_lo
	v_cmpx_lt_i64_e32 0, v[33:34]
	s_cbranch_execz .LBB62_230
; %bb.221:
	v_cvt_f32_f16_e32 v50, v49
                                        ; implicit-def: $vgpr27
	s_mov_b32 s10, exec_lo
	v_cmpx_ne_u64_e32 1, v[33:34]
	s_xor_b32 s16, exec_lo, s10
	s_cbranch_execz .LBB62_227
; %bb.222:
	v_mov_b32_e32 v27, 0x7fc00000
	s_mov_b32 s17, exec_lo
	v_cmpx_gt_u64_e32 0x81, v[33:34]
	s_cbranch_execz .LBB62_226
; %bb.223:
	v_dual_add_f32 v50, v50, v50 :: v_dual_mov_b32 v51, 1.0
	v_lshlrev_b64 v[33:34], 1, v[33:34]
	s_mov_b64 s[10:11], 2
	s_mov_b32 s18, 0
	s_delay_alu instid0(VALU_DEP_2)
	v_mov_b32_e32 v27, v50
	.p2align	6
.LBB62_224:                             ; =>This Inner Loop Header: Depth=1
	s_clz_i32_u32 s19, s11
	s_delay_alu instid0(SALU_CYCLE_1) | instskip(NEXT) | instid1(SALU_CYCLE_1)
	s_min_u32 s19, s19, 32
	s_lshl_b64 s[20:21], s[10:11], s19
	s_sub_i32 s19, 32, s19
	s_min_u32 s20, s20, 1
	s_delay_alu instid0(SALU_CYCLE_1) | instskip(SKIP_3) | instid1(SALU_CYCLE_1)
	s_or_b32 s20, s21, s20
	s_add_u32 s10, s10, 2
	v_cvt_f32_u32_e32 v52, s20
	s_addc_u32 s11, s11, 0
	v_cmp_ge_u64_e32 vcc_lo, s[10:11], v[33:34]
	s_delay_alu instid0(VALU_DEP_2) | instskip(SKIP_1) | instid1(VALU_DEP_1)
	v_ldexp_f32 v52, v52, s19
	s_or_b32 s18, vcc_lo, s18
	v_mul_f32_e32 v52, v51, v52
	v_mov_b32_e32 v51, v27
	s_delay_alu instid0(VALU_DEP_2)
	v_fma_f32 v27, v50, v27, -v52
	s_and_not1_b32 exec_lo, exec_lo, s18
	s_cbranch_execnz .LBB62_224
; %bb.225:
	s_or_b32 exec_lo, exec_lo, s18
.LBB62_226:
	s_delay_alu instid0(SALU_CYCLE_1)
	s_or_b32 exec_lo, exec_lo, s17
                                        ; implicit-def: $vgpr50
.LBB62_227:
	s_and_not1_saveexec_b32 s10, s16
; %bb.228:
	v_add_f32_e32 v27, v50, v50
; %bb.229:
	s_or_b32 exec_lo, exec_lo, s10
.LBB62_230:
	s_delay_alu instid0(SALU_CYCLE_1)
	s_or_b32 exec_lo, exec_lo, s14
.LBB62_231:
	s_delay_alu instid0(SALU_CYCLE_1) | instskip(SKIP_2) | instid1(VALU_DEP_1)
	s_or_b32 exec_lo, exec_lo, s13
	v_trunc_f32_e32 v33, v28
	s_mov_b32 s13, exec_lo
	v_mul_f32_e64 v34, 0x2f800000, |v33|
	s_delay_alu instid0(VALU_DEP_1) | instskip(NEXT) | instid1(VALU_DEP_1)
	v_floor_f32_e32 v34, v34
	v_fma_f32 v50, 0xcf800000, v34, |v33|
	v_ashrrev_i32_e32 v33, 31, v33
	v_cvt_u32_f32_e32 v34, v34
	s_delay_alu instid0(VALU_DEP_3) | instskip(NEXT) | instid1(VALU_DEP_2)
	v_cvt_u32_f32_e32 v50, v50
	v_xor_b32_e32 v34, v34, v33
	s_delay_alu instid0(VALU_DEP_2) | instskip(NEXT) | instid1(VALU_DEP_1)
	v_xor_b32_e32 v50, v50, v33
	v_sub_co_u32 v50, vcc_lo, v50, v33
	s_delay_alu instid0(VALU_DEP_3) | instskip(SKIP_2) | instid1(VALU_DEP_3)
	v_sub_co_ci_u32_e32 v33, vcc_lo, v34, v33, vcc_lo
	v_cmp_class_f32_e64 vcc_lo, v28, 0x1f8
	v_mov_b32_e32 v28, 0
	v_dual_cndmask_b32 v34, -1, v33 :: v_dual_cndmask_b32 v33, -1, v50
	s_delay_alu instid0(VALU_DEP_1)
	v_cmpx_lt_i64_e32 -1, v[33:34]
	s_cbranch_execz .LBB62_243
; %bb.232:
	v_mov_b32_e32 v28, 1.0
	s_mov_b32 s14, exec_lo
	v_cmpx_lt_i64_e32 0, v[33:34]
	s_cbranch_execz .LBB62_242
; %bb.233:
	v_lshrrev_b32_e32 v28, 16, v49
	s_mov_b32 s10, exec_lo
	s_delay_alu instid0(VALU_DEP_1)
	v_cvt_f32_f16_e32 v49, v28
	v_cmpx_ne_u64_e32 1, v[33:34]
	s_xor_b32 s16, exec_lo, s10
	s_cbranch_execz .LBB62_239
; %bb.234:
	v_mov_b32_e32 v28, 0x7fc00000
	s_mov_b32 s17, exec_lo
	v_cmpx_gt_u64_e32 0x81, v[33:34]
	s_cbranch_execz .LBB62_238
; %bb.235:
	v_dual_add_f32 v49, v49, v49 :: v_dual_mov_b32 v50, 1.0
	v_lshlrev_b64 v[33:34], 1, v[33:34]
	s_mov_b64 s[10:11], 2
	s_mov_b32 s18, 0
	s_delay_alu instid0(VALU_DEP_2)
	v_mov_b32_e32 v28, v49
	.p2align	6
.LBB62_236:                             ; =>This Inner Loop Header: Depth=1
	s_clz_i32_u32 s19, s11
	s_delay_alu instid0(SALU_CYCLE_1) | instskip(NEXT) | instid1(SALU_CYCLE_1)
	s_min_u32 s19, s19, 32
	s_lshl_b64 s[20:21], s[10:11], s19
	s_sub_i32 s19, 32, s19
	s_min_u32 s20, s20, 1
	s_delay_alu instid0(SALU_CYCLE_1) | instskip(SKIP_3) | instid1(SALU_CYCLE_1)
	s_or_b32 s20, s21, s20
	s_add_u32 s10, s10, 2
	v_cvt_f32_u32_e32 v51, s20
	s_addc_u32 s11, s11, 0
	v_cmp_ge_u64_e32 vcc_lo, s[10:11], v[33:34]
	s_delay_alu instid0(VALU_DEP_2) | instskip(SKIP_1) | instid1(VALU_DEP_1)
	v_ldexp_f32 v51, v51, s19
	s_or_b32 s18, vcc_lo, s18
	v_dual_mul_f32 v51, v50, v51 :: v_dual_mov_b32 v50, v28
	s_delay_alu instid0(VALU_DEP_1)
	v_fma_f32 v28, v49, v28, -v51
	s_and_not1_b32 exec_lo, exec_lo, s18
	s_cbranch_execnz .LBB62_236
; %bb.237:
	s_or_b32 exec_lo, exec_lo, s18
.LBB62_238:
	s_delay_alu instid0(SALU_CYCLE_1)
	s_or_b32 exec_lo, exec_lo, s17
                                        ; implicit-def: $vgpr49
.LBB62_239:
	s_and_not1_saveexec_b32 s10, s16
; %bb.240:
	v_add_f32_e32 v28, v49, v49
; %bb.241:
	s_or_b32 exec_lo, exec_lo, s10
.LBB62_242:
	s_delay_alu instid0(SALU_CYCLE_1)
	s_or_b32 exec_lo, exec_lo, s14
.LBB62_243:
	s_delay_alu instid0(SALU_CYCLE_1) | instskip(SKIP_3) | instid1(VALU_DEP_1)
	s_or_b32 exec_lo, exec_lo, s13
	s_waitcnt vmcnt(5)
	v_trunc_f32_e32 v33, v23
	s_mov_b32 s13, exec_lo
	v_mul_f32_e64 v34, 0x2f800000, |v33|
	s_delay_alu instid0(VALU_DEP_1) | instskip(NEXT) | instid1(VALU_DEP_1)
	v_floor_f32_e32 v34, v34
	v_fma_f32 v49, 0xcf800000, v34, |v33|
	v_ashrrev_i32_e32 v33, 31, v33
	v_cvt_u32_f32_e32 v34, v34
	s_delay_alu instid0(VALU_DEP_3) | instskip(NEXT) | instid1(VALU_DEP_2)
	v_cvt_u32_f32_e32 v49, v49
	v_xor_b32_e32 v34, v34, v33
	s_delay_alu instid0(VALU_DEP_2) | instskip(NEXT) | instid1(VALU_DEP_1)
	v_xor_b32_e32 v49, v49, v33
	v_sub_co_u32 v49, vcc_lo, v49, v33
	s_delay_alu instid0(VALU_DEP_3) | instskip(SKIP_1) | instid1(VALU_DEP_2)
	v_sub_co_ci_u32_e32 v33, vcc_lo, v34, v33, vcc_lo
	v_cmp_class_f32_e64 vcc_lo, v23, 0x1f8
	v_dual_mov_b32 v23, 0 :: v_dual_cndmask_b32 v34, -1, v33
	s_delay_alu instid0(VALU_DEP_4) | instskip(NEXT) | instid1(VALU_DEP_1)
	v_cndmask_b32_e32 v33, -1, v49, vcc_lo
	v_cmpx_lt_i64_e32 -1, v[33:34]
	s_cbranch_execz .LBB62_255
; %bb.244:
	v_mov_b32_e32 v23, 1.0
	s_mov_b32 s14, exec_lo
	v_cmpx_lt_i64_e32 0, v[33:34]
	s_cbranch_execz .LBB62_254
; %bb.245:
	v_cvt_f32_f16_e32 v49, v48
                                        ; implicit-def: $vgpr23
	s_mov_b32 s10, exec_lo
	v_cmpx_ne_u64_e32 1, v[33:34]
	s_xor_b32 s16, exec_lo, s10
	s_cbranch_execz .LBB62_251
; %bb.246:
	v_mov_b32_e32 v23, 0x7fc00000
	s_mov_b32 s17, exec_lo
	v_cmpx_gt_u64_e32 0x81, v[33:34]
	s_cbranch_execz .LBB62_250
; %bb.247:
	v_dual_add_f32 v49, v49, v49 :: v_dual_mov_b32 v50, 1.0
	v_lshlrev_b64 v[33:34], 1, v[33:34]
	s_mov_b64 s[10:11], 2
	s_mov_b32 s18, 0
	s_delay_alu instid0(VALU_DEP_2)
	v_mov_b32_e32 v23, v49
	.p2align	6
.LBB62_248:                             ; =>This Inner Loop Header: Depth=1
	s_clz_i32_u32 s19, s11
	s_delay_alu instid0(SALU_CYCLE_1) | instskip(NEXT) | instid1(SALU_CYCLE_1)
	s_min_u32 s19, s19, 32
	s_lshl_b64 s[20:21], s[10:11], s19
	s_sub_i32 s19, 32, s19
	s_min_u32 s20, s20, 1
	s_delay_alu instid0(SALU_CYCLE_1) | instskip(SKIP_3) | instid1(SALU_CYCLE_1)
	s_or_b32 s20, s21, s20
	s_add_u32 s10, s10, 2
	v_cvt_f32_u32_e32 v51, s20
	s_addc_u32 s11, s11, 0
	v_cmp_ge_u64_e32 vcc_lo, s[10:11], v[33:34]
	s_delay_alu instid0(VALU_DEP_2) | instskip(SKIP_1) | instid1(VALU_DEP_1)
	v_ldexp_f32 v51, v51, s19
	s_or_b32 s18, vcc_lo, s18
	v_dual_mul_f32 v51, v50, v51 :: v_dual_mov_b32 v50, v23
	s_delay_alu instid0(VALU_DEP_1)
	v_fma_f32 v23, v49, v23, -v51
	s_and_not1_b32 exec_lo, exec_lo, s18
	s_cbranch_execnz .LBB62_248
; %bb.249:
	s_or_b32 exec_lo, exec_lo, s18
.LBB62_250:
	s_delay_alu instid0(SALU_CYCLE_1)
	s_or_b32 exec_lo, exec_lo, s17
                                        ; implicit-def: $vgpr49
.LBB62_251:
	s_and_not1_saveexec_b32 s10, s16
; %bb.252:
	v_add_f32_e32 v23, v49, v49
; %bb.253:
	s_or_b32 exec_lo, exec_lo, s10
.LBB62_254:
	s_delay_alu instid0(SALU_CYCLE_1)
	s_or_b32 exec_lo, exec_lo, s14
.LBB62_255:
	s_delay_alu instid0(SALU_CYCLE_1) | instskip(SKIP_2) | instid1(VALU_DEP_1)
	s_or_b32 exec_lo, exec_lo, s13
	v_trunc_f32_e32 v33, v24
	s_mov_b32 s13, exec_lo
	v_mul_f32_e64 v34, 0x2f800000, |v33|
	s_delay_alu instid0(VALU_DEP_1) | instskip(NEXT) | instid1(VALU_DEP_1)
	v_floor_f32_e32 v34, v34
	v_fma_f32 v49, 0xcf800000, v34, |v33|
	v_ashrrev_i32_e32 v33, 31, v33
	v_cvt_u32_f32_e32 v34, v34
	s_delay_alu instid0(VALU_DEP_3) | instskip(NEXT) | instid1(VALU_DEP_2)
	v_cvt_u32_f32_e32 v49, v49
	v_xor_b32_e32 v34, v34, v33
	s_delay_alu instid0(VALU_DEP_2) | instskip(NEXT) | instid1(VALU_DEP_1)
	v_xor_b32_e32 v49, v49, v33
	v_sub_co_u32 v49, vcc_lo, v49, v33
	s_delay_alu instid0(VALU_DEP_3) | instskip(SKIP_2) | instid1(VALU_DEP_3)
	v_sub_co_ci_u32_e32 v33, vcc_lo, v34, v33, vcc_lo
	v_cmp_class_f32_e64 vcc_lo, v24, 0x1f8
	v_mov_b32_e32 v24, 0
	v_cndmask_b32_e32 v34, -1, v33, vcc_lo
	v_cndmask_b32_e32 v33, -1, v49, vcc_lo
	s_delay_alu instid0(VALU_DEP_1)
	v_cmpx_lt_i64_e32 -1, v[33:34]
	s_cbranch_execz .LBB62_267
; %bb.256:
	v_mov_b32_e32 v24, 1.0
	s_mov_b32 s14, exec_lo
	v_cmpx_lt_i64_e32 0, v[33:34]
	s_cbranch_execz .LBB62_266
; %bb.257:
	v_lshrrev_b32_e32 v24, 16, v48
	s_mov_b32 s10, exec_lo
	s_delay_alu instid0(VALU_DEP_1)
	v_cvt_f32_f16_e32 v48, v24
	v_cmpx_ne_u64_e32 1, v[33:34]
	s_xor_b32 s16, exec_lo, s10
	s_cbranch_execz .LBB62_263
; %bb.258:
	v_mov_b32_e32 v24, 0x7fc00000
	s_mov_b32 s17, exec_lo
	v_cmpx_gt_u64_e32 0x81, v[33:34]
	s_cbranch_execz .LBB62_262
; %bb.259:
	v_dual_add_f32 v48, v48, v48 :: v_dual_mov_b32 v49, 1.0
	v_lshlrev_b64 v[33:34], 1, v[33:34]
	s_mov_b64 s[10:11], 2
	s_mov_b32 s18, 0
	s_delay_alu instid0(VALU_DEP_2)
	v_mov_b32_e32 v24, v48
	.p2align	6
.LBB62_260:                             ; =>This Inner Loop Header: Depth=1
	s_clz_i32_u32 s19, s11
	s_delay_alu instid0(SALU_CYCLE_1) | instskip(NEXT) | instid1(SALU_CYCLE_1)
	s_min_u32 s19, s19, 32
	s_lshl_b64 s[20:21], s[10:11], s19
	s_sub_i32 s19, 32, s19
	s_min_u32 s20, s20, 1
	s_delay_alu instid0(SALU_CYCLE_1) | instskip(SKIP_3) | instid1(SALU_CYCLE_1)
	s_or_b32 s20, s21, s20
	s_add_u32 s10, s10, 2
	v_cvt_f32_u32_e32 v50, s20
	s_addc_u32 s11, s11, 0
	v_cmp_ge_u64_e32 vcc_lo, s[10:11], v[33:34]
	s_delay_alu instid0(VALU_DEP_2) | instskip(SKIP_1) | instid1(VALU_DEP_1)
	v_ldexp_f32 v50, v50, s19
	s_or_b32 s18, vcc_lo, s18
	v_dual_mul_f32 v50, v49, v50 :: v_dual_mov_b32 v49, v24
	s_delay_alu instid0(VALU_DEP_1)
	v_fma_f32 v24, v48, v24, -v50
	s_and_not1_b32 exec_lo, exec_lo, s18
	s_cbranch_execnz .LBB62_260
; %bb.261:
	s_or_b32 exec_lo, exec_lo, s18
.LBB62_262:
	s_delay_alu instid0(SALU_CYCLE_1)
	s_or_b32 exec_lo, exec_lo, s17
                                        ; implicit-def: $vgpr48
.LBB62_263:
	s_and_not1_saveexec_b32 s10, s16
; %bb.264:
	v_add_f32_e32 v24, v48, v48
; %bb.265:
	s_or_b32 exec_lo, exec_lo, s10
.LBB62_266:
	s_delay_alu instid0(SALU_CYCLE_1)
	s_or_b32 exec_lo, exec_lo, s14
.LBB62_267:
	s_delay_alu instid0(SALU_CYCLE_1) | instskip(SKIP_3) | instid1(VALU_DEP_1)
	s_or_b32 exec_lo, exec_lo, s13
	s_waitcnt vmcnt(4)
	v_trunc_f32_e32 v33, v19
	s_mov_b32 s13, exec_lo
	v_mul_f32_e64 v34, 0x2f800000, |v33|
	s_delay_alu instid0(VALU_DEP_1) | instskip(NEXT) | instid1(VALU_DEP_1)
	v_floor_f32_e32 v34, v34
	v_fma_f32 v48, 0xcf800000, v34, |v33|
	v_ashrrev_i32_e32 v33, 31, v33
	v_cvt_u32_f32_e32 v34, v34
	s_delay_alu instid0(VALU_DEP_3) | instskip(NEXT) | instid1(VALU_DEP_2)
	v_cvt_u32_f32_e32 v48, v48
	v_xor_b32_e32 v34, v34, v33
	s_delay_alu instid0(VALU_DEP_2) | instskip(NEXT) | instid1(VALU_DEP_1)
	v_xor_b32_e32 v48, v48, v33
	v_sub_co_u32 v48, vcc_lo, v48, v33
	s_delay_alu instid0(VALU_DEP_3) | instskip(SKIP_1) | instid1(VALU_DEP_2)
	v_sub_co_ci_u32_e32 v33, vcc_lo, v34, v33, vcc_lo
	v_cmp_class_f32_e64 vcc_lo, v19, 0x1f8
	v_dual_mov_b32 v19, 0 :: v_dual_cndmask_b32 v34, -1, v33
	s_delay_alu instid0(VALU_DEP_4) | instskip(NEXT) | instid1(VALU_DEP_1)
	v_cndmask_b32_e32 v33, -1, v48, vcc_lo
	v_cmpx_lt_i64_e32 -1, v[33:34]
	s_cbranch_execz .LBB62_279
; %bb.268:
	v_mov_b32_e32 v19, 1.0
	s_mov_b32 s14, exec_lo
	v_cmpx_lt_i64_e32 0, v[33:34]
	s_cbranch_execz .LBB62_278
; %bb.269:
	v_cvt_f32_f16_e32 v48, v47
                                        ; implicit-def: $vgpr19
	s_mov_b32 s10, exec_lo
	v_cmpx_ne_u64_e32 1, v[33:34]
	s_xor_b32 s16, exec_lo, s10
	s_cbranch_execz .LBB62_275
; %bb.270:
	v_mov_b32_e32 v19, 0x7fc00000
	s_mov_b32 s17, exec_lo
	v_cmpx_gt_u64_e32 0x81, v[33:34]
	s_cbranch_execz .LBB62_274
; %bb.271:
	v_dual_add_f32 v48, v48, v48 :: v_dual_mov_b32 v49, 1.0
	v_lshlrev_b64 v[33:34], 1, v[33:34]
	s_mov_b64 s[10:11], 2
	s_mov_b32 s18, 0
	s_delay_alu instid0(VALU_DEP_2)
	v_mov_b32_e32 v19, v48
	.p2align	6
.LBB62_272:                             ; =>This Inner Loop Header: Depth=1
	s_clz_i32_u32 s19, s11
	s_delay_alu instid0(SALU_CYCLE_1) | instskip(NEXT) | instid1(SALU_CYCLE_1)
	s_min_u32 s19, s19, 32
	s_lshl_b64 s[20:21], s[10:11], s19
	s_sub_i32 s19, 32, s19
	s_min_u32 s20, s20, 1
	s_delay_alu instid0(SALU_CYCLE_1) | instskip(SKIP_3) | instid1(SALU_CYCLE_1)
	s_or_b32 s20, s21, s20
	s_add_u32 s10, s10, 2
	v_cvt_f32_u32_e32 v50, s20
	s_addc_u32 s11, s11, 0
	v_cmp_ge_u64_e32 vcc_lo, s[10:11], v[33:34]
	s_delay_alu instid0(VALU_DEP_2) | instskip(SKIP_1) | instid1(VALU_DEP_1)
	v_ldexp_f32 v50, v50, s19
	s_or_b32 s18, vcc_lo, s18
	v_dual_mul_f32 v50, v49, v50 :: v_dual_mov_b32 v49, v19
	s_delay_alu instid0(VALU_DEP_1)
	v_fma_f32 v19, v48, v19, -v50
	s_and_not1_b32 exec_lo, exec_lo, s18
	s_cbranch_execnz .LBB62_272
; %bb.273:
	s_or_b32 exec_lo, exec_lo, s18
.LBB62_274:
	s_delay_alu instid0(SALU_CYCLE_1)
	s_or_b32 exec_lo, exec_lo, s17
                                        ; implicit-def: $vgpr48
.LBB62_275:
	s_and_not1_saveexec_b32 s10, s16
; %bb.276:
	v_add_f32_e32 v19, v48, v48
; %bb.277:
	s_or_b32 exec_lo, exec_lo, s10
.LBB62_278:
	s_delay_alu instid0(SALU_CYCLE_1)
	s_or_b32 exec_lo, exec_lo, s14
.LBB62_279:
	s_delay_alu instid0(SALU_CYCLE_1) | instskip(SKIP_2) | instid1(VALU_DEP_1)
	s_or_b32 exec_lo, exec_lo, s13
	v_trunc_f32_e32 v33, v20
	s_mov_b32 s13, exec_lo
	v_mul_f32_e64 v34, 0x2f800000, |v33|
	s_delay_alu instid0(VALU_DEP_1) | instskip(NEXT) | instid1(VALU_DEP_1)
	v_floor_f32_e32 v34, v34
	v_fma_f32 v48, 0xcf800000, v34, |v33|
	v_ashrrev_i32_e32 v33, 31, v33
	v_cvt_u32_f32_e32 v34, v34
	s_delay_alu instid0(VALU_DEP_3) | instskip(NEXT) | instid1(VALU_DEP_2)
	v_cvt_u32_f32_e32 v48, v48
	v_xor_b32_e32 v34, v34, v33
	s_delay_alu instid0(VALU_DEP_2) | instskip(NEXT) | instid1(VALU_DEP_1)
	v_xor_b32_e32 v48, v48, v33
	v_sub_co_u32 v48, vcc_lo, v48, v33
	s_delay_alu instid0(VALU_DEP_3) | instskip(SKIP_2) | instid1(VALU_DEP_3)
	v_sub_co_ci_u32_e32 v33, vcc_lo, v34, v33, vcc_lo
	v_cmp_class_f32_e64 vcc_lo, v20, 0x1f8
	v_mov_b32_e32 v20, 0
	v_dual_cndmask_b32 v34, -1, v33 :: v_dual_cndmask_b32 v33, -1, v48
	s_delay_alu instid0(VALU_DEP_1)
	v_cmpx_lt_i64_e32 -1, v[33:34]
	s_cbranch_execz .LBB62_291
; %bb.280:
	v_mov_b32_e32 v20, 1.0
	s_mov_b32 s14, exec_lo
	v_cmpx_lt_i64_e32 0, v[33:34]
	s_cbranch_execz .LBB62_290
; %bb.281:
	v_lshrrev_b32_e32 v20, 16, v47
	s_mov_b32 s10, exec_lo
	s_delay_alu instid0(VALU_DEP_1)
	v_cvt_f32_f16_e32 v47, v20
	v_cmpx_ne_u64_e32 1, v[33:34]
	s_xor_b32 s16, exec_lo, s10
	s_cbranch_execz .LBB62_287
; %bb.282:
	v_mov_b32_e32 v20, 0x7fc00000
	s_mov_b32 s17, exec_lo
	v_cmpx_gt_u64_e32 0x81, v[33:34]
	s_cbranch_execz .LBB62_286
; %bb.283:
	v_dual_add_f32 v47, v47, v47 :: v_dual_mov_b32 v48, 1.0
	v_lshlrev_b64 v[33:34], 1, v[33:34]
	s_mov_b64 s[10:11], 2
	s_mov_b32 s18, 0
	s_delay_alu instid0(VALU_DEP_2)
	v_mov_b32_e32 v20, v47
	.p2align	6
.LBB62_284:                             ; =>This Inner Loop Header: Depth=1
	s_clz_i32_u32 s19, s11
	s_delay_alu instid0(SALU_CYCLE_1) | instskip(NEXT) | instid1(SALU_CYCLE_1)
	s_min_u32 s19, s19, 32
	s_lshl_b64 s[20:21], s[10:11], s19
	s_sub_i32 s19, 32, s19
	s_min_u32 s20, s20, 1
	s_delay_alu instid0(SALU_CYCLE_1) | instskip(SKIP_3) | instid1(SALU_CYCLE_1)
	s_or_b32 s20, s21, s20
	s_add_u32 s10, s10, 2
	v_cvt_f32_u32_e32 v49, s20
	s_addc_u32 s11, s11, 0
	v_cmp_ge_u64_e32 vcc_lo, s[10:11], v[33:34]
	s_delay_alu instid0(VALU_DEP_2) | instskip(SKIP_1) | instid1(VALU_DEP_1)
	v_ldexp_f32 v49, v49, s19
	s_or_b32 s18, vcc_lo, s18
	v_mul_f32_e32 v49, v48, v49
	v_mov_b32_e32 v48, v20
	s_delay_alu instid0(VALU_DEP_2)
	v_fma_f32 v20, v47, v20, -v49
	s_and_not1_b32 exec_lo, exec_lo, s18
	s_cbranch_execnz .LBB62_284
; %bb.285:
	s_or_b32 exec_lo, exec_lo, s18
.LBB62_286:
	s_delay_alu instid0(SALU_CYCLE_1)
	s_or_b32 exec_lo, exec_lo, s17
                                        ; implicit-def: $vgpr47
.LBB62_287:
	s_and_not1_saveexec_b32 s10, s16
; %bb.288:
	v_add_f32_e32 v20, v47, v47
; %bb.289:
	s_or_b32 exec_lo, exec_lo, s10
.LBB62_290:
	s_delay_alu instid0(SALU_CYCLE_1)
	s_or_b32 exec_lo, exec_lo, s14
.LBB62_291:
	s_delay_alu instid0(SALU_CYCLE_1) | instskip(SKIP_3) | instid1(VALU_DEP_1)
	s_or_b32 exec_lo, exec_lo, s13
	s_waitcnt vmcnt(3)
	v_trunc_f32_e32 v33, v15
	s_mov_b32 s13, exec_lo
	v_mul_f32_e64 v34, 0x2f800000, |v33|
	s_delay_alu instid0(VALU_DEP_1) | instskip(NEXT) | instid1(VALU_DEP_1)
	v_floor_f32_e32 v34, v34
	v_fma_f32 v47, 0xcf800000, v34, |v33|
	v_ashrrev_i32_e32 v33, 31, v33
	v_cvt_u32_f32_e32 v34, v34
	s_delay_alu instid0(VALU_DEP_3) | instskip(NEXT) | instid1(VALU_DEP_2)
	v_cvt_u32_f32_e32 v47, v47
	v_xor_b32_e32 v34, v34, v33
	s_delay_alu instid0(VALU_DEP_2) | instskip(NEXT) | instid1(VALU_DEP_1)
	v_xor_b32_e32 v47, v47, v33
	v_sub_co_u32 v47, vcc_lo, v47, v33
	s_delay_alu instid0(VALU_DEP_3) | instskip(SKIP_1) | instid1(VALU_DEP_2)
	v_sub_co_ci_u32_e32 v33, vcc_lo, v34, v33, vcc_lo
	v_cmp_class_f32_e64 vcc_lo, v15, 0x1f8
	v_dual_mov_b32 v15, 0 :: v_dual_cndmask_b32 v34, -1, v33
	s_delay_alu instid0(VALU_DEP_4) | instskip(NEXT) | instid1(VALU_DEP_1)
	v_cndmask_b32_e32 v33, -1, v47, vcc_lo
	v_cmpx_lt_i64_e32 -1, v[33:34]
	s_cbranch_execz .LBB62_303
; %bb.292:
	v_mov_b32_e32 v15, 1.0
	s_mov_b32 s14, exec_lo
	v_cmpx_lt_i64_e32 0, v[33:34]
	s_cbranch_execz .LBB62_302
; %bb.293:
	v_cvt_f32_f16_e32 v47, v46
                                        ; implicit-def: $vgpr15
	s_mov_b32 s10, exec_lo
	v_cmpx_ne_u64_e32 1, v[33:34]
	s_xor_b32 s16, exec_lo, s10
	s_cbranch_execz .LBB62_299
; %bb.294:
	v_mov_b32_e32 v15, 0x7fc00000
	s_mov_b32 s17, exec_lo
	v_cmpx_gt_u64_e32 0x81, v[33:34]
	s_cbranch_execz .LBB62_298
; %bb.295:
	v_dual_add_f32 v47, v47, v47 :: v_dual_mov_b32 v48, 1.0
	v_lshlrev_b64 v[33:34], 1, v[33:34]
	s_mov_b64 s[10:11], 2
	s_mov_b32 s18, 0
	s_delay_alu instid0(VALU_DEP_2)
	v_mov_b32_e32 v15, v47
	.p2align	6
.LBB62_296:                             ; =>This Inner Loop Header: Depth=1
	s_clz_i32_u32 s19, s11
	s_delay_alu instid0(SALU_CYCLE_1) | instskip(NEXT) | instid1(SALU_CYCLE_1)
	s_min_u32 s19, s19, 32
	s_lshl_b64 s[20:21], s[10:11], s19
	s_sub_i32 s19, 32, s19
	s_min_u32 s20, s20, 1
	s_delay_alu instid0(SALU_CYCLE_1) | instskip(SKIP_3) | instid1(SALU_CYCLE_1)
	s_or_b32 s20, s21, s20
	s_add_u32 s10, s10, 2
	v_cvt_f32_u32_e32 v49, s20
	s_addc_u32 s11, s11, 0
	v_cmp_ge_u64_e32 vcc_lo, s[10:11], v[33:34]
	s_delay_alu instid0(VALU_DEP_2) | instskip(SKIP_1) | instid1(VALU_DEP_1)
	v_ldexp_f32 v49, v49, s19
	s_or_b32 s18, vcc_lo, s18
	v_dual_mul_f32 v49, v48, v49 :: v_dual_mov_b32 v48, v15
	s_delay_alu instid0(VALU_DEP_1)
	v_fma_f32 v15, v47, v15, -v49
	s_and_not1_b32 exec_lo, exec_lo, s18
	s_cbranch_execnz .LBB62_296
; %bb.297:
	s_or_b32 exec_lo, exec_lo, s18
.LBB62_298:
	s_delay_alu instid0(SALU_CYCLE_1)
	s_or_b32 exec_lo, exec_lo, s17
                                        ; implicit-def: $vgpr47
.LBB62_299:
	s_and_not1_saveexec_b32 s10, s16
; %bb.300:
	v_add_f32_e32 v15, v47, v47
; %bb.301:
	s_or_b32 exec_lo, exec_lo, s10
.LBB62_302:
	s_delay_alu instid0(SALU_CYCLE_1)
	s_or_b32 exec_lo, exec_lo, s14
.LBB62_303:
	s_delay_alu instid0(SALU_CYCLE_1) | instskip(SKIP_2) | instid1(VALU_DEP_1)
	s_or_b32 exec_lo, exec_lo, s13
	v_trunc_f32_e32 v33, v16
	s_mov_b32 s13, exec_lo
	v_mul_f32_e64 v34, 0x2f800000, |v33|
	s_delay_alu instid0(VALU_DEP_1) | instskip(NEXT) | instid1(VALU_DEP_1)
	v_floor_f32_e32 v34, v34
	v_fma_f32 v47, 0xcf800000, v34, |v33|
	v_ashrrev_i32_e32 v33, 31, v33
	v_cvt_u32_f32_e32 v34, v34
	s_delay_alu instid0(VALU_DEP_3) | instskip(NEXT) | instid1(VALU_DEP_2)
	v_cvt_u32_f32_e32 v47, v47
	v_xor_b32_e32 v34, v34, v33
	s_delay_alu instid0(VALU_DEP_2) | instskip(NEXT) | instid1(VALU_DEP_1)
	v_xor_b32_e32 v47, v47, v33
	v_sub_co_u32 v47, vcc_lo, v47, v33
	s_delay_alu instid0(VALU_DEP_3) | instskip(SKIP_2) | instid1(VALU_DEP_3)
	v_sub_co_ci_u32_e32 v33, vcc_lo, v34, v33, vcc_lo
	v_cmp_class_f32_e64 vcc_lo, v16, 0x1f8
	v_mov_b32_e32 v16, 0
	v_dual_cndmask_b32 v34, -1, v33 :: v_dual_cndmask_b32 v33, -1, v47
	s_delay_alu instid0(VALU_DEP_1)
	v_cmpx_lt_i64_e32 -1, v[33:34]
	s_cbranch_execz .LBB62_315
; %bb.304:
	v_mov_b32_e32 v16, 1.0
	s_mov_b32 s14, exec_lo
	v_cmpx_lt_i64_e32 0, v[33:34]
	s_cbranch_execz .LBB62_314
; %bb.305:
	v_lshrrev_b32_e32 v16, 16, v46
	s_mov_b32 s10, exec_lo
	s_delay_alu instid0(VALU_DEP_1)
	v_cvt_f32_f16_e32 v46, v16
	v_cmpx_ne_u64_e32 1, v[33:34]
	s_xor_b32 s16, exec_lo, s10
	s_cbranch_execz .LBB62_311
; %bb.306:
	v_mov_b32_e32 v16, 0x7fc00000
	s_mov_b32 s17, exec_lo
	v_cmpx_gt_u64_e32 0x81, v[33:34]
	s_cbranch_execz .LBB62_310
; %bb.307:
	v_dual_add_f32 v46, v46, v46 :: v_dual_mov_b32 v47, 1.0
	v_lshlrev_b64 v[33:34], 1, v[33:34]
	s_mov_b64 s[10:11], 2
	s_mov_b32 s18, 0
	s_delay_alu instid0(VALU_DEP_2)
	v_mov_b32_e32 v16, v46
	.p2align	6
.LBB62_308:                             ; =>This Inner Loop Header: Depth=1
	s_clz_i32_u32 s19, s11
	s_delay_alu instid0(SALU_CYCLE_1) | instskip(NEXT) | instid1(SALU_CYCLE_1)
	s_min_u32 s19, s19, 32
	s_lshl_b64 s[20:21], s[10:11], s19
	s_sub_i32 s19, 32, s19
	s_min_u32 s20, s20, 1
	s_delay_alu instid0(SALU_CYCLE_1) | instskip(SKIP_3) | instid1(SALU_CYCLE_1)
	s_or_b32 s20, s21, s20
	s_add_u32 s10, s10, 2
	v_cvt_f32_u32_e32 v48, s20
	s_addc_u32 s11, s11, 0
	v_cmp_ge_u64_e32 vcc_lo, s[10:11], v[33:34]
	s_delay_alu instid0(VALU_DEP_2) | instskip(SKIP_1) | instid1(VALU_DEP_1)
	v_ldexp_f32 v48, v48, s19
	s_or_b32 s18, vcc_lo, s18
	v_dual_mul_f32 v48, v47, v48 :: v_dual_mov_b32 v47, v16
	s_delay_alu instid0(VALU_DEP_1)
	v_fma_f32 v16, v46, v16, -v48
	s_and_not1_b32 exec_lo, exec_lo, s18
	s_cbranch_execnz .LBB62_308
; %bb.309:
	s_or_b32 exec_lo, exec_lo, s18
.LBB62_310:
	s_delay_alu instid0(SALU_CYCLE_1)
	s_or_b32 exec_lo, exec_lo, s17
                                        ; implicit-def: $vgpr46
.LBB62_311:
	s_and_not1_saveexec_b32 s10, s16
; %bb.312:
	v_add_f32_e32 v16, v46, v46
; %bb.313:
	s_or_b32 exec_lo, exec_lo, s10
.LBB62_314:
	s_delay_alu instid0(SALU_CYCLE_1)
	s_or_b32 exec_lo, exec_lo, s14
.LBB62_315:
	s_delay_alu instid0(SALU_CYCLE_1) | instskip(SKIP_3) | instid1(VALU_DEP_1)
	s_or_b32 exec_lo, exec_lo, s13
	s_waitcnt vmcnt(2)
	v_trunc_f32_e32 v33, v11
	s_mov_b32 s13, exec_lo
	v_mul_f32_e64 v34, 0x2f800000, |v33|
	s_delay_alu instid0(VALU_DEP_1) | instskip(NEXT) | instid1(VALU_DEP_1)
	v_floor_f32_e32 v34, v34
	v_fma_f32 v46, 0xcf800000, v34, |v33|
	v_ashrrev_i32_e32 v33, 31, v33
	v_cvt_u32_f32_e32 v34, v34
	s_delay_alu instid0(VALU_DEP_3) | instskip(NEXT) | instid1(VALU_DEP_2)
	v_cvt_u32_f32_e32 v46, v46
	v_xor_b32_e32 v34, v34, v33
	s_delay_alu instid0(VALU_DEP_2) | instskip(NEXT) | instid1(VALU_DEP_1)
	v_xor_b32_e32 v46, v46, v33
	v_sub_co_u32 v46, vcc_lo, v46, v33
	s_delay_alu instid0(VALU_DEP_3) | instskip(SKIP_1) | instid1(VALU_DEP_2)
	v_sub_co_ci_u32_e32 v33, vcc_lo, v34, v33, vcc_lo
	v_cmp_class_f32_e64 vcc_lo, v11, 0x1f8
	v_dual_mov_b32 v11, 0 :: v_dual_cndmask_b32 v34, -1, v33
	s_delay_alu instid0(VALU_DEP_4) | instskip(NEXT) | instid1(VALU_DEP_1)
	v_cndmask_b32_e32 v33, -1, v46, vcc_lo
	v_cmpx_lt_i64_e32 -1, v[33:34]
	s_cbranch_execz .LBB62_327
; %bb.316:
	v_mov_b32_e32 v11, 1.0
	s_mov_b32 s14, exec_lo
	v_cmpx_lt_i64_e32 0, v[33:34]
	s_cbranch_execz .LBB62_326
; %bb.317:
	v_cvt_f32_f16_e32 v46, v45
                                        ; implicit-def: $vgpr11
	s_mov_b32 s10, exec_lo
	v_cmpx_ne_u64_e32 1, v[33:34]
	s_xor_b32 s16, exec_lo, s10
	s_cbranch_execz .LBB62_323
; %bb.318:
	v_mov_b32_e32 v11, 0x7fc00000
	s_mov_b32 s17, exec_lo
	v_cmpx_gt_u64_e32 0x81, v[33:34]
	s_cbranch_execz .LBB62_322
; %bb.319:
	v_dual_add_f32 v46, v46, v46 :: v_dual_mov_b32 v47, 1.0
	v_lshlrev_b64 v[33:34], 1, v[33:34]
	s_mov_b64 s[10:11], 2
	s_mov_b32 s18, 0
	s_delay_alu instid0(VALU_DEP_2)
	v_mov_b32_e32 v11, v46
	.p2align	6
.LBB62_320:                             ; =>This Inner Loop Header: Depth=1
	s_clz_i32_u32 s19, s11
	s_delay_alu instid0(SALU_CYCLE_1) | instskip(NEXT) | instid1(SALU_CYCLE_1)
	s_min_u32 s19, s19, 32
	s_lshl_b64 s[20:21], s[10:11], s19
	s_sub_i32 s19, 32, s19
	s_min_u32 s20, s20, 1
	s_delay_alu instid0(SALU_CYCLE_1) | instskip(SKIP_3) | instid1(SALU_CYCLE_1)
	s_or_b32 s20, s21, s20
	s_add_u32 s10, s10, 2
	v_cvt_f32_u32_e32 v48, s20
	s_addc_u32 s11, s11, 0
	v_cmp_ge_u64_e32 vcc_lo, s[10:11], v[33:34]
	s_delay_alu instid0(VALU_DEP_2) | instskip(SKIP_1) | instid1(VALU_DEP_1)
	v_ldexp_f32 v48, v48, s19
	s_or_b32 s18, vcc_lo, s18
	v_mul_f32_e32 v48, v47, v48
	v_mov_b32_e32 v47, v11
	s_delay_alu instid0(VALU_DEP_2)
	v_fma_f32 v11, v46, v11, -v48
	s_and_not1_b32 exec_lo, exec_lo, s18
	s_cbranch_execnz .LBB62_320
; %bb.321:
	s_or_b32 exec_lo, exec_lo, s18
.LBB62_322:
	s_delay_alu instid0(SALU_CYCLE_1)
	s_or_b32 exec_lo, exec_lo, s17
                                        ; implicit-def: $vgpr46
.LBB62_323:
	s_and_not1_saveexec_b32 s10, s16
; %bb.324:
	v_add_f32_e32 v11, v46, v46
; %bb.325:
	s_or_b32 exec_lo, exec_lo, s10
.LBB62_326:
	s_delay_alu instid0(SALU_CYCLE_1)
	s_or_b32 exec_lo, exec_lo, s14
.LBB62_327:
	s_delay_alu instid0(SALU_CYCLE_1) | instskip(SKIP_2) | instid1(VALU_DEP_1)
	s_or_b32 exec_lo, exec_lo, s13
	v_trunc_f32_e32 v33, v12
	s_mov_b32 s13, exec_lo
	v_mul_f32_e64 v34, 0x2f800000, |v33|
	s_delay_alu instid0(VALU_DEP_1) | instskip(NEXT) | instid1(VALU_DEP_1)
	v_floor_f32_e32 v34, v34
	v_fma_f32 v46, 0xcf800000, v34, |v33|
	v_ashrrev_i32_e32 v33, 31, v33
	v_cvt_u32_f32_e32 v34, v34
	s_delay_alu instid0(VALU_DEP_3) | instskip(NEXT) | instid1(VALU_DEP_2)
	v_cvt_u32_f32_e32 v46, v46
	v_xor_b32_e32 v34, v34, v33
	s_delay_alu instid0(VALU_DEP_2) | instskip(NEXT) | instid1(VALU_DEP_1)
	v_xor_b32_e32 v46, v46, v33
	v_sub_co_u32 v46, vcc_lo, v46, v33
	s_delay_alu instid0(VALU_DEP_3) | instskip(SKIP_2) | instid1(VALU_DEP_3)
	v_sub_co_ci_u32_e32 v33, vcc_lo, v34, v33, vcc_lo
	v_cmp_class_f32_e64 vcc_lo, v12, 0x1f8
	v_mov_b32_e32 v12, 0
	v_dual_cndmask_b32 v34, -1, v33 :: v_dual_cndmask_b32 v33, -1, v46
	s_delay_alu instid0(VALU_DEP_1)
	v_cmpx_lt_i64_e32 -1, v[33:34]
	s_cbranch_execz .LBB62_339
; %bb.328:
	v_mov_b32_e32 v12, 1.0
	s_mov_b32 s14, exec_lo
	v_cmpx_lt_i64_e32 0, v[33:34]
	s_cbranch_execz .LBB62_338
; %bb.329:
	v_lshrrev_b32_e32 v12, 16, v45
	s_mov_b32 s10, exec_lo
	s_delay_alu instid0(VALU_DEP_1)
	v_cvt_f32_f16_e32 v45, v12
	v_cmpx_ne_u64_e32 1, v[33:34]
	s_xor_b32 s16, exec_lo, s10
	s_cbranch_execz .LBB62_335
; %bb.330:
	v_mov_b32_e32 v12, 0x7fc00000
	s_mov_b32 s17, exec_lo
	v_cmpx_gt_u64_e32 0x81, v[33:34]
	s_cbranch_execz .LBB62_334
; %bb.331:
	v_dual_add_f32 v45, v45, v45 :: v_dual_mov_b32 v46, 1.0
	v_lshlrev_b64 v[33:34], 1, v[33:34]
	s_mov_b64 s[10:11], 2
	s_mov_b32 s18, 0
	s_delay_alu instid0(VALU_DEP_2)
	v_mov_b32_e32 v12, v45
	.p2align	6
.LBB62_332:                             ; =>This Inner Loop Header: Depth=1
	s_clz_i32_u32 s19, s11
	s_delay_alu instid0(SALU_CYCLE_1) | instskip(NEXT) | instid1(SALU_CYCLE_1)
	s_min_u32 s19, s19, 32
	s_lshl_b64 s[20:21], s[10:11], s19
	s_sub_i32 s19, 32, s19
	s_min_u32 s20, s20, 1
	s_delay_alu instid0(SALU_CYCLE_1) | instskip(SKIP_3) | instid1(SALU_CYCLE_1)
	s_or_b32 s20, s21, s20
	s_add_u32 s10, s10, 2
	v_cvt_f32_u32_e32 v47, s20
	s_addc_u32 s11, s11, 0
	v_cmp_ge_u64_e32 vcc_lo, s[10:11], v[33:34]
	s_delay_alu instid0(VALU_DEP_2) | instskip(SKIP_1) | instid1(VALU_DEP_1)
	v_ldexp_f32 v47, v47, s19
	s_or_b32 s18, vcc_lo, s18
	v_dual_mul_f32 v47, v46, v47 :: v_dual_mov_b32 v46, v12
	s_delay_alu instid0(VALU_DEP_1)
	v_fma_f32 v12, v45, v12, -v47
	s_and_not1_b32 exec_lo, exec_lo, s18
	s_cbranch_execnz .LBB62_332
; %bb.333:
	s_or_b32 exec_lo, exec_lo, s18
.LBB62_334:
	s_delay_alu instid0(SALU_CYCLE_1)
	s_or_b32 exec_lo, exec_lo, s17
                                        ; implicit-def: $vgpr45
.LBB62_335:
	s_and_not1_saveexec_b32 s10, s16
; %bb.336:
	v_add_f32_e32 v12, v45, v45
; %bb.337:
	s_or_b32 exec_lo, exec_lo, s10
.LBB62_338:
	s_delay_alu instid0(SALU_CYCLE_1)
	s_or_b32 exec_lo, exec_lo, s14
.LBB62_339:
	s_delay_alu instid0(SALU_CYCLE_1) | instskip(SKIP_3) | instid1(VALU_DEP_1)
	s_or_b32 exec_lo, exec_lo, s13
	s_waitcnt vmcnt(1)
	v_trunc_f32_e32 v33, v7
	s_mov_b32 s13, exec_lo
	v_mul_f32_e64 v34, 0x2f800000, |v33|
	s_delay_alu instid0(VALU_DEP_1) | instskip(NEXT) | instid1(VALU_DEP_1)
	v_floor_f32_e32 v34, v34
	v_fma_f32 v45, 0xcf800000, v34, |v33|
	v_ashrrev_i32_e32 v33, 31, v33
	v_cvt_u32_f32_e32 v34, v34
	s_delay_alu instid0(VALU_DEP_3) | instskip(NEXT) | instid1(VALU_DEP_2)
	v_cvt_u32_f32_e32 v45, v45
	v_xor_b32_e32 v34, v34, v33
	s_delay_alu instid0(VALU_DEP_2) | instskip(NEXT) | instid1(VALU_DEP_1)
	v_xor_b32_e32 v45, v45, v33
	v_sub_co_u32 v45, vcc_lo, v45, v33
	s_delay_alu instid0(VALU_DEP_3) | instskip(SKIP_1) | instid1(VALU_DEP_2)
	v_sub_co_ci_u32_e32 v33, vcc_lo, v34, v33, vcc_lo
	v_cmp_class_f32_e64 vcc_lo, v7, 0x1f8
	v_dual_mov_b32 v7, 0 :: v_dual_cndmask_b32 v34, -1, v33
	s_delay_alu instid0(VALU_DEP_4) | instskip(NEXT) | instid1(VALU_DEP_1)
	v_cndmask_b32_e32 v33, -1, v45, vcc_lo
	v_cmpx_lt_i64_e32 -1, v[33:34]
	s_cbranch_execz .LBB62_351
; %bb.340:
	v_mov_b32_e32 v7, 1.0
	s_mov_b32 s14, exec_lo
	v_cmpx_lt_i64_e32 0, v[33:34]
	s_cbranch_execz .LBB62_350
; %bb.341:
	v_cvt_f32_f16_e32 v45, v44
                                        ; implicit-def: $vgpr7
	s_mov_b32 s10, exec_lo
	v_cmpx_ne_u64_e32 1, v[33:34]
	s_xor_b32 s16, exec_lo, s10
	s_cbranch_execz .LBB62_347
; %bb.342:
	v_mov_b32_e32 v7, 0x7fc00000
	s_mov_b32 s17, exec_lo
	v_cmpx_gt_u64_e32 0x81, v[33:34]
	s_cbranch_execz .LBB62_346
; %bb.343:
	v_dual_add_f32 v45, v45, v45 :: v_dual_mov_b32 v46, 1.0
	v_lshlrev_b64 v[33:34], 1, v[33:34]
	s_mov_b64 s[10:11], 2
	s_mov_b32 s18, 0
	s_delay_alu instid0(VALU_DEP_2)
	v_mov_b32_e32 v7, v45
	.p2align	6
.LBB62_344:                             ; =>This Inner Loop Header: Depth=1
	s_clz_i32_u32 s19, s11
	s_delay_alu instid0(SALU_CYCLE_1) | instskip(NEXT) | instid1(SALU_CYCLE_1)
	s_min_u32 s19, s19, 32
	s_lshl_b64 s[20:21], s[10:11], s19
	s_sub_i32 s19, 32, s19
	s_min_u32 s20, s20, 1
	s_delay_alu instid0(SALU_CYCLE_1) | instskip(SKIP_3) | instid1(SALU_CYCLE_1)
	s_or_b32 s20, s21, s20
	s_add_u32 s10, s10, 2
	v_cvt_f32_u32_e32 v47, s20
	s_addc_u32 s11, s11, 0
	v_cmp_ge_u64_e32 vcc_lo, s[10:11], v[33:34]
	s_delay_alu instid0(VALU_DEP_2) | instskip(SKIP_1) | instid1(VALU_DEP_1)
	v_ldexp_f32 v47, v47, s19
	s_or_b32 s18, vcc_lo, s18
	v_dual_mul_f32 v47, v46, v47 :: v_dual_mov_b32 v46, v7
	s_delay_alu instid0(VALU_DEP_1)
	v_fma_f32 v7, v45, v7, -v47
	s_and_not1_b32 exec_lo, exec_lo, s18
	s_cbranch_execnz .LBB62_344
; %bb.345:
	s_or_b32 exec_lo, exec_lo, s18
.LBB62_346:
	s_delay_alu instid0(SALU_CYCLE_1)
	s_or_b32 exec_lo, exec_lo, s17
                                        ; implicit-def: $vgpr45
.LBB62_347:
	s_and_not1_saveexec_b32 s10, s16
; %bb.348:
	v_add_f32_e32 v7, v45, v45
; %bb.349:
	s_or_b32 exec_lo, exec_lo, s10
.LBB62_350:
	s_delay_alu instid0(SALU_CYCLE_1)
	s_or_b32 exec_lo, exec_lo, s14
.LBB62_351:
	s_delay_alu instid0(SALU_CYCLE_1) | instskip(SKIP_2) | instid1(VALU_DEP_1)
	s_or_b32 exec_lo, exec_lo, s13
	v_trunc_f32_e32 v33, v8
	s_mov_b32 s13, exec_lo
	v_mul_f32_e64 v34, 0x2f800000, |v33|
	s_delay_alu instid0(VALU_DEP_1) | instskip(NEXT) | instid1(VALU_DEP_1)
	v_floor_f32_e32 v34, v34
	v_fma_f32 v45, 0xcf800000, v34, |v33|
	v_ashrrev_i32_e32 v33, 31, v33
	v_cvt_u32_f32_e32 v34, v34
	s_delay_alu instid0(VALU_DEP_3) | instskip(NEXT) | instid1(VALU_DEP_2)
	v_cvt_u32_f32_e32 v45, v45
	v_xor_b32_e32 v34, v34, v33
	s_delay_alu instid0(VALU_DEP_2) | instskip(NEXT) | instid1(VALU_DEP_1)
	v_xor_b32_e32 v45, v45, v33
	v_sub_co_u32 v45, vcc_lo, v45, v33
	s_delay_alu instid0(VALU_DEP_3) | instskip(SKIP_2) | instid1(VALU_DEP_3)
	v_sub_co_ci_u32_e32 v33, vcc_lo, v34, v33, vcc_lo
	v_cmp_class_f32_e64 vcc_lo, v8, 0x1f8
	v_mov_b32_e32 v8, 0
	v_cndmask_b32_e32 v34, -1, v33, vcc_lo
	v_cndmask_b32_e32 v33, -1, v45, vcc_lo
	s_delay_alu instid0(VALU_DEP_1)
	v_cmpx_lt_i64_e32 -1, v[33:34]
	s_cbranch_execz .LBB62_363
; %bb.352:
	v_mov_b32_e32 v8, 1.0
	s_mov_b32 s14, exec_lo
	v_cmpx_lt_i64_e32 0, v[33:34]
	s_cbranch_execz .LBB62_362
; %bb.353:
	v_lshrrev_b32_e32 v8, 16, v44
	s_mov_b32 s10, exec_lo
	s_delay_alu instid0(VALU_DEP_1)
	v_cvt_f32_f16_e32 v44, v8
	v_cmpx_ne_u64_e32 1, v[33:34]
	s_xor_b32 s16, exec_lo, s10
	s_cbranch_execz .LBB62_359
; %bb.354:
	v_mov_b32_e32 v8, 0x7fc00000
	s_mov_b32 s17, exec_lo
	v_cmpx_gt_u64_e32 0x81, v[33:34]
	s_cbranch_execz .LBB62_358
; %bb.355:
	v_dual_add_f32 v44, v44, v44 :: v_dual_mov_b32 v45, 1.0
	v_lshlrev_b64 v[33:34], 1, v[33:34]
	s_mov_b64 s[10:11], 2
	s_mov_b32 s18, 0
	s_delay_alu instid0(VALU_DEP_2)
	v_mov_b32_e32 v8, v44
	.p2align	6
.LBB62_356:                             ; =>This Inner Loop Header: Depth=1
	s_clz_i32_u32 s19, s11
	s_delay_alu instid0(SALU_CYCLE_1) | instskip(NEXT) | instid1(SALU_CYCLE_1)
	s_min_u32 s19, s19, 32
	s_lshl_b64 s[20:21], s[10:11], s19
	s_sub_i32 s19, 32, s19
	s_min_u32 s20, s20, 1
	s_delay_alu instid0(SALU_CYCLE_1) | instskip(SKIP_3) | instid1(SALU_CYCLE_1)
	s_or_b32 s20, s21, s20
	s_add_u32 s10, s10, 2
	v_cvt_f32_u32_e32 v46, s20
	s_addc_u32 s11, s11, 0
	v_cmp_ge_u64_e32 vcc_lo, s[10:11], v[33:34]
	s_delay_alu instid0(VALU_DEP_2) | instskip(SKIP_1) | instid1(VALU_DEP_1)
	v_ldexp_f32 v46, v46, s19
	s_or_b32 s18, vcc_lo, s18
	v_dual_mul_f32 v46, v45, v46 :: v_dual_mov_b32 v45, v8
	s_delay_alu instid0(VALU_DEP_1)
	v_fma_f32 v8, v44, v8, -v46
	s_and_not1_b32 exec_lo, exec_lo, s18
	s_cbranch_execnz .LBB62_356
; %bb.357:
	s_or_b32 exec_lo, exec_lo, s18
.LBB62_358:
	s_delay_alu instid0(SALU_CYCLE_1)
	s_or_b32 exec_lo, exec_lo, s17
                                        ; implicit-def: $vgpr44
.LBB62_359:
	s_and_not1_saveexec_b32 s10, s16
; %bb.360:
	v_add_f32_e32 v8, v44, v44
; %bb.361:
	s_or_b32 exec_lo, exec_lo, s10
.LBB62_362:
	s_delay_alu instid0(SALU_CYCLE_1)
	s_or_b32 exec_lo, exec_lo, s14
.LBB62_363:
	s_delay_alu instid0(SALU_CYCLE_1) | instskip(SKIP_3) | instid1(VALU_DEP_1)
	s_or_b32 exec_lo, exec_lo, s13
	s_waitcnt vmcnt(0)
	v_trunc_f32_e32 v33, v3
	s_mov_b32 s13, exec_lo
	v_mul_f32_e64 v34, 0x2f800000, |v33|
	s_delay_alu instid0(VALU_DEP_1) | instskip(NEXT) | instid1(VALU_DEP_1)
	v_floor_f32_e32 v34, v34
	v_fma_f32 v44, 0xcf800000, v34, |v33|
	v_ashrrev_i32_e32 v33, 31, v33
	v_cvt_u32_f32_e32 v34, v34
	s_delay_alu instid0(VALU_DEP_3) | instskip(NEXT) | instid1(VALU_DEP_2)
	v_cvt_u32_f32_e32 v44, v44
	v_xor_b32_e32 v34, v34, v33
	s_delay_alu instid0(VALU_DEP_2) | instskip(NEXT) | instid1(VALU_DEP_1)
	v_xor_b32_e32 v44, v44, v33
	v_sub_co_u32 v44, vcc_lo, v44, v33
	s_delay_alu instid0(VALU_DEP_3) | instskip(SKIP_1) | instid1(VALU_DEP_2)
	v_sub_co_ci_u32_e32 v33, vcc_lo, v34, v33, vcc_lo
	v_cmp_class_f32_e64 vcc_lo, v3, 0x1f8
	v_dual_mov_b32 v3, 0 :: v_dual_cndmask_b32 v34, -1, v33
	s_delay_alu instid0(VALU_DEP_4) | instskip(NEXT) | instid1(VALU_DEP_1)
	v_cndmask_b32_e32 v33, -1, v44, vcc_lo
	v_cmpx_lt_i64_e32 -1, v[33:34]
	s_cbranch_execz .LBB62_375
; %bb.364:
	v_mov_b32_e32 v3, 1.0
	s_mov_b32 s14, exec_lo
	v_cmpx_lt_i64_e32 0, v[33:34]
	s_cbranch_execz .LBB62_374
; %bb.365:
	v_cvt_f32_f16_e32 v44, v43
                                        ; implicit-def: $vgpr3
	s_mov_b32 s10, exec_lo
	v_cmpx_ne_u64_e32 1, v[33:34]
	s_xor_b32 s16, exec_lo, s10
	s_cbranch_execz .LBB62_371
; %bb.366:
	v_mov_b32_e32 v3, 0x7fc00000
	s_mov_b32 s17, exec_lo
	v_cmpx_gt_u64_e32 0x81, v[33:34]
	s_cbranch_execz .LBB62_370
; %bb.367:
	v_dual_add_f32 v44, v44, v44 :: v_dual_mov_b32 v45, 1.0
	v_lshlrev_b64 v[33:34], 1, v[33:34]
	s_mov_b64 s[10:11], 2
	s_mov_b32 s18, 0
	s_delay_alu instid0(VALU_DEP_2)
	v_mov_b32_e32 v3, v44
	.p2align	6
.LBB62_368:                             ; =>This Inner Loop Header: Depth=1
	s_clz_i32_u32 s19, s11
	s_delay_alu instid0(SALU_CYCLE_1) | instskip(NEXT) | instid1(SALU_CYCLE_1)
	s_min_u32 s19, s19, 32
	s_lshl_b64 s[20:21], s[10:11], s19
	s_sub_i32 s19, 32, s19
	s_min_u32 s20, s20, 1
	s_delay_alu instid0(SALU_CYCLE_1) | instskip(SKIP_3) | instid1(SALU_CYCLE_1)
	s_or_b32 s20, s21, s20
	s_add_u32 s10, s10, 2
	v_cvt_f32_u32_e32 v46, s20
	s_addc_u32 s11, s11, 0
	v_cmp_ge_u64_e32 vcc_lo, s[10:11], v[33:34]
	s_delay_alu instid0(VALU_DEP_2) | instskip(SKIP_1) | instid1(VALU_DEP_1)
	v_ldexp_f32 v46, v46, s19
	s_or_b32 s18, vcc_lo, s18
	v_dual_mul_f32 v46, v45, v46 :: v_dual_mov_b32 v45, v3
	s_delay_alu instid0(VALU_DEP_1)
	v_fma_f32 v3, v44, v3, -v46
	s_and_not1_b32 exec_lo, exec_lo, s18
	s_cbranch_execnz .LBB62_368
; %bb.369:
	s_or_b32 exec_lo, exec_lo, s18
.LBB62_370:
	s_delay_alu instid0(SALU_CYCLE_1)
	s_or_b32 exec_lo, exec_lo, s17
                                        ; implicit-def: $vgpr44
.LBB62_371:
	s_and_not1_saveexec_b32 s10, s16
; %bb.372:
	v_add_f32_e32 v3, v44, v44
; %bb.373:
	s_or_b32 exec_lo, exec_lo, s10
.LBB62_374:
	s_delay_alu instid0(SALU_CYCLE_1)
	s_or_b32 exec_lo, exec_lo, s14
.LBB62_375:
	s_delay_alu instid0(SALU_CYCLE_1) | instskip(SKIP_2) | instid1(VALU_DEP_1)
	s_or_b32 exec_lo, exec_lo, s13
	v_trunc_f32_e32 v33, v4
	s_mov_b32 s13, exec_lo
	v_mul_f32_e64 v34, 0x2f800000, |v33|
	s_delay_alu instid0(VALU_DEP_1) | instskip(NEXT) | instid1(VALU_DEP_1)
	v_floor_f32_e32 v34, v34
	v_fma_f32 v44, 0xcf800000, v34, |v33|
	v_ashrrev_i32_e32 v33, 31, v33
	v_cvt_u32_f32_e32 v34, v34
	s_delay_alu instid0(VALU_DEP_3) | instskip(NEXT) | instid1(VALU_DEP_2)
	v_cvt_u32_f32_e32 v44, v44
	v_xor_b32_e32 v34, v34, v33
	s_delay_alu instid0(VALU_DEP_2) | instskip(NEXT) | instid1(VALU_DEP_1)
	v_xor_b32_e32 v44, v44, v33
	v_sub_co_u32 v44, vcc_lo, v44, v33
	s_delay_alu instid0(VALU_DEP_3) | instskip(SKIP_2) | instid1(VALU_DEP_3)
	v_sub_co_ci_u32_e32 v33, vcc_lo, v34, v33, vcc_lo
	v_cmp_class_f32_e64 vcc_lo, v4, 0x1f8
	v_mov_b32_e32 v4, 0
	v_dual_cndmask_b32 v34, -1, v33 :: v_dual_cndmask_b32 v33, -1, v44
	s_delay_alu instid0(VALU_DEP_1)
	v_cmpx_lt_i64_e32 -1, v[33:34]
	s_cbranch_execz .LBB62_387
; %bb.376:
	v_mov_b32_e32 v4, 1.0
	s_mov_b32 s14, exec_lo
	v_cmpx_lt_i64_e32 0, v[33:34]
	s_cbranch_execz .LBB62_386
; %bb.377:
	v_lshrrev_b32_e32 v4, 16, v43
	s_mov_b32 s10, exec_lo
	s_delay_alu instid0(VALU_DEP_1)
	v_cvt_f32_f16_e32 v43, v4
	v_cmpx_ne_u64_e32 1, v[33:34]
	s_xor_b32 s16, exec_lo, s10
	s_cbranch_execz .LBB62_383
; %bb.378:
	v_mov_b32_e32 v4, 0x7fc00000
	s_mov_b32 s17, exec_lo
	v_cmpx_gt_u64_e32 0x81, v[33:34]
	s_cbranch_execz .LBB62_382
; %bb.379:
	v_dual_add_f32 v43, v43, v43 :: v_dual_mov_b32 v44, 1.0
	v_lshlrev_b64 v[33:34], 1, v[33:34]
	s_mov_b64 s[10:11], 2
	s_mov_b32 s18, 0
	s_delay_alu instid0(VALU_DEP_2)
	v_mov_b32_e32 v4, v43
	.p2align	6
.LBB62_380:                             ; =>This Inner Loop Header: Depth=1
	s_clz_i32_u32 s19, s11
	s_delay_alu instid0(SALU_CYCLE_1) | instskip(NEXT) | instid1(SALU_CYCLE_1)
	s_min_u32 s19, s19, 32
	s_lshl_b64 s[20:21], s[10:11], s19
	s_sub_i32 s19, 32, s19
	s_min_u32 s20, s20, 1
	s_delay_alu instid0(SALU_CYCLE_1) | instskip(SKIP_3) | instid1(SALU_CYCLE_1)
	s_or_b32 s20, s21, s20
	s_add_u32 s10, s10, 2
	v_cvt_f32_u32_e32 v45, s20
	s_addc_u32 s11, s11, 0
	v_cmp_ge_u64_e32 vcc_lo, s[10:11], v[33:34]
	s_delay_alu instid0(VALU_DEP_2) | instskip(SKIP_1) | instid1(VALU_DEP_1)
	v_ldexp_f32 v45, v45, s19
	s_or_b32 s18, vcc_lo, s18
	v_mul_f32_e32 v45, v44, v45
	v_mov_b32_e32 v44, v4
	s_delay_alu instid0(VALU_DEP_2)
	v_fma_f32 v4, v43, v4, -v45
	s_and_not1_b32 exec_lo, exec_lo, s18
	s_cbranch_execnz .LBB62_380
; %bb.381:
	s_or_b32 exec_lo, exec_lo, s18
.LBB62_382:
	s_delay_alu instid0(SALU_CYCLE_1)
	s_or_b32 exec_lo, exec_lo, s17
                                        ; implicit-def: $vgpr43
.LBB62_383:
	s_and_not1_saveexec_b32 s10, s16
; %bb.384:
	v_add_f32_e32 v4, v43, v43
; %bb.385:
	s_or_b32 exec_lo, exec_lo, s10
.LBB62_386:
	s_delay_alu instid0(SALU_CYCLE_1)
	s_or_b32 exec_lo, exec_lo, s14
.LBB62_387:
	s_delay_alu instid0(SALU_CYCLE_1) | instskip(SKIP_3) | instid1(VALU_DEP_1)
	s_or_b32 exec_lo, exec_lo, s13
	s_add_u32 s10, s4, s8
	s_addc_u32 s11, s5, s9
	v_add_co_u32 v49, s8, s10, v36
	v_add_co_ci_u32_e64 v50, null, s11, 0, s8
	s_delay_alu instid0(VALU_DEP_2) | instskip(NEXT) | instid1(VALU_DEP_2)
	v_add_co_u32 v33, vcc_lo, 0x1000, v49
	v_add_co_ci_u32_e32 v34, vcc_lo, 0, v50, vcc_lo
	v_add_co_u32 v43, vcc_lo, 0x3000, v49
	v_add_co_ci_u32_e32 v44, vcc_lo, 0, v50, vcc_lo
	;; [unrolled: 2-line block ×4, first 2 shown]
	s_clause 0x7
	global_store_b64 v36, v[1:2], s[10:11]
	global_store_b64 v40, v[9:10], s[10:11]
	;; [unrolled: 1-line block ×4, first 2 shown]
	global_store_b64 v[33:34], v[5:6], off
	global_store_b64 v[43:44], v[13:14], off
	;; [unrolled: 1-line block ×4, first 2 shown]
	v_add_co_u32 v1, vcc_lo, 0x9000, v49
	v_add_co_ci_u32_e32 v2, vcc_lo, 0, v50, vcc_lo
	v_add_co_u32 v5, vcc_lo, 0xb000, v49
	v_add_co_ci_u32_e32 v6, vcc_lo, 0, v50, vcc_lo
	;; [unrolled: 2-line block ×4, first 2 shown]
	s_clause 0x7
	global_store_b64 v35, v[31:32], s[10:11]
	global_store_b64 v37, v[23:24], s[10:11]
	;; [unrolled: 1-line block ×4, first 2 shown]
	global_store_b64 v[1:2], v[27:28], off
	global_store_b64 v[5:6], v[19:20], off
	;; [unrolled: 1-line block ×4, first 2 shown]
	s_branch .LBB62_2
.LBB62_388:
	s_clause 0x1
	s_load_b32 s10, s[0:1], 0x24
	s_load_b128 s[16:19], s[0:1], 0x28
	v_dual_mov_b32 v31, v0 :: v_dual_mov_b32 v0, s4
	v_dual_mov_b32 v1, s5 :: v_dual_mov_b32 v2, s6
	;; [unrolled: 1-line block ×4, first 2 shown]
	s_add_u32 s8, s0, 56
	s_addc_u32 s9, s1, 0
	s_mov_b32 s12, s15
	s_getpc_b64 s[0:1]
	s_add_u32 s0, s0, _ZN2at6native25elementwise_kernel_helperILb1ENS0_13BinaryFunctorIfffZZZNS0_12_GLOBAL__N_132hermite_polynomial_h_kernel_cudaERNS_18TensorIteratorBaseEENKUlvE_clEvENKUlvE0_clEvEUlffE_EENS0_6memory8policies11unroll_baseILi512ESt5arrayIPcLm3EE23TrivialOffsetCalculatorILi2EjESG_ILi1EjENSA_12LoadWithCastILi2EEENSA_13StoreWithCastILi1EEELi32ELi1EEEEEvT0_T1_@rel32@lo+4
	s_addc_u32 s1, s1, _ZN2at6native25elementwise_kernel_helperILb1ENS0_13BinaryFunctorIfffZZZNS0_12_GLOBAL__N_132hermite_polynomial_h_kernel_cudaERNS_18TensorIteratorBaseEENKUlvE_clEvENKUlvE0_clEvEUlffE_EENS0_6memory8policies11unroll_baseILi512ESt5arrayIPcLm3EE23TrivialOffsetCalculatorILi2EjESG_ILi1EjENSA_12LoadWithCastILi2EEENSA_13StoreWithCastILi1EEELi32ELi1EEEEEvT0_T1_@rel32@hi+12
	s_waitcnt lgkmcnt(0)
	v_lshrrev_b16 v8, 8, s10
	v_dual_mov_b32 v7, s10 :: v_dual_mov_b32 v10, s17
	v_dual_mov_b32 v9, s16 :: v_dual_mov_b32 v12, s19
	v_mov_b32_e32 v11, s18
	s_swappc_b64 s[30:31], s[0:1]
	s_endpgm
	.section	.rodata,"a",@progbits
	.p2align	6, 0x0
	.amdhsa_kernel _ZN2at6native39vectorized_templated_elementwise_kernelILi2ENS0_13BinaryFunctorIfffZZZNS0_12_GLOBAL__N_132hermite_polynomial_h_kernel_cudaERNS_18TensorIteratorBaseEENKUlvE_clEvENKUlvE0_clEvEUlffE_EESt5arrayIPcLm3EE23TrivialOffsetCalculatorILi2EjESD_ILi1EjENS0_6memory12LoadWithCastILi2EEENSG_13StoreWithCastILi1EEEfJN3c104HalfEfEEEviT0_T1_T2_T3_T4_T5_
		.amdhsa_group_segment_fixed_size 0
		.amdhsa_private_segment_fixed_size 272
		.amdhsa_kernarg_size 312
		.amdhsa_user_sgpr_count 15
		.amdhsa_user_sgpr_dispatch_ptr 0
		.amdhsa_user_sgpr_queue_ptr 0
		.amdhsa_user_sgpr_kernarg_segment_ptr 1
		.amdhsa_user_sgpr_dispatch_id 0
		.amdhsa_user_sgpr_private_segment_size 0
		.amdhsa_wavefront_size32 1
		.amdhsa_uses_dynamic_stack 0
		.amdhsa_enable_private_segment 1
		.amdhsa_system_sgpr_workgroup_id_x 1
		.amdhsa_system_sgpr_workgroup_id_y 0
		.amdhsa_system_sgpr_workgroup_id_z 0
		.amdhsa_system_sgpr_workgroup_info 0
		.amdhsa_system_vgpr_workitem_id 0
		.amdhsa_next_free_vgpr 68
		.amdhsa_next_free_sgpr 77
		.amdhsa_reserve_vcc 1
		.amdhsa_float_round_mode_32 0
		.amdhsa_float_round_mode_16_64 0
		.amdhsa_float_denorm_mode_32 3
		.amdhsa_float_denorm_mode_16_64 3
		.amdhsa_dx10_clamp 1
		.amdhsa_ieee_mode 1
		.amdhsa_fp16_overflow 0
		.amdhsa_workgroup_processor_mode 1
		.amdhsa_memory_ordered 1
		.amdhsa_forward_progress 0
		.amdhsa_shared_vgpr_count 0
		.amdhsa_exception_fp_ieee_invalid_op 0
		.amdhsa_exception_fp_denorm_src 0
		.amdhsa_exception_fp_ieee_div_zero 0
		.amdhsa_exception_fp_ieee_overflow 0
		.amdhsa_exception_fp_ieee_underflow 0
		.amdhsa_exception_fp_ieee_inexact 0
		.amdhsa_exception_int_div_zero 0
	.end_amdhsa_kernel
	.section	.text._ZN2at6native39vectorized_templated_elementwise_kernelILi2ENS0_13BinaryFunctorIfffZZZNS0_12_GLOBAL__N_132hermite_polynomial_h_kernel_cudaERNS_18TensorIteratorBaseEENKUlvE_clEvENKUlvE0_clEvEUlffE_EESt5arrayIPcLm3EE23TrivialOffsetCalculatorILi2EjESD_ILi1EjENS0_6memory12LoadWithCastILi2EEENSG_13StoreWithCastILi1EEEfJN3c104HalfEfEEEviT0_T1_T2_T3_T4_T5_,"axG",@progbits,_ZN2at6native39vectorized_templated_elementwise_kernelILi2ENS0_13BinaryFunctorIfffZZZNS0_12_GLOBAL__N_132hermite_polynomial_h_kernel_cudaERNS_18TensorIteratorBaseEENKUlvE_clEvENKUlvE0_clEvEUlffE_EESt5arrayIPcLm3EE23TrivialOffsetCalculatorILi2EjESD_ILi1EjENS0_6memory12LoadWithCastILi2EEENSG_13StoreWithCastILi1EEEfJN3c104HalfEfEEEviT0_T1_T2_T3_T4_T5_,comdat
.Lfunc_end62:
	.size	_ZN2at6native39vectorized_templated_elementwise_kernelILi2ENS0_13BinaryFunctorIfffZZZNS0_12_GLOBAL__N_132hermite_polynomial_h_kernel_cudaERNS_18TensorIteratorBaseEENKUlvE_clEvENKUlvE0_clEvEUlffE_EESt5arrayIPcLm3EE23TrivialOffsetCalculatorILi2EjESD_ILi1EjENS0_6memory12LoadWithCastILi2EEENSG_13StoreWithCastILi1EEEfJN3c104HalfEfEEEviT0_T1_T2_T3_T4_T5_, .Lfunc_end62-_ZN2at6native39vectorized_templated_elementwise_kernelILi2ENS0_13BinaryFunctorIfffZZZNS0_12_GLOBAL__N_132hermite_polynomial_h_kernel_cudaERNS_18TensorIteratorBaseEENKUlvE_clEvENKUlvE0_clEvEUlffE_EESt5arrayIPcLm3EE23TrivialOffsetCalculatorILi2EjESD_ILi1EjENS0_6memory12LoadWithCastILi2EEENSG_13StoreWithCastILi1EEEfJN3c104HalfEfEEEviT0_T1_T2_T3_T4_T5_
                                        ; -- End function
	.section	.AMDGPU.csdata,"",@progbits
; Kernel info:
; codeLenInByte = 12424
; NumSgprs: 79
; NumVgprs: 68
; ScratchSize: 272
; MemoryBound: 0
; FloatMode: 240
; IeeeMode: 1
; LDSByteSize: 0 bytes/workgroup (compile time only)
; SGPRBlocks: 9
; VGPRBlocks: 8
; NumSGPRsForWavesPerEU: 79
; NumVGPRsForWavesPerEU: 68
; Occupancy: 16
; WaveLimiterHint : 0
; COMPUTE_PGM_RSRC2:SCRATCH_EN: 1
; COMPUTE_PGM_RSRC2:USER_SGPR: 15
; COMPUTE_PGM_RSRC2:TRAP_HANDLER: 0
; COMPUTE_PGM_RSRC2:TGID_X_EN: 1
; COMPUTE_PGM_RSRC2:TGID_Y_EN: 0
; COMPUTE_PGM_RSRC2:TGID_Z_EN: 0
; COMPUTE_PGM_RSRC2:TIDIG_COMP_CNT: 0
	.section	.text._ZN2at6native39vectorized_templated_elementwise_kernelILi8ENS0_13BinaryFunctorIfffZZZNS0_12_GLOBAL__N_132hermite_polynomial_h_kernel_cudaERNS_18TensorIteratorBaseEENKUlvE_clEvENKUlvE0_clEvEUlffE_EESt5arrayIPcLm3EE23TrivialOffsetCalculatorILi2EjESD_ILi1EjENS0_6memory12LoadWithCastILi2EEENSG_13StoreWithCastILi1EEEN3c104HalfEJSM_fEEEviT0_T1_T2_T3_T4_T5_,"axG",@progbits,_ZN2at6native39vectorized_templated_elementwise_kernelILi8ENS0_13BinaryFunctorIfffZZZNS0_12_GLOBAL__N_132hermite_polynomial_h_kernel_cudaERNS_18TensorIteratorBaseEENKUlvE_clEvENKUlvE0_clEvEUlffE_EESt5arrayIPcLm3EE23TrivialOffsetCalculatorILi2EjESD_ILi1EjENS0_6memory12LoadWithCastILi2EEENSG_13StoreWithCastILi1EEEN3c104HalfEJSM_fEEEviT0_T1_T2_T3_T4_T5_,comdat
	.globl	_ZN2at6native39vectorized_templated_elementwise_kernelILi8ENS0_13BinaryFunctorIfffZZZNS0_12_GLOBAL__N_132hermite_polynomial_h_kernel_cudaERNS_18TensorIteratorBaseEENKUlvE_clEvENKUlvE0_clEvEUlffE_EESt5arrayIPcLm3EE23TrivialOffsetCalculatorILi2EjESD_ILi1EjENS0_6memory12LoadWithCastILi2EEENSG_13StoreWithCastILi1EEEN3c104HalfEJSM_fEEEviT0_T1_T2_T3_T4_T5_ ; -- Begin function _ZN2at6native39vectorized_templated_elementwise_kernelILi8ENS0_13BinaryFunctorIfffZZZNS0_12_GLOBAL__N_132hermite_polynomial_h_kernel_cudaERNS_18TensorIteratorBaseEENKUlvE_clEvENKUlvE0_clEvEUlffE_EESt5arrayIPcLm3EE23TrivialOffsetCalculatorILi2EjESD_ILi1EjENS0_6memory12LoadWithCastILi2EEENSG_13StoreWithCastILi1EEEN3c104HalfEJSM_fEEEviT0_T1_T2_T3_T4_T5_
	.p2align	8
	.type	_ZN2at6native39vectorized_templated_elementwise_kernelILi8ENS0_13BinaryFunctorIfffZZZNS0_12_GLOBAL__N_132hermite_polynomial_h_kernel_cudaERNS_18TensorIteratorBaseEENKUlvE_clEvENKUlvE0_clEvEUlffE_EESt5arrayIPcLm3EE23TrivialOffsetCalculatorILi2EjESD_ILi1EjENS0_6memory12LoadWithCastILi2EEENSG_13StoreWithCastILi1EEEN3c104HalfEJSM_fEEEviT0_T1_T2_T3_T4_T5_,@function
_ZN2at6native39vectorized_templated_elementwise_kernelILi8ENS0_13BinaryFunctorIfffZZZNS0_12_GLOBAL__N_132hermite_polynomial_h_kernel_cudaERNS_18TensorIteratorBaseEENKUlvE_clEvENKUlvE0_clEvEUlffE_EESt5arrayIPcLm3EE23TrivialOffsetCalculatorILi2EjESD_ILi1EjENS0_6memory12LoadWithCastILi2EEENSG_13StoreWithCastILi1EEEN3c104HalfEJSM_fEEEviT0_T1_T2_T3_T4_T5_: ; @_ZN2at6native39vectorized_templated_elementwise_kernelILi8ENS0_13BinaryFunctorIfffZZZNS0_12_GLOBAL__N_132hermite_polynomial_h_kernel_cudaERNS_18TensorIteratorBaseEENKUlvE_clEvENKUlvE0_clEvEUlffE_EESt5arrayIPcLm3EE23TrivialOffsetCalculatorILi2EjESD_ILi1EjENS0_6memory12LoadWithCastILi2EEENSG_13StoreWithCastILi1EEEN3c104HalfEJSM_fEEEviT0_T1_T2_T3_T4_T5_
; %bb.0:
	s_clause 0x3
	s_load_b32 s8, s[0:1], 0x38
	s_load_b32 s9, s[0:1], 0x0
	s_load_b64 s[2:3], s[0:1], 0x18
	s_load_b128 s[4:7], s[0:1], 0x8
	s_not_b32 s10, s15
	s_mov_b32 s32, 0
	s_waitcnt lgkmcnt(0)
	s_add_i32 s8, s8, s10
	s_delay_alu instid0(SALU_CYCLE_1) | instskip(SKIP_2) | instid1(SALU_CYCLE_1)
	s_lshl_b32 s10, s8, 14
	s_mov_b32 s8, -1
	s_sub_i32 s12, s9, s10
	s_cmpk_gt_i32 s12, 0x3fff
	s_cbranch_scc1 .LBB63_3
; %bb.1:
	s_and_b32 vcc_lo, exec_lo, s8
	s_cbranch_vccnz .LBB63_388
.LBB63_2:
	s_nop 0
	s_sendmsg sendmsg(MSG_DEALLOC_VGPRS)
	s_endpgm
.LBB63_3:
	s_ashr_i32 s11, s10, 31
	v_lshlrev_b32_e32 v3, 5, v0
	s_lshl_b64 s[8:9], s[10:11], 1
	v_or_b32_e32 v7, 0x400, v0
	s_add_u32 s16, s6, s8
	s_addc_u32 s17, s7, s9
	s_lshl_b64 s[10:11], s[10:11], 2
	v_mov_b32_e32 v53, 0
	s_add_u32 s10, s2, s10
	s_addc_u32 s11, s3, s11
	v_lshlrev_b32_e32 v10, 5, v7
	global_load_b128 v[45:48], v3, s[10:11]
	s_waitcnt vmcnt(0)
	v_cvt_f16_f32_e32 v45, v45
	s_delay_alu instid0(VALU_DEP_1) | instskip(NEXT) | instid1(VALU_DEP_1)
	v_cvt_f32_f16_e32 v49, v45
	v_cvt_i32_f32_e32 v49, v49
	v_lshlrev_b32_e32 v52, 4, v7
	s_delay_alu instid0(VALU_DEP_2) | instskip(SKIP_1) | instid1(VALU_DEP_1)
	v_ashrrev_i32_e32 v50, 31, v49
	v_lshlrev_b32_e32 v51, 4, v0
	v_add_co_u32 v4, s13, s16, v51
	s_delay_alu instid0(VALU_DEP_1) | instskip(SKIP_1) | instid1(VALU_DEP_3)
	v_add_co_ci_u32_e64 v5, null, s17, 0, s13
	v_add_co_u32 v8, s13, s10, v3
	v_add_co_u32 v1, vcc_lo, 0x2000, v4
	s_delay_alu instid0(VALU_DEP_3)
	v_add_co_ci_u32_e32 v2, vcc_lo, 0, v5, vcc_lo
	global_load_b128 v[41:44], v3, s[10:11] offset:16
	s_clause 0x1
	global_load_b128 v[37:40], v51, s[16:17]
	global_load_b128 v[25:28], v[1:2], off
	v_add_co_u32 v1, vcc_lo, 0x6000, v4
	v_add_co_ci_u32_e64 v9, null, s11, 0, s13
	v_add_co_ci_u32_e32 v2, vcc_lo, 0, v5, vcc_lo
	v_add_co_u32 v5, vcc_lo, 0x4000, v8
	s_delay_alu instid0(VALU_DEP_3)
	v_add_co_ci_u32_e32 v6, vcc_lo, 0, v9, vcc_lo
	v_add_co_u32 v7, vcc_lo, 0xc000, v8
	v_add_co_ci_u32_e32 v8, vcc_lo, 0, v9, vcc_lo
	v_cmp_class_f16_e64 vcc_lo, v45, 0x1f8
	s_mov_b32 s13, exec_lo
	v_dual_cndmask_b32 v50, -1, v50 :: v_dual_cndmask_b32 v49, -1, v49
	s_clause 0x1
	global_load_b128 v[13:16], v52, s[16:17]
	global_load_b128 v[1:4], v[1:2], off
	s_clause 0x5
	global_load_b128 v[33:36], v[5:6], off
	global_load_b128 v[29:32], v[5:6], off offset:16
	global_load_b128 v[17:20], v10, s[10:11] offset:16
	global_load_b128 v[21:24], v10, s[10:11]
	global_load_b128 v[9:12], v[7:8], off
	global_load_b128 v[5:8], v[7:8], off offset:16
	v_cmpx_lt_i64_e32 -1, v[49:50]
	s_cbranch_execz .LBB63_15
; %bb.4:
	v_mov_b32_e32 v53, 1.0
	s_mov_b32 s14, exec_lo
	v_cmpx_lt_i64_e32 0, v[49:50]
	s_cbranch_execz .LBB63_14
; %bb.5:
	s_waitcnt vmcnt(9)
	v_cvt_f32_f16_e32 v45, v37
                                        ; implicit-def: $vgpr53
	s_mov_b32 s10, exec_lo
	v_cmpx_ne_u64_e32 1, v[49:50]
	s_xor_b32 s16, exec_lo, s10
	s_cbranch_execz .LBB63_11
; %bb.6:
	v_mov_b32_e32 v53, 0x7fc00000
	s_mov_b32 s17, exec_lo
	v_cmpx_gt_u64_e32 0x81, v[49:50]
	s_cbranch_execz .LBB63_10
; %bb.7:
	v_dual_add_f32 v45, v45, v45 :: v_dual_mov_b32 v54, 1.0
	v_lshlrev_b64 v[49:50], 1, v[49:50]
	s_mov_b64 s[10:11], 2
	s_mov_b32 s18, 0
	s_delay_alu instid0(VALU_DEP_2)
	v_mov_b32_e32 v53, v45
	.p2align	6
.LBB63_8:                               ; =>This Inner Loop Header: Depth=1
	s_clz_i32_u32 s19, s11
	s_delay_alu instid0(SALU_CYCLE_1) | instskip(NEXT) | instid1(SALU_CYCLE_1)
	s_min_u32 s19, s19, 32
	s_lshl_b64 s[20:21], s[10:11], s19
	s_sub_i32 s19, 32, s19
	s_min_u32 s20, s20, 1
	s_delay_alu instid0(SALU_CYCLE_1) | instskip(SKIP_3) | instid1(SALU_CYCLE_1)
	s_or_b32 s20, s21, s20
	s_add_u32 s10, s10, 2
	v_cvt_f32_u32_e32 v55, s20
	s_addc_u32 s11, s11, 0
	v_cmp_ge_u64_e32 vcc_lo, s[10:11], v[49:50]
	s_delay_alu instid0(VALU_DEP_2) | instskip(SKIP_1) | instid1(VALU_DEP_1)
	v_ldexp_f32 v55, v55, s19
	s_or_b32 s18, vcc_lo, s18
	v_dual_mul_f32 v55, v54, v55 :: v_dual_mov_b32 v54, v53
	s_delay_alu instid0(VALU_DEP_1)
	v_fma_f32 v53, v45, v53, -v55
	s_and_not1_b32 exec_lo, exec_lo, s18
	s_cbranch_execnz .LBB63_8
; %bb.9:
	s_or_b32 exec_lo, exec_lo, s18
.LBB63_10:
	s_delay_alu instid0(SALU_CYCLE_1)
	s_or_b32 exec_lo, exec_lo, s17
                                        ; implicit-def: $vgpr45
.LBB63_11:
	s_and_not1_saveexec_b32 s10, s16
; %bb.12:
	v_add_f32_e32 v53, v45, v45
; %bb.13:
	s_or_b32 exec_lo, exec_lo, s10
.LBB63_14:
	s_delay_alu instid0(SALU_CYCLE_1)
	s_or_b32 exec_lo, exec_lo, s14
.LBB63_15:
	s_delay_alu instid0(SALU_CYCLE_1) | instskip(SKIP_2) | instid1(VALU_DEP_1)
	s_or_b32 exec_lo, exec_lo, s13
	v_cvt_f16_f32_e32 v45, v46
	s_mov_b32 s13, exec_lo
	v_cvt_f32_f16_e32 v46, v45
	v_cmp_class_f16_e64 vcc_lo, v45, 0x1f8
	s_delay_alu instid0(VALU_DEP_2) | instskip(NEXT) | instid1(VALU_DEP_1)
	v_cvt_i32_f32_e32 v49, v46
	v_ashrrev_i32_e32 v46, 31, v49
	v_cndmask_b32_e32 v45, -1, v49, vcc_lo
	s_delay_alu instid0(VALU_DEP_2) | instskip(NEXT) | instid1(VALU_DEP_1)
	v_dual_mov_b32 v49, 0 :: v_dual_cndmask_b32 v46, -1, v46
	v_cmpx_lt_i64_e32 -1, v[45:46]
	s_cbranch_execz .LBB63_27
; %bb.16:
	v_mov_b32_e32 v49, 1.0
	s_mov_b32 s14, exec_lo
	v_cmpx_lt_i64_e32 0, v[45:46]
	s_cbranch_execz .LBB63_26
; %bb.17:
	s_waitcnt vmcnt(9)
	v_lshrrev_b32_e32 v37, 16, v37
                                        ; implicit-def: $vgpr49
	s_mov_b32 s10, exec_lo
	s_delay_alu instid0(VALU_DEP_1)
	v_cvt_f32_f16_e32 v37, v37
	v_cmpx_ne_u64_e32 1, v[45:46]
	s_xor_b32 s16, exec_lo, s10
	s_cbranch_execz .LBB63_23
; %bb.18:
	v_mov_b32_e32 v49, 0x7fc00000
	s_mov_b32 s17, exec_lo
	v_cmpx_gt_u64_e32 0x81, v[45:46]
	s_cbranch_execz .LBB63_22
; %bb.19:
	v_dual_add_f32 v37, v37, v37 :: v_dual_mov_b32 v50, 1.0
	v_lshlrev_b64 v[45:46], 1, v[45:46]
	s_mov_b64 s[10:11], 2
	s_mov_b32 s18, 0
	s_delay_alu instid0(VALU_DEP_2)
	v_mov_b32_e32 v49, v37
	.p2align	6
.LBB63_20:                              ; =>This Inner Loop Header: Depth=1
	s_clz_i32_u32 s19, s11
	s_delay_alu instid0(SALU_CYCLE_1) | instskip(NEXT) | instid1(SALU_CYCLE_1)
	s_min_u32 s19, s19, 32
	s_lshl_b64 s[20:21], s[10:11], s19
	s_sub_i32 s19, 32, s19
	s_min_u32 s20, s20, 1
	s_delay_alu instid0(SALU_CYCLE_1) | instskip(SKIP_3) | instid1(SALU_CYCLE_1)
	s_or_b32 s20, s21, s20
	s_add_u32 s10, s10, 2
	v_cvt_f32_u32_e32 v54, s20
	s_addc_u32 s11, s11, 0
	v_cmp_ge_u64_e32 vcc_lo, s[10:11], v[45:46]
	s_delay_alu instid0(VALU_DEP_2) | instskip(SKIP_1) | instid1(VALU_DEP_1)
	v_ldexp_f32 v54, v54, s19
	s_or_b32 s18, vcc_lo, s18
	v_mul_f32_e32 v54, v50, v54
	v_mov_b32_e32 v50, v49
	s_delay_alu instid0(VALU_DEP_2)
	v_fma_f32 v49, v37, v49, -v54
	s_and_not1_b32 exec_lo, exec_lo, s18
	s_cbranch_execnz .LBB63_20
; %bb.21:
	s_or_b32 exec_lo, exec_lo, s18
.LBB63_22:
	s_delay_alu instid0(SALU_CYCLE_1)
	s_or_b32 exec_lo, exec_lo, s17
                                        ; implicit-def: $vgpr37
.LBB63_23:
	s_and_not1_saveexec_b32 s10, s16
; %bb.24:
	v_add_f32_e32 v49, v37, v37
; %bb.25:
	s_or_b32 exec_lo, exec_lo, s10
.LBB63_26:
	s_delay_alu instid0(SALU_CYCLE_1)
	s_or_b32 exec_lo, exec_lo, s14
.LBB63_27:
	s_delay_alu instid0(SALU_CYCLE_1) | instskip(SKIP_4) | instid1(VALU_DEP_2)
	s_or_b32 exec_lo, exec_lo, s13
	s_waitcnt vmcnt(9)
	v_cvt_f16_f32_e32 v37, v47
	v_mov_b32_e32 v47, 0
	s_mov_b32 s13, exec_lo
	v_cvt_f32_f16_e32 v45, v37
	v_cmp_class_f16_e64 vcc_lo, v37, 0x1f8
	s_delay_alu instid0(VALU_DEP_2) | instskip(NEXT) | instid1(VALU_DEP_1)
	v_cvt_i32_f32_e32 v45, v45
	v_ashrrev_i32_e32 v46, 31, v45
	s_delay_alu instid0(VALU_DEP_1) | instskip(NEXT) | instid1(VALU_DEP_1)
	v_dual_cndmask_b32 v45, -1, v45 :: v_dual_cndmask_b32 v46, -1, v46
	v_cmpx_lt_i64_e32 -1, v[45:46]
	s_cbranch_execz .LBB63_39
; %bb.28:
	v_mov_b32_e32 v47, 1.0
	s_mov_b32 s14, exec_lo
	v_cmpx_lt_i64_e32 0, v[45:46]
	s_cbranch_execz .LBB63_38
; %bb.29:
	v_cvt_f32_f16_e32 v37, v38
                                        ; implicit-def: $vgpr47
	s_mov_b32 s10, exec_lo
	v_cmpx_ne_u64_e32 1, v[45:46]
	s_xor_b32 s16, exec_lo, s10
	s_cbranch_execz .LBB63_35
; %bb.30:
	v_mov_b32_e32 v47, 0x7fc00000
	s_mov_b32 s17, exec_lo
	v_cmpx_gt_u64_e32 0x81, v[45:46]
	s_cbranch_execz .LBB63_34
; %bb.31:
	v_dual_add_f32 v37, v37, v37 :: v_dual_mov_b32 v50, 1.0
	v_lshlrev_b64 v[45:46], 1, v[45:46]
	s_mov_b64 s[10:11], 2
	s_mov_b32 s18, 0
	s_delay_alu instid0(VALU_DEP_2)
	v_mov_b32_e32 v47, v37
	.p2align	6
.LBB63_32:                              ; =>This Inner Loop Header: Depth=1
	s_clz_i32_u32 s19, s11
	s_delay_alu instid0(SALU_CYCLE_1) | instskip(NEXT) | instid1(SALU_CYCLE_1)
	s_min_u32 s19, s19, 32
	s_lshl_b64 s[20:21], s[10:11], s19
	s_sub_i32 s19, 32, s19
	s_min_u32 s20, s20, 1
	s_delay_alu instid0(SALU_CYCLE_1) | instskip(SKIP_3) | instid1(SALU_CYCLE_1)
	s_or_b32 s20, s21, s20
	s_add_u32 s10, s10, 2
	v_cvt_f32_u32_e32 v54, s20
	s_addc_u32 s11, s11, 0
	v_cmp_ge_u64_e32 vcc_lo, s[10:11], v[45:46]
	s_delay_alu instid0(VALU_DEP_2) | instskip(SKIP_1) | instid1(VALU_DEP_1)
	v_ldexp_f32 v54, v54, s19
	s_or_b32 s18, vcc_lo, s18
	v_mul_f32_e32 v54, v50, v54
	v_mov_b32_e32 v50, v47
	s_delay_alu instid0(VALU_DEP_2)
	v_fma_f32 v47, v37, v47, -v54
	s_and_not1_b32 exec_lo, exec_lo, s18
	s_cbranch_execnz .LBB63_32
; %bb.33:
	s_or_b32 exec_lo, exec_lo, s18
.LBB63_34:
	s_delay_alu instid0(SALU_CYCLE_1)
	s_or_b32 exec_lo, exec_lo, s17
                                        ; implicit-def: $vgpr37
.LBB63_35:
	s_and_not1_saveexec_b32 s10, s16
; %bb.36:
	v_add_f32_e32 v47, v37, v37
; %bb.37:
	s_or_b32 exec_lo, exec_lo, s10
.LBB63_38:
	s_delay_alu instid0(SALU_CYCLE_1)
	s_or_b32 exec_lo, exec_lo, s14
.LBB63_39:
	s_delay_alu instid0(SALU_CYCLE_1) | instskip(SKIP_3) | instid1(VALU_DEP_2)
	s_or_b32 exec_lo, exec_lo, s13
	v_cvt_f16_f32_e32 v37, v48
	v_mov_b32_e32 v48, 0
	s_mov_b32 s13, exec_lo
	v_cvt_f32_f16_e32 v45, v37
	v_cmp_class_f16_e64 vcc_lo, v37, 0x1f8
	s_delay_alu instid0(VALU_DEP_2) | instskip(NEXT) | instid1(VALU_DEP_1)
	v_cvt_i32_f32_e32 v45, v45
	v_ashrrev_i32_e32 v46, 31, v45
	s_delay_alu instid0(VALU_DEP_1) | instskip(NEXT) | instid1(VALU_DEP_1)
	v_dual_cndmask_b32 v45, -1, v45 :: v_dual_cndmask_b32 v46, -1, v46
	v_cmpx_lt_i64_e32 -1, v[45:46]
	s_cbranch_execz .LBB63_51
; %bb.40:
	v_mov_b32_e32 v48, 1.0
	s_mov_b32 s14, exec_lo
	v_cmpx_lt_i64_e32 0, v[45:46]
	s_cbranch_execz .LBB63_50
; %bb.41:
	v_lshrrev_b32_e32 v37, 16, v38
                                        ; implicit-def: $vgpr48
	s_mov_b32 s10, exec_lo
	s_delay_alu instid0(VALU_DEP_1)
	v_cvt_f32_f16_e32 v37, v37
	v_cmpx_ne_u64_e32 1, v[45:46]
	s_xor_b32 s16, exec_lo, s10
	s_cbranch_execz .LBB63_47
; %bb.42:
	v_mov_b32_e32 v48, 0x7fc00000
	s_mov_b32 s17, exec_lo
	v_cmpx_gt_u64_e32 0x81, v[45:46]
	s_cbranch_execz .LBB63_46
; %bb.43:
	v_add_f32_e32 v50, v37, v37
	v_lshlrev_b64 v[37:38], 1, v[45:46]
	v_mov_b32_e32 v45, 1.0
	s_mov_b64 s[10:11], 2
	s_mov_b32 s18, 0
	v_mov_b32_e32 v48, v50
	.p2align	6
.LBB63_44:                              ; =>This Inner Loop Header: Depth=1
	s_clz_i32_u32 s19, s11
	s_delay_alu instid0(SALU_CYCLE_1) | instskip(NEXT) | instid1(SALU_CYCLE_1)
	s_min_u32 s19, s19, 32
	s_lshl_b64 s[20:21], s[10:11], s19
	s_sub_i32 s19, 32, s19
	s_min_u32 s20, s20, 1
	s_delay_alu instid0(SALU_CYCLE_1) | instskip(SKIP_3) | instid1(SALU_CYCLE_1)
	s_or_b32 s20, s21, s20
	s_add_u32 s10, s10, 2
	v_cvt_f32_u32_e32 v46, s20
	s_addc_u32 s11, s11, 0
	v_cmp_ge_u64_e32 vcc_lo, s[10:11], v[37:38]
	s_delay_alu instid0(VALU_DEP_2) | instskip(SKIP_1) | instid1(VALU_DEP_1)
	v_ldexp_f32 v46, v46, s19
	s_or_b32 s18, vcc_lo, s18
	v_dual_mul_f32 v46, v45, v46 :: v_dual_mov_b32 v45, v48
	s_delay_alu instid0(VALU_DEP_1)
	v_fma_f32 v48, v50, v48, -v46
	s_and_not1_b32 exec_lo, exec_lo, s18
	s_cbranch_execnz .LBB63_44
; %bb.45:
	s_or_b32 exec_lo, exec_lo, s18
.LBB63_46:
	s_delay_alu instid0(SALU_CYCLE_1)
	s_or_b32 exec_lo, exec_lo, s17
                                        ; implicit-def: $vgpr37
.LBB63_47:
	s_and_not1_saveexec_b32 s10, s16
; %bb.48:
	v_add_f32_e32 v48, v37, v37
; %bb.49:
	s_or_b32 exec_lo, exec_lo, s10
.LBB63_50:
	s_delay_alu instid0(SALU_CYCLE_1)
	s_or_b32 exec_lo, exec_lo, s14
.LBB63_51:
	s_delay_alu instid0(SALU_CYCLE_1) | instskip(SKIP_2) | instid1(VALU_DEP_1)
	s_or_b32 exec_lo, exec_lo, s13
	v_cvt_f16_f32_e32 v37, v41
	s_mov_b32 s13, exec_lo
	v_cvt_f32_f16_e32 v38, v37
	v_cmp_class_f16_e64 vcc_lo, v37, 0x1f8
	s_delay_alu instid0(VALU_DEP_2) | instskip(NEXT) | instid1(VALU_DEP_1)
	v_cvt_i32_f32_e32 v41, v38
	v_ashrrev_i32_e32 v38, 31, v41
	v_cndmask_b32_e32 v37, -1, v41, vcc_lo
	s_delay_alu instid0(VALU_DEP_2) | instskip(NEXT) | instid1(VALU_DEP_1)
	v_dual_mov_b32 v41, 0 :: v_dual_cndmask_b32 v38, -1, v38
	v_cmpx_lt_i64_e32 -1, v[37:38]
	s_cbranch_execz .LBB63_63
; %bb.52:
	v_mov_b32_e32 v41, 1.0
	s_mov_b32 s14, exec_lo
	v_cmpx_lt_i64_e32 0, v[37:38]
	s_cbranch_execz .LBB63_62
; %bb.53:
	v_cvt_f32_f16_e32 v45, v39
                                        ; implicit-def: $vgpr41
	s_mov_b32 s10, exec_lo
	v_cmpx_ne_u64_e32 1, v[37:38]
	s_xor_b32 s16, exec_lo, s10
	s_cbranch_execz .LBB63_59
; %bb.54:
	v_mov_b32_e32 v41, 0x7fc00000
	s_mov_b32 s17, exec_lo
	v_cmpx_gt_u64_e32 0x81, v[37:38]
	s_cbranch_execz .LBB63_58
; %bb.55:
	v_dual_add_f32 v45, v45, v45 :: v_dual_mov_b32 v46, 1.0
	v_lshlrev_b64 v[37:38], 1, v[37:38]
	s_mov_b64 s[10:11], 2
	s_mov_b32 s18, 0
	s_delay_alu instid0(VALU_DEP_2)
	v_mov_b32_e32 v41, v45
	.p2align	6
.LBB63_56:                              ; =>This Inner Loop Header: Depth=1
	s_clz_i32_u32 s19, s11
	s_delay_alu instid0(SALU_CYCLE_1) | instskip(NEXT) | instid1(SALU_CYCLE_1)
	s_min_u32 s19, s19, 32
	s_lshl_b64 s[20:21], s[10:11], s19
	s_sub_i32 s19, 32, s19
	s_min_u32 s20, s20, 1
	s_delay_alu instid0(SALU_CYCLE_1) | instskip(SKIP_3) | instid1(SALU_CYCLE_1)
	s_or_b32 s20, s21, s20
	s_add_u32 s10, s10, 2
	v_cvt_f32_u32_e32 v50, s20
	s_addc_u32 s11, s11, 0
	v_cmp_ge_u64_e32 vcc_lo, s[10:11], v[37:38]
	s_delay_alu instid0(VALU_DEP_2) | instskip(SKIP_1) | instid1(VALU_DEP_1)
	v_ldexp_f32 v50, v50, s19
	s_or_b32 s18, vcc_lo, s18
	v_mul_f32_e32 v50, v46, v50
	v_mov_b32_e32 v46, v41
	s_delay_alu instid0(VALU_DEP_2)
	v_fma_f32 v41, v45, v41, -v50
	s_and_not1_b32 exec_lo, exec_lo, s18
	s_cbranch_execnz .LBB63_56
; %bb.57:
	s_or_b32 exec_lo, exec_lo, s18
.LBB63_58:
	s_delay_alu instid0(SALU_CYCLE_1)
	s_or_b32 exec_lo, exec_lo, s17
                                        ; implicit-def: $vgpr45
.LBB63_59:
	s_and_not1_saveexec_b32 s10, s16
; %bb.60:
	v_add_f32_e32 v41, v45, v45
; %bb.61:
	s_or_b32 exec_lo, exec_lo, s10
.LBB63_62:
	s_delay_alu instid0(SALU_CYCLE_1)
	s_or_b32 exec_lo, exec_lo, s14
.LBB63_63:
	s_delay_alu instid0(SALU_CYCLE_1) | instskip(SKIP_2) | instid1(VALU_DEP_1)
	s_or_b32 exec_lo, exec_lo, s13
	v_cvt_f16_f32_e32 v37, v42
	s_mov_b32 s13, exec_lo
	v_cvt_f32_f16_e32 v38, v37
	v_cmp_class_f16_e64 vcc_lo, v37, 0x1f8
	s_delay_alu instid0(VALU_DEP_2) | instskip(NEXT) | instid1(VALU_DEP_1)
	v_cvt_i32_f32_e32 v42, v38
	v_ashrrev_i32_e32 v38, 31, v42
	v_dual_cndmask_b32 v37, -1, v42 :: v_dual_mov_b32 v42, 0
	s_delay_alu instid0(VALU_DEP_2) | instskip(NEXT) | instid1(VALU_DEP_1)
	v_cndmask_b32_e32 v38, -1, v38, vcc_lo
	v_cmpx_lt_i64_e32 -1, v[37:38]
	s_cbranch_execz .LBB63_75
; %bb.64:
	v_mov_b32_e32 v42, 1.0
	s_mov_b32 s14, exec_lo
	v_cmpx_lt_i64_e32 0, v[37:38]
	s_cbranch_execz .LBB63_74
; %bb.65:
	v_lshrrev_b32_e32 v39, 16, v39
                                        ; implicit-def: $vgpr42
	s_mov_b32 s10, exec_lo
	s_delay_alu instid0(VALU_DEP_1)
	v_cvt_f32_f16_e32 v39, v39
	v_cmpx_ne_u64_e32 1, v[37:38]
	s_xor_b32 s16, exec_lo, s10
	s_cbranch_execz .LBB63_71
; %bb.66:
	v_mov_b32_e32 v42, 0x7fc00000
	s_mov_b32 s17, exec_lo
	v_cmpx_gt_u64_e32 0x81, v[37:38]
	s_cbranch_execz .LBB63_70
; %bb.67:
	v_add_f32_e32 v39, v39, v39
	v_lshlrev_b64 v[37:38], 1, v[37:38]
	v_mov_b32_e32 v45, 1.0
	s_mov_b64 s[10:11], 2
	s_mov_b32 s18, 0
	v_mov_b32_e32 v42, v39
	.p2align	6
.LBB63_68:                              ; =>This Inner Loop Header: Depth=1
	s_clz_i32_u32 s19, s11
	s_delay_alu instid0(SALU_CYCLE_1) | instskip(NEXT) | instid1(SALU_CYCLE_1)
	s_min_u32 s19, s19, 32
	s_lshl_b64 s[20:21], s[10:11], s19
	s_sub_i32 s19, 32, s19
	s_min_u32 s20, s20, 1
	s_delay_alu instid0(SALU_CYCLE_1) | instskip(SKIP_3) | instid1(SALU_CYCLE_1)
	s_or_b32 s20, s21, s20
	s_add_u32 s10, s10, 2
	v_cvt_f32_u32_e32 v46, s20
	s_addc_u32 s11, s11, 0
	v_cmp_ge_u64_e32 vcc_lo, s[10:11], v[37:38]
	s_delay_alu instid0(VALU_DEP_2) | instskip(SKIP_1) | instid1(VALU_DEP_1)
	v_ldexp_f32 v46, v46, s19
	s_or_b32 s18, vcc_lo, s18
	v_dual_mul_f32 v46, v45, v46 :: v_dual_mov_b32 v45, v42
	s_delay_alu instid0(VALU_DEP_1)
	v_fma_f32 v42, v39, v42, -v46
	s_and_not1_b32 exec_lo, exec_lo, s18
	s_cbranch_execnz .LBB63_68
; %bb.69:
	s_or_b32 exec_lo, exec_lo, s18
.LBB63_70:
	s_delay_alu instid0(SALU_CYCLE_1)
	s_or_b32 exec_lo, exec_lo, s17
                                        ; implicit-def: $vgpr39
.LBB63_71:
	s_and_not1_saveexec_b32 s10, s16
; %bb.72:
	v_add_f32_e32 v42, v39, v39
; %bb.73:
	s_or_b32 exec_lo, exec_lo, s10
.LBB63_74:
	s_delay_alu instid0(SALU_CYCLE_1)
	s_or_b32 exec_lo, exec_lo, s14
.LBB63_75:
	s_delay_alu instid0(SALU_CYCLE_1) | instskip(SKIP_2) | instid1(VALU_DEP_1)
	s_or_b32 exec_lo, exec_lo, s13
	v_cvt_f16_f32_e32 v37, v43
	s_mov_b32 s13, exec_lo
	v_cvt_f32_f16_e32 v38, v37
	v_cmp_class_f16_e64 vcc_lo, v37, 0x1f8
	s_delay_alu instid0(VALU_DEP_2) | instskip(NEXT) | instid1(VALU_DEP_1)
	v_cvt_i32_f32_e32 v39, v38
	v_ashrrev_i32_e32 v38, 31, v39
	v_cndmask_b32_e32 v37, -1, v39, vcc_lo
	s_delay_alu instid0(VALU_DEP_2) | instskip(NEXT) | instid1(VALU_DEP_1)
	v_dual_mov_b32 v39, 0 :: v_dual_cndmask_b32 v38, -1, v38
	v_cmpx_lt_i64_e32 -1, v[37:38]
	s_cbranch_execz .LBB63_87
; %bb.76:
	v_mov_b32_e32 v39, 1.0
	s_mov_b32 s14, exec_lo
	v_cmpx_lt_i64_e32 0, v[37:38]
	s_cbranch_execz .LBB63_86
; %bb.77:
	v_cvt_f32_f16_e32 v43, v40
                                        ; implicit-def: $vgpr39
	s_mov_b32 s10, exec_lo
	v_cmpx_ne_u64_e32 1, v[37:38]
	s_xor_b32 s16, exec_lo, s10
	s_cbranch_execz .LBB63_83
; %bb.78:
	v_mov_b32_e32 v39, 0x7fc00000
	s_mov_b32 s17, exec_lo
	v_cmpx_gt_u64_e32 0x81, v[37:38]
	s_cbranch_execz .LBB63_82
; %bb.79:
	v_add_f32_e32 v43, v43, v43
	v_lshlrev_b64 v[37:38], 1, v[37:38]
	v_mov_b32_e32 v45, 1.0
	s_mov_b64 s[10:11], 2
	s_mov_b32 s18, 0
	v_mov_b32_e32 v39, v43
	.p2align	6
.LBB63_80:                              ; =>This Inner Loop Header: Depth=1
	s_clz_i32_u32 s19, s11
	s_delay_alu instid0(SALU_CYCLE_1) | instskip(NEXT) | instid1(SALU_CYCLE_1)
	s_min_u32 s19, s19, 32
	s_lshl_b64 s[20:21], s[10:11], s19
	s_sub_i32 s19, 32, s19
	s_min_u32 s20, s20, 1
	s_delay_alu instid0(SALU_CYCLE_1) | instskip(SKIP_3) | instid1(SALU_CYCLE_1)
	s_or_b32 s20, s21, s20
	s_add_u32 s10, s10, 2
	v_cvt_f32_u32_e32 v46, s20
	s_addc_u32 s11, s11, 0
	v_cmp_ge_u64_e32 vcc_lo, s[10:11], v[37:38]
	s_delay_alu instid0(VALU_DEP_2) | instskip(SKIP_1) | instid1(VALU_DEP_1)
	v_ldexp_f32 v46, v46, s19
	s_or_b32 s18, vcc_lo, s18
	v_dual_mul_f32 v46, v45, v46 :: v_dual_mov_b32 v45, v39
	s_delay_alu instid0(VALU_DEP_1)
	v_fma_f32 v39, v43, v39, -v46
	s_and_not1_b32 exec_lo, exec_lo, s18
	s_cbranch_execnz .LBB63_80
; %bb.81:
	s_or_b32 exec_lo, exec_lo, s18
.LBB63_82:
	s_delay_alu instid0(SALU_CYCLE_1)
	s_or_b32 exec_lo, exec_lo, s17
                                        ; implicit-def: $vgpr43
.LBB63_83:
	s_and_not1_saveexec_b32 s10, s16
; %bb.84:
	v_add_f32_e32 v39, v43, v43
; %bb.85:
	s_or_b32 exec_lo, exec_lo, s10
.LBB63_86:
	s_delay_alu instid0(SALU_CYCLE_1)
	s_or_b32 exec_lo, exec_lo, s14
.LBB63_87:
	s_delay_alu instid0(SALU_CYCLE_1) | instskip(SKIP_2) | instid1(VALU_DEP_1)
	s_or_b32 exec_lo, exec_lo, s13
	v_cvt_f16_f32_e32 v37, v44
	s_mov_b32 s13, exec_lo
	v_cvt_f32_f16_e32 v38, v37
	v_cmp_class_f16_e64 vcc_lo, v37, 0x1f8
	s_delay_alu instid0(VALU_DEP_2) | instskip(NEXT) | instid1(VALU_DEP_1)
	v_cvt_i32_f32_e32 v43, v38
	v_ashrrev_i32_e32 v38, 31, v43
	v_cndmask_b32_e32 v37, -1, v43, vcc_lo
	s_delay_alu instid0(VALU_DEP_2) | instskip(NEXT) | instid1(VALU_DEP_1)
	v_dual_mov_b32 v43, 0 :: v_dual_cndmask_b32 v38, -1, v38
	v_cmpx_lt_i64_e32 -1, v[37:38]
	s_cbranch_execz .LBB63_99
; %bb.88:
	v_mov_b32_e32 v43, 1.0
	s_mov_b32 s14, exec_lo
	v_cmpx_lt_i64_e32 0, v[37:38]
	s_cbranch_execz .LBB63_98
; %bb.89:
	v_lshrrev_b32_e32 v40, 16, v40
                                        ; implicit-def: $vgpr43
	s_mov_b32 s10, exec_lo
	s_delay_alu instid0(VALU_DEP_1)
	v_cvt_f32_f16_e32 v40, v40
	v_cmpx_ne_u64_e32 1, v[37:38]
	s_xor_b32 s16, exec_lo, s10
	s_cbranch_execz .LBB63_95
; %bb.90:
	v_mov_b32_e32 v43, 0x7fc00000
	s_mov_b32 s17, exec_lo
	v_cmpx_gt_u64_e32 0x81, v[37:38]
	s_cbranch_execz .LBB63_94
; %bb.91:
	v_add_f32_e32 v40, v40, v40
	v_lshlrev_b64 v[37:38], 1, v[37:38]
	v_mov_b32_e32 v44, 1.0
	s_mov_b64 s[10:11], 2
	s_mov_b32 s18, 0
	v_mov_b32_e32 v43, v40
	.p2align	6
.LBB63_92:                              ; =>This Inner Loop Header: Depth=1
	s_clz_i32_u32 s19, s11
	s_delay_alu instid0(SALU_CYCLE_1) | instskip(NEXT) | instid1(SALU_CYCLE_1)
	s_min_u32 s19, s19, 32
	s_lshl_b64 s[20:21], s[10:11], s19
	s_sub_i32 s19, 32, s19
	s_min_u32 s20, s20, 1
	s_delay_alu instid0(SALU_CYCLE_1) | instskip(SKIP_3) | instid1(SALU_CYCLE_1)
	s_or_b32 s20, s21, s20
	s_add_u32 s10, s10, 2
	v_cvt_f32_u32_e32 v45, s20
	s_addc_u32 s11, s11, 0
	v_cmp_ge_u64_e32 vcc_lo, s[10:11], v[37:38]
	s_delay_alu instid0(VALU_DEP_2) | instskip(SKIP_1) | instid1(VALU_DEP_1)
	v_ldexp_f32 v45, v45, s19
	s_or_b32 s18, vcc_lo, s18
	v_dual_mul_f32 v45, v44, v45 :: v_dual_mov_b32 v44, v43
	s_delay_alu instid0(VALU_DEP_1)
	v_fma_f32 v43, v40, v43, -v45
	s_and_not1_b32 exec_lo, exec_lo, s18
	s_cbranch_execnz .LBB63_92
; %bb.93:
	s_or_b32 exec_lo, exec_lo, s18
.LBB63_94:
	s_delay_alu instid0(SALU_CYCLE_1)
	s_or_b32 exec_lo, exec_lo, s17
                                        ; implicit-def: $vgpr40
.LBB63_95:
	s_and_not1_saveexec_b32 s10, s16
; %bb.96:
	v_add_f32_e32 v43, v40, v40
; %bb.97:
	s_or_b32 exec_lo, exec_lo, s10
.LBB63_98:
	s_delay_alu instid0(SALU_CYCLE_1)
	s_or_b32 exec_lo, exec_lo, s14
.LBB63_99:
	s_delay_alu instid0(SALU_CYCLE_1) | instskip(SKIP_4) | instid1(VALU_DEP_2)
	s_or_b32 exec_lo, exec_lo, s13
	s_waitcnt vmcnt(5)
	v_cvt_f16_f32_e32 v33, v33
	v_mov_b32_e32 v40, 0
	s_mov_b32 s13, exec_lo
	v_cvt_f32_f16_e32 v37, v33
	v_cmp_class_f16_e64 vcc_lo, v33, 0x1f8
	s_delay_alu instid0(VALU_DEP_2) | instskip(NEXT) | instid1(VALU_DEP_1)
	v_cvt_i32_f32_e32 v37, v37
	v_ashrrev_i32_e32 v38, 31, v37
	s_delay_alu instid0(VALU_DEP_1) | instskip(NEXT) | instid1(VALU_DEP_1)
	v_dual_cndmask_b32 v37, -1, v37 :: v_dual_cndmask_b32 v38, -1, v38
	v_cmpx_lt_i64_e32 -1, v[37:38]
	s_cbranch_execz .LBB63_111
; %bb.100:
	v_mov_b32_e32 v40, 1.0
	s_mov_b32 s14, exec_lo
	v_cmpx_lt_i64_e32 0, v[37:38]
	s_cbranch_execz .LBB63_110
; %bb.101:
	v_cvt_f32_f16_e32 v33, v25
                                        ; implicit-def: $vgpr40
	s_mov_b32 s10, exec_lo
	v_cmpx_ne_u64_e32 1, v[37:38]
	s_xor_b32 s16, exec_lo, s10
	s_cbranch_execz .LBB63_107
; %bb.102:
	v_mov_b32_e32 v40, 0x7fc00000
	s_mov_b32 s17, exec_lo
	v_cmpx_gt_u64_e32 0x81, v[37:38]
	s_cbranch_execz .LBB63_106
; %bb.103:
	v_dual_add_f32 v33, v33, v33 :: v_dual_mov_b32 v44, 1.0
	v_lshlrev_b64 v[37:38], 1, v[37:38]
	s_mov_b64 s[10:11], 2
	s_mov_b32 s18, 0
	s_delay_alu instid0(VALU_DEP_2)
	v_mov_b32_e32 v40, v33
	.p2align	6
.LBB63_104:                             ; =>This Inner Loop Header: Depth=1
	s_clz_i32_u32 s19, s11
	s_delay_alu instid0(SALU_CYCLE_1) | instskip(NEXT) | instid1(SALU_CYCLE_1)
	s_min_u32 s19, s19, 32
	s_lshl_b64 s[20:21], s[10:11], s19
	s_sub_i32 s19, 32, s19
	s_min_u32 s20, s20, 1
	s_delay_alu instid0(SALU_CYCLE_1) | instskip(SKIP_3) | instid1(SALU_CYCLE_1)
	s_or_b32 s20, s21, s20
	s_add_u32 s10, s10, 2
	v_cvt_f32_u32_e32 v45, s20
	s_addc_u32 s11, s11, 0
	v_cmp_ge_u64_e32 vcc_lo, s[10:11], v[37:38]
	s_delay_alu instid0(VALU_DEP_2) | instskip(SKIP_1) | instid1(VALU_DEP_1)
	v_ldexp_f32 v45, v45, s19
	s_or_b32 s18, vcc_lo, s18
	v_mul_f32_e32 v45, v44, v45
	v_mov_b32_e32 v44, v40
	s_delay_alu instid0(VALU_DEP_2)
	v_fma_f32 v40, v33, v40, -v45
	s_and_not1_b32 exec_lo, exec_lo, s18
	s_cbranch_execnz .LBB63_104
; %bb.105:
	s_or_b32 exec_lo, exec_lo, s18
.LBB63_106:
	s_delay_alu instid0(SALU_CYCLE_1)
	s_or_b32 exec_lo, exec_lo, s17
                                        ; implicit-def: $vgpr33
.LBB63_107:
	s_and_not1_saveexec_b32 s10, s16
; %bb.108:
	v_add_f32_e32 v40, v33, v33
; %bb.109:
	s_or_b32 exec_lo, exec_lo, s10
.LBB63_110:
	s_delay_alu instid0(SALU_CYCLE_1)
	s_or_b32 exec_lo, exec_lo, s14
.LBB63_111:
	s_delay_alu instid0(SALU_CYCLE_1) | instskip(SKIP_2) | instid1(VALU_DEP_1)
	s_or_b32 exec_lo, exec_lo, s13
	v_cvt_f16_f32_e32 v33, v34
	s_mov_b32 s13, exec_lo
	v_cvt_f32_f16_e32 v34, v33
	v_cmp_class_f16_e64 vcc_lo, v33, 0x1f8
	s_delay_alu instid0(VALU_DEP_2) | instskip(NEXT) | instid1(VALU_DEP_1)
	v_cvt_i32_f32_e32 v37, v34
	v_ashrrev_i32_e32 v34, 31, v37
	v_cndmask_b32_e32 v33, -1, v37, vcc_lo
	s_delay_alu instid0(VALU_DEP_2) | instskip(NEXT) | instid1(VALU_DEP_1)
	v_dual_mov_b32 v37, 0 :: v_dual_cndmask_b32 v34, -1, v34
	v_cmpx_lt_i64_e32 -1, v[33:34]
	s_cbranch_execz .LBB63_123
; %bb.112:
	v_mov_b32_e32 v37, 1.0
	s_mov_b32 s14, exec_lo
	v_cmpx_lt_i64_e32 0, v[33:34]
	s_cbranch_execz .LBB63_122
; %bb.113:
	v_lshrrev_b32_e32 v25, 16, v25
                                        ; implicit-def: $vgpr37
	s_mov_b32 s10, exec_lo
	s_delay_alu instid0(VALU_DEP_1)
	v_cvt_f32_f16_e32 v25, v25
	v_cmpx_ne_u64_e32 1, v[33:34]
	s_xor_b32 s16, exec_lo, s10
	s_cbranch_execz .LBB63_119
; %bb.114:
	v_mov_b32_e32 v37, 0x7fc00000
	s_mov_b32 s17, exec_lo
	v_cmpx_gt_u64_e32 0x81, v[33:34]
	s_cbranch_execz .LBB63_118
; %bb.115:
	v_dual_add_f32 v25, v25, v25 :: v_dual_mov_b32 v38, 1.0
	v_lshlrev_b64 v[33:34], 1, v[33:34]
	s_mov_b64 s[10:11], 2
	s_mov_b32 s18, 0
	s_delay_alu instid0(VALU_DEP_2)
	v_mov_b32_e32 v37, v25
	.p2align	6
.LBB63_116:                             ; =>This Inner Loop Header: Depth=1
	s_clz_i32_u32 s19, s11
	s_delay_alu instid0(SALU_CYCLE_1) | instskip(NEXT) | instid1(SALU_CYCLE_1)
	s_min_u32 s19, s19, 32
	s_lshl_b64 s[20:21], s[10:11], s19
	s_sub_i32 s19, 32, s19
	s_min_u32 s20, s20, 1
	s_delay_alu instid0(SALU_CYCLE_1) | instskip(SKIP_3) | instid1(SALU_CYCLE_1)
	s_or_b32 s20, s21, s20
	s_add_u32 s10, s10, 2
	v_cvt_f32_u32_e32 v44, s20
	s_addc_u32 s11, s11, 0
	v_cmp_ge_u64_e32 vcc_lo, s[10:11], v[33:34]
	s_delay_alu instid0(VALU_DEP_2) | instskip(SKIP_1) | instid1(VALU_DEP_1)
	v_ldexp_f32 v44, v44, s19
	s_or_b32 s18, vcc_lo, s18
	v_mul_f32_e32 v44, v38, v44
	v_mov_b32_e32 v38, v37
	s_delay_alu instid0(VALU_DEP_2)
	v_fma_f32 v37, v25, v37, -v44
	s_and_not1_b32 exec_lo, exec_lo, s18
	s_cbranch_execnz .LBB63_116
; %bb.117:
	s_or_b32 exec_lo, exec_lo, s18
.LBB63_118:
	s_delay_alu instid0(SALU_CYCLE_1)
	s_or_b32 exec_lo, exec_lo, s17
                                        ; implicit-def: $vgpr25
.LBB63_119:
	s_and_not1_saveexec_b32 s10, s16
; %bb.120:
	v_add_f32_e32 v37, v25, v25
; %bb.121:
	s_or_b32 exec_lo, exec_lo, s10
.LBB63_122:
	s_delay_alu instid0(SALU_CYCLE_1)
	s_or_b32 exec_lo, exec_lo, s14
.LBB63_123:
	s_delay_alu instid0(SALU_CYCLE_1) | instskip(SKIP_3) | instid1(VALU_DEP_2)
	s_or_b32 exec_lo, exec_lo, s13
	v_cvt_f16_f32_e32 v25, v35
	v_mov_b32_e32 v35, 0
	s_mov_b32 s13, exec_lo
	v_cvt_f32_f16_e32 v33, v25
	v_cmp_class_f16_e64 vcc_lo, v25, 0x1f8
	s_delay_alu instid0(VALU_DEP_2) | instskip(NEXT) | instid1(VALU_DEP_1)
	v_cvt_i32_f32_e32 v33, v33
	v_ashrrev_i32_e32 v34, 31, v33
	s_delay_alu instid0(VALU_DEP_1) | instskip(NEXT) | instid1(VALU_DEP_1)
	v_dual_cndmask_b32 v33, -1, v33 :: v_dual_cndmask_b32 v34, -1, v34
	v_cmpx_lt_i64_e32 -1, v[33:34]
	s_cbranch_execz .LBB63_135
; %bb.124:
	v_mov_b32_e32 v35, 1.0
	s_mov_b32 s14, exec_lo
	v_cmpx_lt_i64_e32 0, v[33:34]
	s_cbranch_execz .LBB63_134
; %bb.125:
	v_cvt_f32_f16_e32 v25, v26
                                        ; implicit-def: $vgpr35
	s_mov_b32 s10, exec_lo
	v_cmpx_ne_u64_e32 1, v[33:34]
	s_xor_b32 s16, exec_lo, s10
	s_cbranch_execz .LBB63_131
; %bb.126:
	v_mov_b32_e32 v35, 0x7fc00000
	s_mov_b32 s17, exec_lo
	v_cmpx_gt_u64_e32 0x81, v[33:34]
	s_cbranch_execz .LBB63_130
; %bb.127:
	v_dual_add_f32 v25, v25, v25 :: v_dual_mov_b32 v38, 1.0
	v_lshlrev_b64 v[33:34], 1, v[33:34]
	s_mov_b64 s[10:11], 2
	s_mov_b32 s18, 0
	s_delay_alu instid0(VALU_DEP_2)
	v_mov_b32_e32 v35, v25
	.p2align	6
.LBB63_128:                             ; =>This Inner Loop Header: Depth=1
	s_clz_i32_u32 s19, s11
	s_delay_alu instid0(SALU_CYCLE_1) | instskip(NEXT) | instid1(SALU_CYCLE_1)
	s_min_u32 s19, s19, 32
	s_lshl_b64 s[20:21], s[10:11], s19
	s_sub_i32 s19, 32, s19
	s_min_u32 s20, s20, 1
	s_delay_alu instid0(SALU_CYCLE_1) | instskip(SKIP_3) | instid1(SALU_CYCLE_1)
	s_or_b32 s20, s21, s20
	s_add_u32 s10, s10, 2
	v_cvt_f32_u32_e32 v44, s20
	s_addc_u32 s11, s11, 0
	v_cmp_ge_u64_e32 vcc_lo, s[10:11], v[33:34]
	s_delay_alu instid0(VALU_DEP_2) | instskip(SKIP_1) | instid1(VALU_DEP_1)
	v_ldexp_f32 v44, v44, s19
	s_or_b32 s18, vcc_lo, s18
	v_mul_f32_e32 v44, v38, v44
	v_mov_b32_e32 v38, v35
	s_delay_alu instid0(VALU_DEP_2)
	v_fma_f32 v35, v25, v35, -v44
	s_and_not1_b32 exec_lo, exec_lo, s18
	s_cbranch_execnz .LBB63_128
; %bb.129:
	s_or_b32 exec_lo, exec_lo, s18
.LBB63_130:
	s_delay_alu instid0(SALU_CYCLE_1)
	s_or_b32 exec_lo, exec_lo, s17
                                        ; implicit-def: $vgpr25
.LBB63_131:
	s_and_not1_saveexec_b32 s10, s16
; %bb.132:
	v_add_f32_e32 v35, v25, v25
; %bb.133:
	s_or_b32 exec_lo, exec_lo, s10
.LBB63_134:
	s_delay_alu instid0(SALU_CYCLE_1)
	s_or_b32 exec_lo, exec_lo, s14
.LBB63_135:
	s_delay_alu instid0(SALU_CYCLE_1) | instskip(SKIP_3) | instid1(VALU_DEP_2)
	s_or_b32 exec_lo, exec_lo, s13
	v_cvt_f16_f32_e32 v25, v36
	v_mov_b32_e32 v36, 0
	s_mov_b32 s13, exec_lo
	v_cvt_f32_f16_e32 v33, v25
	v_cmp_class_f16_e64 vcc_lo, v25, 0x1f8
	s_delay_alu instid0(VALU_DEP_2) | instskip(NEXT) | instid1(VALU_DEP_1)
	v_cvt_i32_f32_e32 v33, v33
	v_ashrrev_i32_e32 v34, 31, v33
	s_delay_alu instid0(VALU_DEP_1) | instskip(NEXT) | instid1(VALU_DEP_1)
	v_dual_cndmask_b32 v33, -1, v33 :: v_dual_cndmask_b32 v34, -1, v34
	v_cmpx_lt_i64_e32 -1, v[33:34]
	s_cbranch_execz .LBB63_147
; %bb.136:
	v_mov_b32_e32 v36, 1.0
	s_mov_b32 s14, exec_lo
	v_cmpx_lt_i64_e32 0, v[33:34]
	s_cbranch_execz .LBB63_146
; %bb.137:
	v_lshrrev_b32_e32 v25, 16, v26
                                        ; implicit-def: $vgpr36
	s_mov_b32 s10, exec_lo
	s_delay_alu instid0(VALU_DEP_1)
	v_cvt_f32_f16_e32 v25, v25
	v_cmpx_ne_u64_e32 1, v[33:34]
	s_xor_b32 s16, exec_lo, s10
	s_cbranch_execz .LBB63_143
; %bb.138:
	v_mov_b32_e32 v36, 0x7fc00000
	s_mov_b32 s17, exec_lo
	v_cmpx_gt_u64_e32 0x81, v[33:34]
	s_cbranch_execz .LBB63_142
; %bb.139:
	v_add_f32_e32 v38, v25, v25
	v_lshlrev_b64 v[25:26], 1, v[33:34]
	v_mov_b32_e32 v33, 1.0
	s_mov_b64 s[10:11], 2
	s_mov_b32 s18, 0
	v_mov_b32_e32 v36, v38
	.p2align	6
.LBB63_140:                             ; =>This Inner Loop Header: Depth=1
	s_clz_i32_u32 s19, s11
	s_delay_alu instid0(SALU_CYCLE_1) | instskip(NEXT) | instid1(SALU_CYCLE_1)
	s_min_u32 s19, s19, 32
	s_lshl_b64 s[20:21], s[10:11], s19
	s_sub_i32 s19, 32, s19
	s_min_u32 s20, s20, 1
	s_delay_alu instid0(SALU_CYCLE_1) | instskip(SKIP_3) | instid1(SALU_CYCLE_1)
	s_or_b32 s20, s21, s20
	s_add_u32 s10, s10, 2
	v_cvt_f32_u32_e32 v34, s20
	s_addc_u32 s11, s11, 0
	v_cmp_ge_u64_e32 vcc_lo, s[10:11], v[25:26]
	s_delay_alu instid0(VALU_DEP_2) | instskip(SKIP_1) | instid1(VALU_DEP_1)
	v_ldexp_f32 v34, v34, s19
	s_or_b32 s18, vcc_lo, s18
	v_dual_mul_f32 v34, v33, v34 :: v_dual_mov_b32 v33, v36
	s_delay_alu instid0(VALU_DEP_1)
	v_fma_f32 v36, v38, v36, -v34
	s_and_not1_b32 exec_lo, exec_lo, s18
	s_cbranch_execnz .LBB63_140
; %bb.141:
	s_or_b32 exec_lo, exec_lo, s18
.LBB63_142:
	s_delay_alu instid0(SALU_CYCLE_1)
	s_or_b32 exec_lo, exec_lo, s17
                                        ; implicit-def: $vgpr25
.LBB63_143:
	s_and_not1_saveexec_b32 s10, s16
; %bb.144:
	v_add_f32_e32 v36, v25, v25
; %bb.145:
	s_or_b32 exec_lo, exec_lo, s10
.LBB63_146:
	s_delay_alu instid0(SALU_CYCLE_1)
	s_or_b32 exec_lo, exec_lo, s14
.LBB63_147:
	s_delay_alu instid0(SALU_CYCLE_1) | instskip(SKIP_3) | instid1(VALU_DEP_1)
	s_or_b32 exec_lo, exec_lo, s13
	s_waitcnt vmcnt(4)
	v_cvt_f16_f32_e32 v25, v29
	s_mov_b32 s13, exec_lo
	v_cvt_f32_f16_e32 v26, v25
	v_cmp_class_f16_e64 vcc_lo, v25, 0x1f8
	s_delay_alu instid0(VALU_DEP_2) | instskip(NEXT) | instid1(VALU_DEP_1)
	v_cvt_i32_f32_e32 v29, v26
	v_ashrrev_i32_e32 v26, 31, v29
	v_cndmask_b32_e32 v25, -1, v29, vcc_lo
	s_delay_alu instid0(VALU_DEP_2) | instskip(NEXT) | instid1(VALU_DEP_1)
	v_dual_mov_b32 v29, 0 :: v_dual_cndmask_b32 v26, -1, v26
	v_cmpx_lt_i64_e32 -1, v[25:26]
	s_cbranch_execz .LBB63_159
; %bb.148:
	v_mov_b32_e32 v29, 1.0
	s_mov_b32 s14, exec_lo
	v_cmpx_lt_i64_e32 0, v[25:26]
	s_cbranch_execz .LBB63_158
; %bb.149:
	v_cvt_f32_f16_e32 v33, v27
                                        ; implicit-def: $vgpr29
	s_mov_b32 s10, exec_lo
	v_cmpx_ne_u64_e32 1, v[25:26]
	s_xor_b32 s16, exec_lo, s10
	s_cbranch_execz .LBB63_155
; %bb.150:
	v_mov_b32_e32 v29, 0x7fc00000
	s_mov_b32 s17, exec_lo
	v_cmpx_gt_u64_e32 0x81, v[25:26]
	s_cbranch_execz .LBB63_154
; %bb.151:
	v_dual_add_f32 v33, v33, v33 :: v_dual_mov_b32 v34, 1.0
	v_lshlrev_b64 v[25:26], 1, v[25:26]
	s_mov_b64 s[10:11], 2
	s_mov_b32 s18, 0
	s_delay_alu instid0(VALU_DEP_2)
	v_mov_b32_e32 v29, v33
	.p2align	6
.LBB63_152:                             ; =>This Inner Loop Header: Depth=1
	s_clz_i32_u32 s19, s11
	s_delay_alu instid0(SALU_CYCLE_1) | instskip(NEXT) | instid1(SALU_CYCLE_1)
	s_min_u32 s19, s19, 32
	s_lshl_b64 s[20:21], s[10:11], s19
	s_sub_i32 s19, 32, s19
	s_min_u32 s20, s20, 1
	s_delay_alu instid0(SALU_CYCLE_1) | instskip(SKIP_3) | instid1(SALU_CYCLE_1)
	s_or_b32 s20, s21, s20
	s_add_u32 s10, s10, 2
	v_cvt_f32_u32_e32 v38, s20
	s_addc_u32 s11, s11, 0
	v_cmp_ge_u64_e32 vcc_lo, s[10:11], v[25:26]
	s_delay_alu instid0(VALU_DEP_2) | instskip(SKIP_1) | instid1(VALU_DEP_1)
	v_ldexp_f32 v38, v38, s19
	s_or_b32 s18, vcc_lo, s18
	v_mul_f32_e32 v38, v34, v38
	v_mov_b32_e32 v34, v29
	s_delay_alu instid0(VALU_DEP_2)
	v_fma_f32 v29, v33, v29, -v38
	s_and_not1_b32 exec_lo, exec_lo, s18
	s_cbranch_execnz .LBB63_152
; %bb.153:
	s_or_b32 exec_lo, exec_lo, s18
.LBB63_154:
	s_delay_alu instid0(SALU_CYCLE_1)
	s_or_b32 exec_lo, exec_lo, s17
                                        ; implicit-def: $vgpr33
.LBB63_155:
	s_and_not1_saveexec_b32 s10, s16
; %bb.156:
	v_add_f32_e32 v29, v33, v33
; %bb.157:
	s_or_b32 exec_lo, exec_lo, s10
.LBB63_158:
	s_delay_alu instid0(SALU_CYCLE_1)
	s_or_b32 exec_lo, exec_lo, s14
.LBB63_159:
	s_delay_alu instid0(SALU_CYCLE_1) | instskip(SKIP_2) | instid1(VALU_DEP_1)
	s_or_b32 exec_lo, exec_lo, s13
	v_cvt_f16_f32_e32 v25, v30
	s_mov_b32 s13, exec_lo
	v_cvt_f32_f16_e32 v26, v25
	v_cmp_class_f16_e64 vcc_lo, v25, 0x1f8
	s_delay_alu instid0(VALU_DEP_2) | instskip(NEXT) | instid1(VALU_DEP_1)
	v_cvt_i32_f32_e32 v30, v26
	v_ashrrev_i32_e32 v26, 31, v30
	v_dual_cndmask_b32 v25, -1, v30 :: v_dual_mov_b32 v30, 0
	s_delay_alu instid0(VALU_DEP_2) | instskip(NEXT) | instid1(VALU_DEP_1)
	v_cndmask_b32_e32 v26, -1, v26, vcc_lo
	v_cmpx_lt_i64_e32 -1, v[25:26]
	s_cbranch_execz .LBB63_171
; %bb.160:
	v_mov_b32_e32 v30, 1.0
	s_mov_b32 s14, exec_lo
	v_cmpx_lt_i64_e32 0, v[25:26]
	s_cbranch_execz .LBB63_170
; %bb.161:
	v_lshrrev_b32_e32 v27, 16, v27
                                        ; implicit-def: $vgpr30
	s_mov_b32 s10, exec_lo
	s_delay_alu instid0(VALU_DEP_1)
	v_cvt_f32_f16_e32 v27, v27
	v_cmpx_ne_u64_e32 1, v[25:26]
	s_xor_b32 s16, exec_lo, s10
	s_cbranch_execz .LBB63_167
; %bb.162:
	v_mov_b32_e32 v30, 0x7fc00000
	s_mov_b32 s17, exec_lo
	v_cmpx_gt_u64_e32 0x81, v[25:26]
	s_cbranch_execz .LBB63_166
; %bb.163:
	v_add_f32_e32 v27, v27, v27
	v_lshlrev_b64 v[25:26], 1, v[25:26]
	v_mov_b32_e32 v33, 1.0
	s_mov_b64 s[10:11], 2
	s_mov_b32 s18, 0
	v_mov_b32_e32 v30, v27
	.p2align	6
.LBB63_164:                             ; =>This Inner Loop Header: Depth=1
	s_clz_i32_u32 s19, s11
	s_delay_alu instid0(SALU_CYCLE_1) | instskip(NEXT) | instid1(SALU_CYCLE_1)
	s_min_u32 s19, s19, 32
	s_lshl_b64 s[20:21], s[10:11], s19
	s_sub_i32 s19, 32, s19
	s_min_u32 s20, s20, 1
	s_delay_alu instid0(SALU_CYCLE_1) | instskip(SKIP_3) | instid1(SALU_CYCLE_1)
	s_or_b32 s20, s21, s20
	s_add_u32 s10, s10, 2
	v_cvt_f32_u32_e32 v34, s20
	s_addc_u32 s11, s11, 0
	v_cmp_ge_u64_e32 vcc_lo, s[10:11], v[25:26]
	s_delay_alu instid0(VALU_DEP_2) | instskip(SKIP_1) | instid1(VALU_DEP_1)
	v_ldexp_f32 v34, v34, s19
	s_or_b32 s18, vcc_lo, s18
	v_dual_mul_f32 v34, v33, v34 :: v_dual_mov_b32 v33, v30
	s_delay_alu instid0(VALU_DEP_1)
	v_fma_f32 v30, v27, v30, -v34
	s_and_not1_b32 exec_lo, exec_lo, s18
	s_cbranch_execnz .LBB63_164
; %bb.165:
	s_or_b32 exec_lo, exec_lo, s18
.LBB63_166:
	s_delay_alu instid0(SALU_CYCLE_1)
	s_or_b32 exec_lo, exec_lo, s17
                                        ; implicit-def: $vgpr27
.LBB63_167:
	s_and_not1_saveexec_b32 s10, s16
; %bb.168:
	v_add_f32_e32 v30, v27, v27
; %bb.169:
	s_or_b32 exec_lo, exec_lo, s10
.LBB63_170:
	s_delay_alu instid0(SALU_CYCLE_1)
	s_or_b32 exec_lo, exec_lo, s14
.LBB63_171:
	s_delay_alu instid0(SALU_CYCLE_1) | instskip(SKIP_2) | instid1(VALU_DEP_1)
	s_or_b32 exec_lo, exec_lo, s13
	v_cvt_f16_f32_e32 v25, v31
	s_mov_b32 s13, exec_lo
	v_cvt_f32_f16_e32 v26, v25
	v_cmp_class_f16_e64 vcc_lo, v25, 0x1f8
	s_delay_alu instid0(VALU_DEP_2) | instskip(NEXT) | instid1(VALU_DEP_1)
	v_cvt_i32_f32_e32 v27, v26
	v_ashrrev_i32_e32 v26, 31, v27
	v_cndmask_b32_e32 v25, -1, v27, vcc_lo
	s_delay_alu instid0(VALU_DEP_2) | instskip(NEXT) | instid1(VALU_DEP_1)
	v_dual_mov_b32 v27, 0 :: v_dual_cndmask_b32 v26, -1, v26
	v_cmpx_lt_i64_e32 -1, v[25:26]
	s_cbranch_execz .LBB63_183
; %bb.172:
	v_mov_b32_e32 v27, 1.0
	s_mov_b32 s14, exec_lo
	v_cmpx_lt_i64_e32 0, v[25:26]
	s_cbranch_execz .LBB63_182
; %bb.173:
	v_cvt_f32_f16_e32 v31, v28
                                        ; implicit-def: $vgpr27
	s_mov_b32 s10, exec_lo
	v_cmpx_ne_u64_e32 1, v[25:26]
	s_xor_b32 s16, exec_lo, s10
	s_cbranch_execz .LBB63_179
; %bb.174:
	v_mov_b32_e32 v27, 0x7fc00000
	s_mov_b32 s17, exec_lo
	v_cmpx_gt_u64_e32 0x81, v[25:26]
	s_cbranch_execz .LBB63_178
; %bb.175:
	v_add_f32_e32 v31, v31, v31
	v_lshlrev_b64 v[25:26], 1, v[25:26]
	v_mov_b32_e32 v33, 1.0
	s_mov_b64 s[10:11], 2
	s_mov_b32 s18, 0
	v_mov_b32_e32 v27, v31
	.p2align	6
.LBB63_176:                             ; =>This Inner Loop Header: Depth=1
	s_clz_i32_u32 s19, s11
	s_delay_alu instid0(SALU_CYCLE_1) | instskip(NEXT) | instid1(SALU_CYCLE_1)
	s_min_u32 s19, s19, 32
	s_lshl_b64 s[20:21], s[10:11], s19
	s_sub_i32 s19, 32, s19
	s_min_u32 s20, s20, 1
	s_delay_alu instid0(SALU_CYCLE_1) | instskip(SKIP_3) | instid1(SALU_CYCLE_1)
	s_or_b32 s20, s21, s20
	s_add_u32 s10, s10, 2
	v_cvt_f32_u32_e32 v34, s20
	s_addc_u32 s11, s11, 0
	v_cmp_ge_u64_e32 vcc_lo, s[10:11], v[25:26]
	s_delay_alu instid0(VALU_DEP_2) | instskip(SKIP_1) | instid1(VALU_DEP_1)
	v_ldexp_f32 v34, v34, s19
	s_or_b32 s18, vcc_lo, s18
	v_dual_mul_f32 v34, v33, v34 :: v_dual_mov_b32 v33, v27
	s_delay_alu instid0(VALU_DEP_1)
	v_fma_f32 v27, v31, v27, -v34
	s_and_not1_b32 exec_lo, exec_lo, s18
	s_cbranch_execnz .LBB63_176
; %bb.177:
	s_or_b32 exec_lo, exec_lo, s18
.LBB63_178:
	s_delay_alu instid0(SALU_CYCLE_1)
	s_or_b32 exec_lo, exec_lo, s17
                                        ; implicit-def: $vgpr31
.LBB63_179:
	s_and_not1_saveexec_b32 s10, s16
; %bb.180:
	v_add_f32_e32 v27, v31, v31
; %bb.181:
	s_or_b32 exec_lo, exec_lo, s10
.LBB63_182:
	s_delay_alu instid0(SALU_CYCLE_1)
	s_or_b32 exec_lo, exec_lo, s14
.LBB63_183:
	s_delay_alu instid0(SALU_CYCLE_1) | instskip(SKIP_2) | instid1(VALU_DEP_1)
	s_or_b32 exec_lo, exec_lo, s13
	v_cvt_f16_f32_e32 v25, v32
	s_mov_b32 s13, exec_lo
	v_cvt_f32_f16_e32 v26, v25
	v_cmp_class_f16_e64 vcc_lo, v25, 0x1f8
	s_delay_alu instid0(VALU_DEP_2) | instskip(NEXT) | instid1(VALU_DEP_1)
	v_cvt_i32_f32_e32 v31, v26
	v_ashrrev_i32_e32 v26, 31, v31
	v_cndmask_b32_e32 v25, -1, v31, vcc_lo
	s_delay_alu instid0(VALU_DEP_2) | instskip(NEXT) | instid1(VALU_DEP_1)
	v_dual_mov_b32 v31, 0 :: v_dual_cndmask_b32 v26, -1, v26
	v_cmpx_lt_i64_e32 -1, v[25:26]
	s_cbranch_execz .LBB63_195
; %bb.184:
	v_mov_b32_e32 v31, 1.0
	s_mov_b32 s14, exec_lo
	v_cmpx_lt_i64_e32 0, v[25:26]
	s_cbranch_execz .LBB63_194
; %bb.185:
	v_lshrrev_b32_e32 v28, 16, v28
                                        ; implicit-def: $vgpr31
	s_mov_b32 s10, exec_lo
	s_delay_alu instid0(VALU_DEP_1)
	v_cvt_f32_f16_e32 v28, v28
	v_cmpx_ne_u64_e32 1, v[25:26]
	s_xor_b32 s16, exec_lo, s10
	s_cbranch_execz .LBB63_191
; %bb.186:
	v_mov_b32_e32 v31, 0x7fc00000
	s_mov_b32 s17, exec_lo
	v_cmpx_gt_u64_e32 0x81, v[25:26]
	s_cbranch_execz .LBB63_190
; %bb.187:
	v_add_f32_e32 v28, v28, v28
	v_lshlrev_b64 v[25:26], 1, v[25:26]
	v_mov_b32_e32 v32, 1.0
	s_mov_b64 s[10:11], 2
	s_mov_b32 s18, 0
	v_mov_b32_e32 v31, v28
	.p2align	6
.LBB63_188:                             ; =>This Inner Loop Header: Depth=1
	s_clz_i32_u32 s19, s11
	s_delay_alu instid0(SALU_CYCLE_1) | instskip(NEXT) | instid1(SALU_CYCLE_1)
	s_min_u32 s19, s19, 32
	s_lshl_b64 s[20:21], s[10:11], s19
	s_sub_i32 s19, 32, s19
	s_min_u32 s20, s20, 1
	s_delay_alu instid0(SALU_CYCLE_1) | instskip(SKIP_3) | instid1(SALU_CYCLE_1)
	s_or_b32 s20, s21, s20
	s_add_u32 s10, s10, 2
	v_cvt_f32_u32_e32 v33, s20
	s_addc_u32 s11, s11, 0
	v_cmp_ge_u64_e32 vcc_lo, s[10:11], v[25:26]
	s_delay_alu instid0(VALU_DEP_2) | instskip(SKIP_1) | instid1(VALU_DEP_1)
	v_ldexp_f32 v33, v33, s19
	s_or_b32 s18, vcc_lo, s18
	v_dual_mul_f32 v33, v32, v33 :: v_dual_mov_b32 v32, v31
	s_delay_alu instid0(VALU_DEP_1)
	v_fma_f32 v31, v28, v31, -v33
	s_and_not1_b32 exec_lo, exec_lo, s18
	s_cbranch_execnz .LBB63_188
; %bb.189:
	s_or_b32 exec_lo, exec_lo, s18
.LBB63_190:
	s_delay_alu instid0(SALU_CYCLE_1)
	s_or_b32 exec_lo, exec_lo, s17
                                        ; implicit-def: $vgpr28
.LBB63_191:
	s_and_not1_saveexec_b32 s10, s16
; %bb.192:
	v_add_f32_e32 v31, v28, v28
; %bb.193:
	s_or_b32 exec_lo, exec_lo, s10
.LBB63_194:
	s_delay_alu instid0(SALU_CYCLE_1)
	s_or_b32 exec_lo, exec_lo, s14
.LBB63_195:
	s_delay_alu instid0(SALU_CYCLE_1) | instskip(SKIP_4) | instid1(VALU_DEP_2)
	s_or_b32 exec_lo, exec_lo, s13
	s_waitcnt vmcnt(2)
	v_cvt_f16_f32_e32 v21, v21
	v_mov_b32_e32 v28, 0
	s_mov_b32 s13, exec_lo
	v_cvt_f32_f16_e32 v25, v21
	v_cmp_class_f16_e64 vcc_lo, v21, 0x1f8
	s_delay_alu instid0(VALU_DEP_2) | instskip(NEXT) | instid1(VALU_DEP_1)
	v_cvt_i32_f32_e32 v25, v25
	v_ashrrev_i32_e32 v26, 31, v25
	s_delay_alu instid0(VALU_DEP_1) | instskip(NEXT) | instid1(VALU_DEP_1)
	v_dual_cndmask_b32 v25, -1, v25 :: v_dual_cndmask_b32 v26, -1, v26
	v_cmpx_lt_i64_e32 -1, v[25:26]
	s_cbranch_execz .LBB63_207
; %bb.196:
	v_mov_b32_e32 v28, 1.0
	s_mov_b32 s14, exec_lo
	v_cmpx_lt_i64_e32 0, v[25:26]
	s_cbranch_execz .LBB63_206
; %bb.197:
	v_cvt_f32_f16_e32 v21, v13
                                        ; implicit-def: $vgpr28
	s_mov_b32 s10, exec_lo
	v_cmpx_ne_u64_e32 1, v[25:26]
	s_xor_b32 s16, exec_lo, s10
	s_cbranch_execz .LBB63_203
; %bb.198:
	v_mov_b32_e32 v28, 0x7fc00000
	s_mov_b32 s17, exec_lo
	v_cmpx_gt_u64_e32 0x81, v[25:26]
	s_cbranch_execz .LBB63_202
; %bb.199:
	v_dual_add_f32 v21, v21, v21 :: v_dual_mov_b32 v32, 1.0
	v_lshlrev_b64 v[25:26], 1, v[25:26]
	s_mov_b64 s[10:11], 2
	s_mov_b32 s18, 0
	s_delay_alu instid0(VALU_DEP_2)
	v_mov_b32_e32 v28, v21
	.p2align	6
.LBB63_200:                             ; =>This Inner Loop Header: Depth=1
	s_clz_i32_u32 s19, s11
	s_delay_alu instid0(SALU_CYCLE_1) | instskip(NEXT) | instid1(SALU_CYCLE_1)
	s_min_u32 s19, s19, 32
	s_lshl_b64 s[20:21], s[10:11], s19
	s_sub_i32 s19, 32, s19
	s_min_u32 s20, s20, 1
	s_delay_alu instid0(SALU_CYCLE_1) | instskip(SKIP_3) | instid1(SALU_CYCLE_1)
	s_or_b32 s20, s21, s20
	s_add_u32 s10, s10, 2
	v_cvt_f32_u32_e32 v33, s20
	s_addc_u32 s11, s11, 0
	v_cmp_ge_u64_e32 vcc_lo, s[10:11], v[25:26]
	s_delay_alu instid0(VALU_DEP_2) | instskip(SKIP_1) | instid1(VALU_DEP_1)
	v_ldexp_f32 v33, v33, s19
	s_or_b32 s18, vcc_lo, s18
	v_mul_f32_e32 v33, v32, v33
	v_mov_b32_e32 v32, v28
	s_delay_alu instid0(VALU_DEP_2)
	v_fma_f32 v28, v21, v28, -v33
	s_and_not1_b32 exec_lo, exec_lo, s18
	s_cbranch_execnz .LBB63_200
; %bb.201:
	s_or_b32 exec_lo, exec_lo, s18
.LBB63_202:
	s_delay_alu instid0(SALU_CYCLE_1)
	s_or_b32 exec_lo, exec_lo, s17
                                        ; implicit-def: $vgpr21
.LBB63_203:
	s_and_not1_saveexec_b32 s10, s16
; %bb.204:
	v_add_f32_e32 v28, v21, v21
; %bb.205:
	s_or_b32 exec_lo, exec_lo, s10
.LBB63_206:
	s_delay_alu instid0(SALU_CYCLE_1)
	s_or_b32 exec_lo, exec_lo, s14
.LBB63_207:
	s_delay_alu instid0(SALU_CYCLE_1) | instskip(SKIP_2) | instid1(VALU_DEP_1)
	s_or_b32 exec_lo, exec_lo, s13
	v_cvt_f16_f32_e32 v21, v22
	s_mov_b32 s13, exec_lo
	v_cvt_f32_f16_e32 v22, v21
	v_cmp_class_f16_e64 vcc_lo, v21, 0x1f8
	s_delay_alu instid0(VALU_DEP_2) | instskip(NEXT) | instid1(VALU_DEP_1)
	v_cvt_i32_f32_e32 v25, v22
	v_ashrrev_i32_e32 v22, 31, v25
	v_cndmask_b32_e32 v21, -1, v25, vcc_lo
	s_delay_alu instid0(VALU_DEP_2) | instskip(NEXT) | instid1(VALU_DEP_1)
	v_dual_mov_b32 v25, 0 :: v_dual_cndmask_b32 v22, -1, v22
	v_cmpx_lt_i64_e32 -1, v[21:22]
	s_cbranch_execz .LBB63_219
; %bb.208:
	v_mov_b32_e32 v25, 1.0
	s_mov_b32 s14, exec_lo
	v_cmpx_lt_i64_e32 0, v[21:22]
	s_cbranch_execz .LBB63_218
; %bb.209:
	v_lshrrev_b32_e32 v13, 16, v13
                                        ; implicit-def: $vgpr25
	s_mov_b32 s10, exec_lo
	s_delay_alu instid0(VALU_DEP_1)
	v_cvt_f32_f16_e32 v13, v13
	v_cmpx_ne_u64_e32 1, v[21:22]
	s_xor_b32 s16, exec_lo, s10
	s_cbranch_execz .LBB63_215
; %bb.210:
	v_mov_b32_e32 v25, 0x7fc00000
	s_mov_b32 s17, exec_lo
	v_cmpx_gt_u64_e32 0x81, v[21:22]
	s_cbranch_execz .LBB63_214
; %bb.211:
	v_dual_add_f32 v13, v13, v13 :: v_dual_mov_b32 v26, 1.0
	v_lshlrev_b64 v[21:22], 1, v[21:22]
	s_mov_b64 s[10:11], 2
	s_mov_b32 s18, 0
	s_delay_alu instid0(VALU_DEP_2)
	v_mov_b32_e32 v25, v13
	.p2align	6
.LBB63_212:                             ; =>This Inner Loop Header: Depth=1
	s_clz_i32_u32 s19, s11
	s_delay_alu instid0(SALU_CYCLE_1) | instskip(NEXT) | instid1(SALU_CYCLE_1)
	s_min_u32 s19, s19, 32
	s_lshl_b64 s[20:21], s[10:11], s19
	s_sub_i32 s19, 32, s19
	s_min_u32 s20, s20, 1
	s_delay_alu instid0(SALU_CYCLE_1) | instskip(SKIP_3) | instid1(SALU_CYCLE_1)
	s_or_b32 s20, s21, s20
	s_add_u32 s10, s10, 2
	v_cvt_f32_u32_e32 v32, s20
	s_addc_u32 s11, s11, 0
	v_cmp_ge_u64_e32 vcc_lo, s[10:11], v[21:22]
	s_delay_alu instid0(VALU_DEP_2) | instskip(SKIP_1) | instid1(VALU_DEP_1)
	v_ldexp_f32 v32, v32, s19
	s_or_b32 s18, vcc_lo, s18
	v_mul_f32_e32 v32, v26, v32
	v_mov_b32_e32 v26, v25
	s_delay_alu instid0(VALU_DEP_2)
	v_fma_f32 v25, v13, v25, -v32
	s_and_not1_b32 exec_lo, exec_lo, s18
	s_cbranch_execnz .LBB63_212
; %bb.213:
	s_or_b32 exec_lo, exec_lo, s18
.LBB63_214:
	s_delay_alu instid0(SALU_CYCLE_1)
	s_or_b32 exec_lo, exec_lo, s17
                                        ; implicit-def: $vgpr13
.LBB63_215:
	s_and_not1_saveexec_b32 s10, s16
; %bb.216:
	v_add_f32_e32 v25, v13, v13
; %bb.217:
	s_or_b32 exec_lo, exec_lo, s10
.LBB63_218:
	s_delay_alu instid0(SALU_CYCLE_1)
	s_or_b32 exec_lo, exec_lo, s14
.LBB63_219:
	s_delay_alu instid0(SALU_CYCLE_1) | instskip(SKIP_3) | instid1(VALU_DEP_2)
	s_or_b32 exec_lo, exec_lo, s13
	v_cvt_f16_f32_e32 v13, v23
	v_mov_b32_e32 v23, 0
	s_mov_b32 s13, exec_lo
	v_cvt_f32_f16_e32 v21, v13
	v_cmp_class_f16_e64 vcc_lo, v13, 0x1f8
	s_delay_alu instid0(VALU_DEP_2) | instskip(NEXT) | instid1(VALU_DEP_1)
	v_cvt_i32_f32_e32 v21, v21
	v_ashrrev_i32_e32 v22, 31, v21
	s_delay_alu instid0(VALU_DEP_1) | instskip(NEXT) | instid1(VALU_DEP_1)
	v_dual_cndmask_b32 v21, -1, v21 :: v_dual_cndmask_b32 v22, -1, v22
	v_cmpx_lt_i64_e32 -1, v[21:22]
	s_cbranch_execz .LBB63_231
; %bb.220:
	v_mov_b32_e32 v23, 1.0
	s_mov_b32 s14, exec_lo
	v_cmpx_lt_i64_e32 0, v[21:22]
	s_cbranch_execz .LBB63_230
; %bb.221:
	v_cvt_f32_f16_e32 v13, v14
                                        ; implicit-def: $vgpr23
	s_mov_b32 s10, exec_lo
	v_cmpx_ne_u64_e32 1, v[21:22]
	s_xor_b32 s16, exec_lo, s10
	s_cbranch_execz .LBB63_227
; %bb.222:
	v_mov_b32_e32 v23, 0x7fc00000
	s_mov_b32 s17, exec_lo
	v_cmpx_gt_u64_e32 0x81, v[21:22]
	s_cbranch_execz .LBB63_226
; %bb.223:
	v_dual_add_f32 v13, v13, v13 :: v_dual_mov_b32 v26, 1.0
	v_lshlrev_b64 v[21:22], 1, v[21:22]
	s_mov_b64 s[10:11], 2
	s_mov_b32 s18, 0
	s_delay_alu instid0(VALU_DEP_2)
	v_mov_b32_e32 v23, v13
	.p2align	6
.LBB63_224:                             ; =>This Inner Loop Header: Depth=1
	s_clz_i32_u32 s19, s11
	s_delay_alu instid0(SALU_CYCLE_1) | instskip(NEXT) | instid1(SALU_CYCLE_1)
	s_min_u32 s19, s19, 32
	s_lshl_b64 s[20:21], s[10:11], s19
	s_sub_i32 s19, 32, s19
	s_min_u32 s20, s20, 1
	s_delay_alu instid0(SALU_CYCLE_1) | instskip(SKIP_3) | instid1(SALU_CYCLE_1)
	s_or_b32 s20, s21, s20
	s_add_u32 s10, s10, 2
	v_cvt_f32_u32_e32 v32, s20
	s_addc_u32 s11, s11, 0
	v_cmp_ge_u64_e32 vcc_lo, s[10:11], v[21:22]
	s_delay_alu instid0(VALU_DEP_2) | instskip(SKIP_1) | instid1(VALU_DEP_1)
	v_ldexp_f32 v32, v32, s19
	s_or_b32 s18, vcc_lo, s18
	v_mul_f32_e32 v32, v26, v32
	v_mov_b32_e32 v26, v23
	s_delay_alu instid0(VALU_DEP_2)
	v_fma_f32 v23, v13, v23, -v32
	s_and_not1_b32 exec_lo, exec_lo, s18
	s_cbranch_execnz .LBB63_224
; %bb.225:
	s_or_b32 exec_lo, exec_lo, s18
.LBB63_226:
	s_delay_alu instid0(SALU_CYCLE_1)
	s_or_b32 exec_lo, exec_lo, s17
                                        ; implicit-def: $vgpr13
.LBB63_227:
	s_and_not1_saveexec_b32 s10, s16
; %bb.228:
	v_add_f32_e32 v23, v13, v13
; %bb.229:
	s_or_b32 exec_lo, exec_lo, s10
.LBB63_230:
	s_delay_alu instid0(SALU_CYCLE_1)
	s_or_b32 exec_lo, exec_lo, s14
.LBB63_231:
	s_delay_alu instid0(SALU_CYCLE_1) | instskip(SKIP_3) | instid1(VALU_DEP_2)
	s_or_b32 exec_lo, exec_lo, s13
	v_cvt_f16_f32_e32 v13, v24
	v_mov_b32_e32 v24, 0
	s_mov_b32 s13, exec_lo
	v_cvt_f32_f16_e32 v21, v13
	v_cmp_class_f16_e64 vcc_lo, v13, 0x1f8
	s_delay_alu instid0(VALU_DEP_2) | instskip(NEXT) | instid1(VALU_DEP_1)
	v_cvt_i32_f32_e32 v21, v21
	v_ashrrev_i32_e32 v22, 31, v21
	s_delay_alu instid0(VALU_DEP_1) | instskip(NEXT) | instid1(VALU_DEP_1)
	v_dual_cndmask_b32 v21, -1, v21 :: v_dual_cndmask_b32 v22, -1, v22
	v_cmpx_lt_i64_e32 -1, v[21:22]
	s_cbranch_execz .LBB63_243
; %bb.232:
	v_mov_b32_e32 v24, 1.0
	s_mov_b32 s14, exec_lo
	v_cmpx_lt_i64_e32 0, v[21:22]
	s_cbranch_execz .LBB63_242
; %bb.233:
	v_lshrrev_b32_e32 v13, 16, v14
                                        ; implicit-def: $vgpr24
	s_mov_b32 s10, exec_lo
	s_delay_alu instid0(VALU_DEP_1)
	v_cvt_f32_f16_e32 v13, v13
	v_cmpx_ne_u64_e32 1, v[21:22]
	s_xor_b32 s16, exec_lo, s10
	s_cbranch_execz .LBB63_239
; %bb.234:
	v_mov_b32_e32 v24, 0x7fc00000
	s_mov_b32 s17, exec_lo
	v_cmpx_gt_u64_e32 0x81, v[21:22]
	s_cbranch_execz .LBB63_238
; %bb.235:
	v_add_f32_e32 v26, v13, v13
	v_lshlrev_b64 v[13:14], 1, v[21:22]
	v_mov_b32_e32 v21, 1.0
	s_mov_b64 s[10:11], 2
	s_mov_b32 s18, 0
	v_mov_b32_e32 v24, v26
	.p2align	6
.LBB63_236:                             ; =>This Inner Loop Header: Depth=1
	s_clz_i32_u32 s19, s11
	s_delay_alu instid0(SALU_CYCLE_1) | instskip(NEXT) | instid1(SALU_CYCLE_1)
	s_min_u32 s19, s19, 32
	s_lshl_b64 s[20:21], s[10:11], s19
	s_sub_i32 s19, 32, s19
	s_min_u32 s20, s20, 1
	s_delay_alu instid0(SALU_CYCLE_1) | instskip(SKIP_3) | instid1(SALU_CYCLE_1)
	s_or_b32 s20, s21, s20
	s_add_u32 s10, s10, 2
	v_cvt_f32_u32_e32 v22, s20
	s_addc_u32 s11, s11, 0
	v_cmp_ge_u64_e32 vcc_lo, s[10:11], v[13:14]
	s_delay_alu instid0(VALU_DEP_2) | instskip(SKIP_1) | instid1(VALU_DEP_1)
	v_ldexp_f32 v22, v22, s19
	s_or_b32 s18, vcc_lo, s18
	v_dual_mul_f32 v22, v21, v22 :: v_dual_mov_b32 v21, v24
	s_delay_alu instid0(VALU_DEP_1)
	v_fma_f32 v24, v26, v24, -v22
	s_and_not1_b32 exec_lo, exec_lo, s18
	s_cbranch_execnz .LBB63_236
; %bb.237:
	s_or_b32 exec_lo, exec_lo, s18
.LBB63_238:
	s_delay_alu instid0(SALU_CYCLE_1)
	s_or_b32 exec_lo, exec_lo, s17
                                        ; implicit-def: $vgpr13
.LBB63_239:
	s_and_not1_saveexec_b32 s10, s16
; %bb.240:
	v_add_f32_e32 v24, v13, v13
; %bb.241:
	s_or_b32 exec_lo, exec_lo, s10
.LBB63_242:
	s_delay_alu instid0(SALU_CYCLE_1)
	s_or_b32 exec_lo, exec_lo, s14
.LBB63_243:
	s_delay_alu instid0(SALU_CYCLE_1) | instskip(SKIP_2) | instid1(VALU_DEP_1)
	s_or_b32 exec_lo, exec_lo, s13
	v_cvt_f16_f32_e32 v13, v17
	s_mov_b32 s13, exec_lo
	v_cvt_f32_f16_e32 v14, v13
	v_cmp_class_f16_e64 vcc_lo, v13, 0x1f8
	s_delay_alu instid0(VALU_DEP_2) | instskip(NEXT) | instid1(VALU_DEP_1)
	v_cvt_i32_f32_e32 v17, v14
	v_ashrrev_i32_e32 v14, 31, v17
	v_cndmask_b32_e32 v13, -1, v17, vcc_lo
	s_delay_alu instid0(VALU_DEP_2) | instskip(NEXT) | instid1(VALU_DEP_1)
	v_dual_mov_b32 v17, 0 :: v_dual_cndmask_b32 v14, -1, v14
	v_cmpx_lt_i64_e32 -1, v[13:14]
	s_cbranch_execz .LBB63_255
; %bb.244:
	v_mov_b32_e32 v17, 1.0
	s_mov_b32 s14, exec_lo
	v_cmpx_lt_i64_e32 0, v[13:14]
	s_cbranch_execz .LBB63_254
; %bb.245:
	v_cvt_f32_f16_e32 v21, v15
                                        ; implicit-def: $vgpr17
	s_mov_b32 s10, exec_lo
	v_cmpx_ne_u64_e32 1, v[13:14]
	s_xor_b32 s16, exec_lo, s10
	s_cbranch_execz .LBB63_251
; %bb.246:
	v_mov_b32_e32 v17, 0x7fc00000
	s_mov_b32 s17, exec_lo
	v_cmpx_gt_u64_e32 0x81, v[13:14]
	s_cbranch_execz .LBB63_250
; %bb.247:
	v_dual_add_f32 v21, v21, v21 :: v_dual_mov_b32 v22, 1.0
	v_lshlrev_b64 v[13:14], 1, v[13:14]
	s_mov_b64 s[10:11], 2
	s_mov_b32 s18, 0
	s_delay_alu instid0(VALU_DEP_2)
	v_mov_b32_e32 v17, v21
	.p2align	6
.LBB63_248:                             ; =>This Inner Loop Header: Depth=1
	s_clz_i32_u32 s19, s11
	s_delay_alu instid0(SALU_CYCLE_1) | instskip(NEXT) | instid1(SALU_CYCLE_1)
	s_min_u32 s19, s19, 32
	s_lshl_b64 s[20:21], s[10:11], s19
	s_sub_i32 s19, 32, s19
	s_min_u32 s20, s20, 1
	s_delay_alu instid0(SALU_CYCLE_1) | instskip(SKIP_3) | instid1(SALU_CYCLE_1)
	s_or_b32 s20, s21, s20
	s_add_u32 s10, s10, 2
	v_cvt_f32_u32_e32 v26, s20
	s_addc_u32 s11, s11, 0
	v_cmp_ge_u64_e32 vcc_lo, s[10:11], v[13:14]
	s_delay_alu instid0(VALU_DEP_2) | instskip(SKIP_1) | instid1(VALU_DEP_1)
	v_ldexp_f32 v26, v26, s19
	s_or_b32 s18, vcc_lo, s18
	v_mul_f32_e32 v26, v22, v26
	v_mov_b32_e32 v22, v17
	s_delay_alu instid0(VALU_DEP_2)
	v_fma_f32 v17, v21, v17, -v26
	s_and_not1_b32 exec_lo, exec_lo, s18
	s_cbranch_execnz .LBB63_248
; %bb.249:
	s_or_b32 exec_lo, exec_lo, s18
.LBB63_250:
	s_delay_alu instid0(SALU_CYCLE_1)
	s_or_b32 exec_lo, exec_lo, s17
                                        ; implicit-def: $vgpr21
.LBB63_251:
	s_and_not1_saveexec_b32 s10, s16
; %bb.252:
	v_add_f32_e32 v17, v21, v21
; %bb.253:
	s_or_b32 exec_lo, exec_lo, s10
.LBB63_254:
	s_delay_alu instid0(SALU_CYCLE_1)
	s_or_b32 exec_lo, exec_lo, s14
.LBB63_255:
	s_delay_alu instid0(SALU_CYCLE_1) | instskip(SKIP_2) | instid1(VALU_DEP_1)
	s_or_b32 exec_lo, exec_lo, s13
	v_cvt_f16_f32_e32 v13, v18
	s_mov_b32 s13, exec_lo
	v_cvt_f32_f16_e32 v14, v13
	v_cmp_class_f16_e64 vcc_lo, v13, 0x1f8
	s_delay_alu instid0(VALU_DEP_2) | instskip(NEXT) | instid1(VALU_DEP_1)
	v_cvt_i32_f32_e32 v18, v14
	v_ashrrev_i32_e32 v14, 31, v18
	v_dual_cndmask_b32 v13, -1, v18 :: v_dual_mov_b32 v18, 0
	s_delay_alu instid0(VALU_DEP_2) | instskip(NEXT) | instid1(VALU_DEP_1)
	v_cndmask_b32_e32 v14, -1, v14, vcc_lo
	v_cmpx_lt_i64_e32 -1, v[13:14]
	s_cbranch_execz .LBB63_267
; %bb.256:
	v_mov_b32_e32 v18, 1.0
	s_mov_b32 s14, exec_lo
	v_cmpx_lt_i64_e32 0, v[13:14]
	s_cbranch_execz .LBB63_266
; %bb.257:
	v_lshrrev_b32_e32 v15, 16, v15
                                        ; implicit-def: $vgpr18
	s_mov_b32 s10, exec_lo
	s_delay_alu instid0(VALU_DEP_1)
	v_cvt_f32_f16_e32 v15, v15
	v_cmpx_ne_u64_e32 1, v[13:14]
	s_xor_b32 s16, exec_lo, s10
	s_cbranch_execz .LBB63_263
; %bb.258:
	v_mov_b32_e32 v18, 0x7fc00000
	s_mov_b32 s17, exec_lo
	v_cmpx_gt_u64_e32 0x81, v[13:14]
	s_cbranch_execz .LBB63_262
; %bb.259:
	v_add_f32_e32 v15, v15, v15
	v_lshlrev_b64 v[13:14], 1, v[13:14]
	v_mov_b32_e32 v21, 1.0
	s_mov_b64 s[10:11], 2
	s_mov_b32 s18, 0
	v_mov_b32_e32 v18, v15
	.p2align	6
.LBB63_260:                             ; =>This Inner Loop Header: Depth=1
	s_clz_i32_u32 s19, s11
	s_delay_alu instid0(SALU_CYCLE_1) | instskip(NEXT) | instid1(SALU_CYCLE_1)
	s_min_u32 s19, s19, 32
	s_lshl_b64 s[20:21], s[10:11], s19
	s_sub_i32 s19, 32, s19
	s_min_u32 s20, s20, 1
	s_delay_alu instid0(SALU_CYCLE_1) | instskip(SKIP_3) | instid1(SALU_CYCLE_1)
	s_or_b32 s20, s21, s20
	s_add_u32 s10, s10, 2
	v_cvt_f32_u32_e32 v22, s20
	s_addc_u32 s11, s11, 0
	v_cmp_ge_u64_e32 vcc_lo, s[10:11], v[13:14]
	s_delay_alu instid0(VALU_DEP_2) | instskip(SKIP_1) | instid1(VALU_DEP_1)
	v_ldexp_f32 v22, v22, s19
	s_or_b32 s18, vcc_lo, s18
	v_dual_mul_f32 v22, v21, v22 :: v_dual_mov_b32 v21, v18
	s_delay_alu instid0(VALU_DEP_1)
	v_fma_f32 v18, v15, v18, -v22
	s_and_not1_b32 exec_lo, exec_lo, s18
	s_cbranch_execnz .LBB63_260
; %bb.261:
	s_or_b32 exec_lo, exec_lo, s18
.LBB63_262:
	s_delay_alu instid0(SALU_CYCLE_1)
	s_or_b32 exec_lo, exec_lo, s17
                                        ; implicit-def: $vgpr15
.LBB63_263:
	s_and_not1_saveexec_b32 s10, s16
; %bb.264:
	v_add_f32_e32 v18, v15, v15
; %bb.265:
	s_or_b32 exec_lo, exec_lo, s10
.LBB63_266:
	s_delay_alu instid0(SALU_CYCLE_1)
	s_or_b32 exec_lo, exec_lo, s14
.LBB63_267:
	s_delay_alu instid0(SALU_CYCLE_1) | instskip(SKIP_2) | instid1(VALU_DEP_1)
	s_or_b32 exec_lo, exec_lo, s13
	v_cvt_f16_f32_e32 v13, v19
	s_mov_b32 s13, exec_lo
	v_cvt_f32_f16_e32 v14, v13
	v_cmp_class_f16_e64 vcc_lo, v13, 0x1f8
	s_delay_alu instid0(VALU_DEP_2) | instskip(NEXT) | instid1(VALU_DEP_1)
	v_cvt_i32_f32_e32 v15, v14
	v_ashrrev_i32_e32 v14, 31, v15
	v_cndmask_b32_e32 v13, -1, v15, vcc_lo
	s_delay_alu instid0(VALU_DEP_2) | instskip(NEXT) | instid1(VALU_DEP_1)
	v_dual_mov_b32 v15, 0 :: v_dual_cndmask_b32 v14, -1, v14
	v_cmpx_lt_i64_e32 -1, v[13:14]
	s_cbranch_execz .LBB63_279
; %bb.268:
	v_mov_b32_e32 v15, 1.0
	s_mov_b32 s14, exec_lo
	v_cmpx_lt_i64_e32 0, v[13:14]
	s_cbranch_execz .LBB63_278
; %bb.269:
	v_cvt_f32_f16_e32 v19, v16
                                        ; implicit-def: $vgpr15
	s_mov_b32 s10, exec_lo
	v_cmpx_ne_u64_e32 1, v[13:14]
	s_xor_b32 s16, exec_lo, s10
	s_cbranch_execz .LBB63_275
; %bb.270:
	v_mov_b32_e32 v15, 0x7fc00000
	s_mov_b32 s17, exec_lo
	v_cmpx_gt_u64_e32 0x81, v[13:14]
	s_cbranch_execz .LBB63_274
; %bb.271:
	v_add_f32_e32 v19, v19, v19
	v_lshlrev_b64 v[13:14], 1, v[13:14]
	v_mov_b32_e32 v21, 1.0
	s_mov_b64 s[10:11], 2
	s_mov_b32 s18, 0
	v_mov_b32_e32 v15, v19
	.p2align	6
.LBB63_272:                             ; =>This Inner Loop Header: Depth=1
	s_clz_i32_u32 s19, s11
	s_delay_alu instid0(SALU_CYCLE_1) | instskip(NEXT) | instid1(SALU_CYCLE_1)
	s_min_u32 s19, s19, 32
	s_lshl_b64 s[20:21], s[10:11], s19
	s_sub_i32 s19, 32, s19
	s_min_u32 s20, s20, 1
	s_delay_alu instid0(SALU_CYCLE_1) | instskip(SKIP_3) | instid1(SALU_CYCLE_1)
	s_or_b32 s20, s21, s20
	s_add_u32 s10, s10, 2
	v_cvt_f32_u32_e32 v22, s20
	s_addc_u32 s11, s11, 0
	v_cmp_ge_u64_e32 vcc_lo, s[10:11], v[13:14]
	s_delay_alu instid0(VALU_DEP_2) | instskip(SKIP_1) | instid1(VALU_DEP_1)
	v_ldexp_f32 v22, v22, s19
	s_or_b32 s18, vcc_lo, s18
	v_dual_mul_f32 v22, v21, v22 :: v_dual_mov_b32 v21, v15
	s_delay_alu instid0(VALU_DEP_1)
	v_fma_f32 v15, v19, v15, -v22
	s_and_not1_b32 exec_lo, exec_lo, s18
	s_cbranch_execnz .LBB63_272
; %bb.273:
	s_or_b32 exec_lo, exec_lo, s18
.LBB63_274:
	s_delay_alu instid0(SALU_CYCLE_1)
	s_or_b32 exec_lo, exec_lo, s17
                                        ; implicit-def: $vgpr19
.LBB63_275:
	s_and_not1_saveexec_b32 s10, s16
; %bb.276:
	v_add_f32_e32 v15, v19, v19
; %bb.277:
	s_or_b32 exec_lo, exec_lo, s10
.LBB63_278:
	s_delay_alu instid0(SALU_CYCLE_1)
	s_or_b32 exec_lo, exec_lo, s14
.LBB63_279:
	s_delay_alu instid0(SALU_CYCLE_1) | instskip(SKIP_2) | instid1(VALU_DEP_1)
	s_or_b32 exec_lo, exec_lo, s13
	v_cvt_f16_f32_e32 v13, v20
	s_mov_b32 s13, exec_lo
	v_cvt_f32_f16_e32 v14, v13
	v_cmp_class_f16_e64 vcc_lo, v13, 0x1f8
	s_delay_alu instid0(VALU_DEP_2) | instskip(NEXT) | instid1(VALU_DEP_1)
	v_cvt_i32_f32_e32 v19, v14
	v_ashrrev_i32_e32 v14, 31, v19
	v_cndmask_b32_e32 v13, -1, v19, vcc_lo
	s_delay_alu instid0(VALU_DEP_2) | instskip(NEXT) | instid1(VALU_DEP_1)
	v_dual_mov_b32 v19, 0 :: v_dual_cndmask_b32 v14, -1, v14
	v_cmpx_lt_i64_e32 -1, v[13:14]
	s_cbranch_execz .LBB63_291
; %bb.280:
	v_mov_b32_e32 v19, 1.0
	s_mov_b32 s14, exec_lo
	v_cmpx_lt_i64_e32 0, v[13:14]
	s_cbranch_execz .LBB63_290
; %bb.281:
	v_lshrrev_b32_e32 v16, 16, v16
                                        ; implicit-def: $vgpr19
	s_mov_b32 s10, exec_lo
	s_delay_alu instid0(VALU_DEP_1)
	v_cvt_f32_f16_e32 v16, v16
	v_cmpx_ne_u64_e32 1, v[13:14]
	s_xor_b32 s16, exec_lo, s10
	s_cbranch_execz .LBB63_287
; %bb.282:
	v_mov_b32_e32 v19, 0x7fc00000
	s_mov_b32 s17, exec_lo
	v_cmpx_gt_u64_e32 0x81, v[13:14]
	s_cbranch_execz .LBB63_286
; %bb.283:
	v_add_f32_e32 v16, v16, v16
	v_lshlrev_b64 v[13:14], 1, v[13:14]
	v_mov_b32_e32 v20, 1.0
	s_mov_b64 s[10:11], 2
	s_mov_b32 s18, 0
	v_mov_b32_e32 v19, v16
	.p2align	6
.LBB63_284:                             ; =>This Inner Loop Header: Depth=1
	s_clz_i32_u32 s19, s11
	s_delay_alu instid0(SALU_CYCLE_1) | instskip(NEXT) | instid1(SALU_CYCLE_1)
	s_min_u32 s19, s19, 32
	s_lshl_b64 s[20:21], s[10:11], s19
	s_sub_i32 s19, 32, s19
	s_min_u32 s20, s20, 1
	s_delay_alu instid0(SALU_CYCLE_1) | instskip(SKIP_3) | instid1(SALU_CYCLE_1)
	s_or_b32 s20, s21, s20
	s_add_u32 s10, s10, 2
	v_cvt_f32_u32_e32 v21, s20
	s_addc_u32 s11, s11, 0
	v_cmp_ge_u64_e32 vcc_lo, s[10:11], v[13:14]
	s_delay_alu instid0(VALU_DEP_2) | instskip(SKIP_1) | instid1(VALU_DEP_1)
	v_ldexp_f32 v21, v21, s19
	s_or_b32 s18, vcc_lo, s18
	v_dual_mul_f32 v21, v20, v21 :: v_dual_mov_b32 v20, v19
	s_delay_alu instid0(VALU_DEP_1)
	v_fma_f32 v19, v16, v19, -v21
	s_and_not1_b32 exec_lo, exec_lo, s18
	s_cbranch_execnz .LBB63_284
; %bb.285:
	s_or_b32 exec_lo, exec_lo, s18
.LBB63_286:
	s_delay_alu instid0(SALU_CYCLE_1)
	s_or_b32 exec_lo, exec_lo, s17
                                        ; implicit-def: $vgpr16
.LBB63_287:
	s_and_not1_saveexec_b32 s10, s16
; %bb.288:
	v_add_f32_e32 v19, v16, v16
; %bb.289:
	s_or_b32 exec_lo, exec_lo, s10
.LBB63_290:
	s_delay_alu instid0(SALU_CYCLE_1)
	s_or_b32 exec_lo, exec_lo, s14
.LBB63_291:
	s_delay_alu instid0(SALU_CYCLE_1) | instskip(SKIP_4) | instid1(VALU_DEP_2)
	s_or_b32 exec_lo, exec_lo, s13
	s_waitcnt vmcnt(1)
	v_cvt_f16_f32_e32 v9, v9
	v_mov_b32_e32 v16, 0
	s_mov_b32 s13, exec_lo
	v_cvt_f32_f16_e32 v13, v9
	v_cmp_class_f16_e64 vcc_lo, v9, 0x1f8
	s_delay_alu instid0(VALU_DEP_2) | instskip(NEXT) | instid1(VALU_DEP_1)
	v_cvt_i32_f32_e32 v13, v13
	v_ashrrev_i32_e32 v14, 31, v13
	s_delay_alu instid0(VALU_DEP_1) | instskip(NEXT) | instid1(VALU_DEP_1)
	v_dual_cndmask_b32 v13, -1, v13 :: v_dual_cndmask_b32 v14, -1, v14
	v_cmpx_lt_i64_e32 -1, v[13:14]
	s_cbranch_execz .LBB63_303
; %bb.292:
	v_mov_b32_e32 v16, 1.0
	s_mov_b32 s14, exec_lo
	v_cmpx_lt_i64_e32 0, v[13:14]
	s_cbranch_execz .LBB63_302
; %bb.293:
	v_cvt_f32_f16_e32 v9, v1
                                        ; implicit-def: $vgpr16
	s_mov_b32 s10, exec_lo
	v_cmpx_ne_u64_e32 1, v[13:14]
	s_xor_b32 s16, exec_lo, s10
	s_cbranch_execz .LBB63_299
; %bb.294:
	v_mov_b32_e32 v16, 0x7fc00000
	s_mov_b32 s17, exec_lo
	v_cmpx_gt_u64_e32 0x81, v[13:14]
	s_cbranch_execz .LBB63_298
; %bb.295:
	v_dual_add_f32 v9, v9, v9 :: v_dual_mov_b32 v20, 1.0
	v_lshlrev_b64 v[13:14], 1, v[13:14]
	s_mov_b64 s[10:11], 2
	s_mov_b32 s18, 0
	s_delay_alu instid0(VALU_DEP_2)
	v_mov_b32_e32 v16, v9
	.p2align	6
.LBB63_296:                             ; =>This Inner Loop Header: Depth=1
	s_clz_i32_u32 s19, s11
	s_delay_alu instid0(SALU_CYCLE_1) | instskip(NEXT) | instid1(SALU_CYCLE_1)
	s_min_u32 s19, s19, 32
	s_lshl_b64 s[20:21], s[10:11], s19
	s_sub_i32 s19, 32, s19
	s_min_u32 s20, s20, 1
	s_delay_alu instid0(SALU_CYCLE_1) | instskip(SKIP_3) | instid1(SALU_CYCLE_1)
	s_or_b32 s20, s21, s20
	s_add_u32 s10, s10, 2
	v_cvt_f32_u32_e32 v21, s20
	s_addc_u32 s11, s11, 0
	v_cmp_ge_u64_e32 vcc_lo, s[10:11], v[13:14]
	s_delay_alu instid0(VALU_DEP_2) | instskip(SKIP_1) | instid1(VALU_DEP_1)
	v_ldexp_f32 v21, v21, s19
	s_or_b32 s18, vcc_lo, s18
	v_mul_f32_e32 v21, v20, v21
	v_mov_b32_e32 v20, v16
	s_delay_alu instid0(VALU_DEP_2)
	v_fma_f32 v16, v9, v16, -v21
	s_and_not1_b32 exec_lo, exec_lo, s18
	s_cbranch_execnz .LBB63_296
; %bb.297:
	s_or_b32 exec_lo, exec_lo, s18
.LBB63_298:
	s_delay_alu instid0(SALU_CYCLE_1)
	s_or_b32 exec_lo, exec_lo, s17
                                        ; implicit-def: $vgpr9
.LBB63_299:
	s_and_not1_saveexec_b32 s10, s16
; %bb.300:
	v_add_f32_e32 v16, v9, v9
; %bb.301:
	s_or_b32 exec_lo, exec_lo, s10
.LBB63_302:
	s_delay_alu instid0(SALU_CYCLE_1)
	s_or_b32 exec_lo, exec_lo, s14
.LBB63_303:
	s_delay_alu instid0(SALU_CYCLE_1) | instskip(SKIP_2) | instid1(VALU_DEP_1)
	s_or_b32 exec_lo, exec_lo, s13
	v_cvt_f16_f32_e32 v9, v10
	s_mov_b32 s13, exec_lo
	v_cvt_f32_f16_e32 v10, v9
	v_cmp_class_f16_e64 vcc_lo, v9, 0x1f8
	s_delay_alu instid0(VALU_DEP_2) | instskip(NEXT) | instid1(VALU_DEP_1)
	v_cvt_i32_f32_e32 v13, v10
	v_ashrrev_i32_e32 v10, 31, v13
	v_cndmask_b32_e32 v9, -1, v13, vcc_lo
	s_delay_alu instid0(VALU_DEP_2) | instskip(NEXT) | instid1(VALU_DEP_1)
	v_dual_mov_b32 v13, 0 :: v_dual_cndmask_b32 v10, -1, v10
	v_cmpx_lt_i64_e32 -1, v[9:10]
	s_cbranch_execz .LBB63_315
; %bb.304:
	v_mov_b32_e32 v13, 1.0
	s_mov_b32 s14, exec_lo
	v_cmpx_lt_i64_e32 0, v[9:10]
	s_cbranch_execz .LBB63_314
; %bb.305:
	v_lshrrev_b32_e32 v1, 16, v1
                                        ; implicit-def: $vgpr13
	s_mov_b32 s10, exec_lo
	s_delay_alu instid0(VALU_DEP_1)
	v_cvt_f32_f16_e32 v1, v1
	v_cmpx_ne_u64_e32 1, v[9:10]
	s_xor_b32 s16, exec_lo, s10
	s_cbranch_execz .LBB63_311
; %bb.306:
	v_mov_b32_e32 v13, 0x7fc00000
	s_mov_b32 s17, exec_lo
	v_cmpx_gt_u64_e32 0x81, v[9:10]
	s_cbranch_execz .LBB63_310
; %bb.307:
	v_dual_add_f32 v1, v1, v1 :: v_dual_mov_b32 v14, 1.0
	v_lshlrev_b64 v[9:10], 1, v[9:10]
	s_mov_b64 s[10:11], 2
	s_mov_b32 s18, 0
	s_delay_alu instid0(VALU_DEP_2)
	v_mov_b32_e32 v13, v1
	.p2align	6
.LBB63_308:                             ; =>This Inner Loop Header: Depth=1
	s_clz_i32_u32 s19, s11
	s_delay_alu instid0(SALU_CYCLE_1) | instskip(NEXT) | instid1(SALU_CYCLE_1)
	s_min_u32 s19, s19, 32
	s_lshl_b64 s[20:21], s[10:11], s19
	s_sub_i32 s19, 32, s19
	s_min_u32 s20, s20, 1
	s_delay_alu instid0(SALU_CYCLE_1) | instskip(SKIP_3) | instid1(SALU_CYCLE_1)
	s_or_b32 s20, s21, s20
	s_add_u32 s10, s10, 2
	v_cvt_f32_u32_e32 v20, s20
	s_addc_u32 s11, s11, 0
	v_cmp_ge_u64_e32 vcc_lo, s[10:11], v[9:10]
	s_delay_alu instid0(VALU_DEP_2) | instskip(SKIP_1) | instid1(VALU_DEP_1)
	v_ldexp_f32 v20, v20, s19
	s_or_b32 s18, vcc_lo, s18
	v_mul_f32_e32 v20, v14, v20
	v_mov_b32_e32 v14, v13
	s_delay_alu instid0(VALU_DEP_2)
	v_fma_f32 v13, v1, v13, -v20
	s_and_not1_b32 exec_lo, exec_lo, s18
	s_cbranch_execnz .LBB63_308
; %bb.309:
	s_or_b32 exec_lo, exec_lo, s18
.LBB63_310:
	s_delay_alu instid0(SALU_CYCLE_1)
	s_or_b32 exec_lo, exec_lo, s17
                                        ; implicit-def: $vgpr1
.LBB63_311:
	s_and_not1_saveexec_b32 s10, s16
; %bb.312:
	v_add_f32_e32 v13, v1, v1
; %bb.313:
	s_or_b32 exec_lo, exec_lo, s10
.LBB63_314:
	s_delay_alu instid0(SALU_CYCLE_1)
	s_or_b32 exec_lo, exec_lo, s14
.LBB63_315:
	s_delay_alu instid0(SALU_CYCLE_1) | instskip(SKIP_3) | instid1(VALU_DEP_2)
	s_or_b32 exec_lo, exec_lo, s13
	v_cvt_f16_f32_e32 v1, v11
	v_mov_b32_e32 v11, 0
	s_mov_b32 s13, exec_lo
	v_cvt_f32_f16_e32 v9, v1
	v_cmp_class_f16_e64 vcc_lo, v1, 0x1f8
	s_delay_alu instid0(VALU_DEP_2) | instskip(NEXT) | instid1(VALU_DEP_1)
	v_cvt_i32_f32_e32 v9, v9
	v_ashrrev_i32_e32 v10, 31, v9
	s_delay_alu instid0(VALU_DEP_1) | instskip(NEXT) | instid1(VALU_DEP_1)
	v_dual_cndmask_b32 v9, -1, v9 :: v_dual_cndmask_b32 v10, -1, v10
	v_cmpx_lt_i64_e32 -1, v[9:10]
	s_cbranch_execz .LBB63_327
; %bb.316:
	v_mov_b32_e32 v11, 1.0
	s_mov_b32 s14, exec_lo
	v_cmpx_lt_i64_e32 0, v[9:10]
	s_cbranch_execz .LBB63_326
; %bb.317:
	v_cvt_f32_f16_e32 v1, v2
                                        ; implicit-def: $vgpr11
	s_mov_b32 s10, exec_lo
	v_cmpx_ne_u64_e32 1, v[9:10]
	s_xor_b32 s16, exec_lo, s10
	s_cbranch_execz .LBB63_323
; %bb.318:
	v_mov_b32_e32 v11, 0x7fc00000
	s_mov_b32 s17, exec_lo
	v_cmpx_gt_u64_e32 0x81, v[9:10]
	s_cbranch_execz .LBB63_322
; %bb.319:
	v_dual_add_f32 v1, v1, v1 :: v_dual_mov_b32 v14, 1.0
	v_lshlrev_b64 v[9:10], 1, v[9:10]
	s_mov_b64 s[10:11], 2
	s_mov_b32 s18, 0
	s_delay_alu instid0(VALU_DEP_2)
	v_mov_b32_e32 v11, v1
	.p2align	6
.LBB63_320:                             ; =>This Inner Loop Header: Depth=1
	s_clz_i32_u32 s19, s11
	s_delay_alu instid0(SALU_CYCLE_1) | instskip(NEXT) | instid1(SALU_CYCLE_1)
	s_min_u32 s19, s19, 32
	s_lshl_b64 s[20:21], s[10:11], s19
	s_sub_i32 s19, 32, s19
	s_min_u32 s20, s20, 1
	s_delay_alu instid0(SALU_CYCLE_1) | instskip(SKIP_3) | instid1(SALU_CYCLE_1)
	s_or_b32 s20, s21, s20
	s_add_u32 s10, s10, 2
	v_cvt_f32_u32_e32 v20, s20
	s_addc_u32 s11, s11, 0
	v_cmp_ge_u64_e32 vcc_lo, s[10:11], v[9:10]
	s_delay_alu instid0(VALU_DEP_2) | instskip(SKIP_1) | instid1(VALU_DEP_1)
	v_ldexp_f32 v20, v20, s19
	s_or_b32 s18, vcc_lo, s18
	v_mul_f32_e32 v20, v14, v20
	v_mov_b32_e32 v14, v11
	s_delay_alu instid0(VALU_DEP_2)
	v_fma_f32 v11, v1, v11, -v20
	s_and_not1_b32 exec_lo, exec_lo, s18
	s_cbranch_execnz .LBB63_320
; %bb.321:
	s_or_b32 exec_lo, exec_lo, s18
.LBB63_322:
	s_delay_alu instid0(SALU_CYCLE_1)
	s_or_b32 exec_lo, exec_lo, s17
                                        ; implicit-def: $vgpr1
.LBB63_323:
	s_and_not1_saveexec_b32 s10, s16
; %bb.324:
	v_add_f32_e32 v11, v1, v1
; %bb.325:
	s_or_b32 exec_lo, exec_lo, s10
.LBB63_326:
	s_delay_alu instid0(SALU_CYCLE_1)
	s_or_b32 exec_lo, exec_lo, s14
.LBB63_327:
	s_delay_alu instid0(SALU_CYCLE_1) | instskip(SKIP_3) | instid1(VALU_DEP_2)
	s_or_b32 exec_lo, exec_lo, s13
	v_cvt_f16_f32_e32 v1, v12
	v_mov_b32_e32 v12, 0
	s_mov_b32 s13, exec_lo
	v_cvt_f32_f16_e32 v9, v1
	v_cmp_class_f16_e64 vcc_lo, v1, 0x1f8
	s_delay_alu instid0(VALU_DEP_2) | instskip(NEXT) | instid1(VALU_DEP_1)
	v_cvt_i32_f32_e32 v9, v9
	v_ashrrev_i32_e32 v10, 31, v9
	s_delay_alu instid0(VALU_DEP_1) | instskip(NEXT) | instid1(VALU_DEP_1)
	v_dual_cndmask_b32 v9, -1, v9 :: v_dual_cndmask_b32 v10, -1, v10
	v_cmpx_lt_i64_e32 -1, v[9:10]
	s_cbranch_execz .LBB63_339
; %bb.328:
	v_mov_b32_e32 v12, 1.0
	s_mov_b32 s14, exec_lo
	v_cmpx_lt_i64_e32 0, v[9:10]
	s_cbranch_execz .LBB63_338
; %bb.329:
	v_lshrrev_b32_e32 v1, 16, v2
                                        ; implicit-def: $vgpr12
	s_mov_b32 s10, exec_lo
	s_delay_alu instid0(VALU_DEP_1)
	v_cvt_f32_f16_e32 v1, v1
	v_cmpx_ne_u64_e32 1, v[9:10]
	s_xor_b32 s16, exec_lo, s10
	s_cbranch_execz .LBB63_335
; %bb.330:
	v_mov_b32_e32 v12, 0x7fc00000
	s_mov_b32 s17, exec_lo
	v_cmpx_gt_u64_e32 0x81, v[9:10]
	s_cbranch_execz .LBB63_334
; %bb.331:
	v_add_f32_e32 v14, v1, v1
	v_lshlrev_b64 v[1:2], 1, v[9:10]
	v_mov_b32_e32 v9, 1.0
	s_mov_b64 s[10:11], 2
	s_mov_b32 s18, 0
	v_mov_b32_e32 v12, v14
	.p2align	6
.LBB63_332:                             ; =>This Inner Loop Header: Depth=1
	s_clz_i32_u32 s19, s11
	s_delay_alu instid0(SALU_CYCLE_1) | instskip(NEXT) | instid1(SALU_CYCLE_1)
	s_min_u32 s19, s19, 32
	s_lshl_b64 s[20:21], s[10:11], s19
	s_sub_i32 s19, 32, s19
	s_min_u32 s20, s20, 1
	s_delay_alu instid0(SALU_CYCLE_1) | instskip(SKIP_3) | instid1(SALU_CYCLE_1)
	s_or_b32 s20, s21, s20
	s_add_u32 s10, s10, 2
	v_cvt_f32_u32_e32 v10, s20
	s_addc_u32 s11, s11, 0
	v_cmp_ge_u64_e32 vcc_lo, s[10:11], v[1:2]
	s_delay_alu instid0(VALU_DEP_2) | instskip(SKIP_1) | instid1(VALU_DEP_1)
	v_ldexp_f32 v10, v10, s19
	s_or_b32 s18, vcc_lo, s18
	v_dual_mul_f32 v10, v9, v10 :: v_dual_mov_b32 v9, v12
	s_delay_alu instid0(VALU_DEP_1)
	v_fma_f32 v12, v14, v12, -v10
	s_and_not1_b32 exec_lo, exec_lo, s18
	s_cbranch_execnz .LBB63_332
; %bb.333:
	s_or_b32 exec_lo, exec_lo, s18
.LBB63_334:
	s_delay_alu instid0(SALU_CYCLE_1)
	s_or_b32 exec_lo, exec_lo, s17
                                        ; implicit-def: $vgpr1
.LBB63_335:
	s_and_not1_saveexec_b32 s10, s16
; %bb.336:
	v_add_f32_e32 v12, v1, v1
; %bb.337:
	s_or_b32 exec_lo, exec_lo, s10
.LBB63_338:
	s_delay_alu instid0(SALU_CYCLE_1)
	s_or_b32 exec_lo, exec_lo, s14
.LBB63_339:
	s_delay_alu instid0(SALU_CYCLE_1) | instskip(SKIP_3) | instid1(VALU_DEP_1)
	s_or_b32 exec_lo, exec_lo, s13
	s_waitcnt vmcnt(0)
	v_cvt_f16_f32_e32 v1, v5
	s_mov_b32 s13, exec_lo
	v_cvt_f32_f16_e32 v2, v1
	v_cmp_class_f16_e64 vcc_lo, v1, 0x1f8
	s_delay_alu instid0(VALU_DEP_2) | instskip(NEXT) | instid1(VALU_DEP_1)
	v_cvt_i32_f32_e32 v5, v2
	v_ashrrev_i32_e32 v2, 31, v5
	v_cndmask_b32_e32 v1, -1, v5, vcc_lo
	s_delay_alu instid0(VALU_DEP_2) | instskip(NEXT) | instid1(VALU_DEP_1)
	v_dual_mov_b32 v5, 0 :: v_dual_cndmask_b32 v2, -1, v2
	v_cmpx_lt_i64_e32 -1, v[1:2]
	s_cbranch_execz .LBB63_351
; %bb.340:
	v_mov_b32_e32 v5, 1.0
	s_mov_b32 s14, exec_lo
	v_cmpx_lt_i64_e32 0, v[1:2]
	s_cbranch_execz .LBB63_350
; %bb.341:
	v_cvt_f32_f16_e32 v9, v3
                                        ; implicit-def: $vgpr5
	s_mov_b32 s10, exec_lo
	v_cmpx_ne_u64_e32 1, v[1:2]
	s_xor_b32 s16, exec_lo, s10
	s_cbranch_execz .LBB63_347
; %bb.342:
	v_mov_b32_e32 v5, 0x7fc00000
	s_mov_b32 s17, exec_lo
	v_cmpx_gt_u64_e32 0x81, v[1:2]
	s_cbranch_execz .LBB63_346
; %bb.343:
	v_dual_add_f32 v9, v9, v9 :: v_dual_mov_b32 v10, 1.0
	v_lshlrev_b64 v[1:2], 1, v[1:2]
	s_mov_b64 s[10:11], 2
	s_mov_b32 s18, 0
	s_delay_alu instid0(VALU_DEP_2)
	v_mov_b32_e32 v5, v9
	.p2align	6
.LBB63_344:                             ; =>This Inner Loop Header: Depth=1
	s_clz_i32_u32 s19, s11
	s_delay_alu instid0(SALU_CYCLE_1) | instskip(NEXT) | instid1(SALU_CYCLE_1)
	s_min_u32 s19, s19, 32
	s_lshl_b64 s[20:21], s[10:11], s19
	s_sub_i32 s19, 32, s19
	s_min_u32 s20, s20, 1
	s_delay_alu instid0(SALU_CYCLE_1) | instskip(SKIP_3) | instid1(SALU_CYCLE_1)
	s_or_b32 s20, s21, s20
	s_add_u32 s10, s10, 2
	v_cvt_f32_u32_e32 v14, s20
	s_addc_u32 s11, s11, 0
	v_cmp_ge_u64_e32 vcc_lo, s[10:11], v[1:2]
	s_delay_alu instid0(VALU_DEP_2) | instskip(SKIP_1) | instid1(VALU_DEP_1)
	v_ldexp_f32 v14, v14, s19
	s_or_b32 s18, vcc_lo, s18
	v_mul_f32_e32 v14, v10, v14
	v_mov_b32_e32 v10, v5
	s_delay_alu instid0(VALU_DEP_2)
	v_fma_f32 v5, v9, v5, -v14
	s_and_not1_b32 exec_lo, exec_lo, s18
	s_cbranch_execnz .LBB63_344
; %bb.345:
	s_or_b32 exec_lo, exec_lo, s18
.LBB63_346:
	s_delay_alu instid0(SALU_CYCLE_1)
	s_or_b32 exec_lo, exec_lo, s17
                                        ; implicit-def: $vgpr9
.LBB63_347:
	s_and_not1_saveexec_b32 s10, s16
; %bb.348:
	v_add_f32_e32 v5, v9, v9
; %bb.349:
	s_or_b32 exec_lo, exec_lo, s10
.LBB63_350:
	s_delay_alu instid0(SALU_CYCLE_1)
	s_or_b32 exec_lo, exec_lo, s14
.LBB63_351:
	s_delay_alu instid0(SALU_CYCLE_1) | instskip(SKIP_2) | instid1(VALU_DEP_1)
	s_or_b32 exec_lo, exec_lo, s13
	v_cvt_f16_f32_e32 v1, v6
	s_mov_b32 s13, exec_lo
	v_cvt_f32_f16_e32 v2, v1
	v_cmp_class_f16_e64 vcc_lo, v1, 0x1f8
	s_delay_alu instid0(VALU_DEP_2) | instskip(NEXT) | instid1(VALU_DEP_1)
	v_cvt_i32_f32_e32 v6, v2
	v_ashrrev_i32_e32 v2, 31, v6
	v_dual_cndmask_b32 v1, -1, v6 :: v_dual_mov_b32 v6, 0
	s_delay_alu instid0(VALU_DEP_2) | instskip(NEXT) | instid1(VALU_DEP_1)
	v_cndmask_b32_e32 v2, -1, v2, vcc_lo
	v_cmpx_lt_i64_e32 -1, v[1:2]
	s_cbranch_execz .LBB63_363
; %bb.352:
	v_mov_b32_e32 v6, 1.0
	s_mov_b32 s14, exec_lo
	v_cmpx_lt_i64_e32 0, v[1:2]
	s_cbranch_execz .LBB63_362
; %bb.353:
	v_lshrrev_b32_e32 v3, 16, v3
                                        ; implicit-def: $vgpr6
	s_mov_b32 s10, exec_lo
	s_delay_alu instid0(VALU_DEP_1)
	v_cvt_f32_f16_e32 v3, v3
	v_cmpx_ne_u64_e32 1, v[1:2]
	s_xor_b32 s16, exec_lo, s10
	s_cbranch_execz .LBB63_359
; %bb.354:
	v_mov_b32_e32 v6, 0x7fc00000
	s_mov_b32 s17, exec_lo
	v_cmpx_gt_u64_e32 0x81, v[1:2]
	s_cbranch_execz .LBB63_358
; %bb.355:
	v_add_f32_e32 v3, v3, v3
	v_lshlrev_b64 v[1:2], 1, v[1:2]
	v_mov_b32_e32 v9, 1.0
	s_mov_b64 s[10:11], 2
	s_mov_b32 s18, 0
	v_mov_b32_e32 v6, v3
	.p2align	6
.LBB63_356:                             ; =>This Inner Loop Header: Depth=1
	s_clz_i32_u32 s19, s11
	s_delay_alu instid0(SALU_CYCLE_1) | instskip(NEXT) | instid1(SALU_CYCLE_1)
	s_min_u32 s19, s19, 32
	s_lshl_b64 s[20:21], s[10:11], s19
	s_sub_i32 s19, 32, s19
	s_min_u32 s20, s20, 1
	s_delay_alu instid0(SALU_CYCLE_1) | instskip(SKIP_3) | instid1(SALU_CYCLE_1)
	s_or_b32 s20, s21, s20
	s_add_u32 s10, s10, 2
	v_cvt_f32_u32_e32 v10, s20
	s_addc_u32 s11, s11, 0
	v_cmp_ge_u64_e32 vcc_lo, s[10:11], v[1:2]
	s_delay_alu instid0(VALU_DEP_2) | instskip(SKIP_1) | instid1(VALU_DEP_1)
	v_ldexp_f32 v10, v10, s19
	s_or_b32 s18, vcc_lo, s18
	v_dual_mul_f32 v10, v9, v10 :: v_dual_mov_b32 v9, v6
	s_delay_alu instid0(VALU_DEP_1)
	v_fma_f32 v6, v3, v6, -v10
	s_and_not1_b32 exec_lo, exec_lo, s18
	s_cbranch_execnz .LBB63_356
; %bb.357:
	s_or_b32 exec_lo, exec_lo, s18
.LBB63_358:
	s_delay_alu instid0(SALU_CYCLE_1)
	s_or_b32 exec_lo, exec_lo, s17
                                        ; implicit-def: $vgpr3
.LBB63_359:
	s_and_not1_saveexec_b32 s10, s16
; %bb.360:
	v_add_f32_e32 v6, v3, v3
; %bb.361:
	s_or_b32 exec_lo, exec_lo, s10
.LBB63_362:
	s_delay_alu instid0(SALU_CYCLE_1)
	s_or_b32 exec_lo, exec_lo, s14
.LBB63_363:
	s_delay_alu instid0(SALU_CYCLE_1) | instskip(SKIP_2) | instid1(VALU_DEP_1)
	s_or_b32 exec_lo, exec_lo, s13
	v_cvt_f16_f32_e32 v1, v7
	s_mov_b32 s13, exec_lo
	v_cvt_f32_f16_e32 v2, v1
	v_cmp_class_f16_e64 vcc_lo, v1, 0x1f8
	s_delay_alu instid0(VALU_DEP_2) | instskip(NEXT) | instid1(VALU_DEP_1)
	v_cvt_i32_f32_e32 v3, v2
	v_ashrrev_i32_e32 v2, 31, v3
	v_cndmask_b32_e32 v1, -1, v3, vcc_lo
	s_delay_alu instid0(VALU_DEP_2) | instskip(NEXT) | instid1(VALU_DEP_1)
	v_dual_mov_b32 v3, 0 :: v_dual_cndmask_b32 v2, -1, v2
	v_cmpx_lt_i64_e32 -1, v[1:2]
	s_cbranch_execz .LBB63_375
; %bb.364:
	v_mov_b32_e32 v3, 1.0
	s_mov_b32 s14, exec_lo
	v_cmpx_lt_i64_e32 0, v[1:2]
	s_cbranch_execz .LBB63_374
; %bb.365:
	v_cvt_f32_f16_e32 v7, v4
                                        ; implicit-def: $vgpr3
	s_mov_b32 s10, exec_lo
	v_cmpx_ne_u64_e32 1, v[1:2]
	s_xor_b32 s16, exec_lo, s10
	s_cbranch_execz .LBB63_371
; %bb.366:
	v_mov_b32_e32 v3, 0x7fc00000
	s_mov_b32 s17, exec_lo
	v_cmpx_gt_u64_e32 0x81, v[1:2]
	s_cbranch_execz .LBB63_370
; %bb.367:
	v_add_f32_e32 v7, v7, v7
	v_lshlrev_b64 v[1:2], 1, v[1:2]
	v_mov_b32_e32 v9, 1.0
	s_mov_b64 s[10:11], 2
	s_mov_b32 s18, 0
	v_mov_b32_e32 v3, v7
	.p2align	6
.LBB63_368:                             ; =>This Inner Loop Header: Depth=1
	s_clz_i32_u32 s19, s11
	s_delay_alu instid0(SALU_CYCLE_1) | instskip(NEXT) | instid1(SALU_CYCLE_1)
	s_min_u32 s19, s19, 32
	s_lshl_b64 s[20:21], s[10:11], s19
	s_sub_i32 s19, 32, s19
	s_min_u32 s20, s20, 1
	s_delay_alu instid0(SALU_CYCLE_1) | instskip(SKIP_3) | instid1(SALU_CYCLE_1)
	s_or_b32 s20, s21, s20
	s_add_u32 s10, s10, 2
	v_cvt_f32_u32_e32 v10, s20
	s_addc_u32 s11, s11, 0
	v_cmp_ge_u64_e32 vcc_lo, s[10:11], v[1:2]
	s_delay_alu instid0(VALU_DEP_2) | instskip(SKIP_1) | instid1(VALU_DEP_1)
	v_ldexp_f32 v10, v10, s19
	s_or_b32 s18, vcc_lo, s18
	v_dual_mul_f32 v10, v9, v10 :: v_dual_mov_b32 v9, v3
	s_delay_alu instid0(VALU_DEP_1)
	v_fma_f32 v3, v7, v3, -v10
	s_and_not1_b32 exec_lo, exec_lo, s18
	s_cbranch_execnz .LBB63_368
; %bb.369:
	s_or_b32 exec_lo, exec_lo, s18
.LBB63_370:
	s_delay_alu instid0(SALU_CYCLE_1)
	s_or_b32 exec_lo, exec_lo, s17
                                        ; implicit-def: $vgpr7
.LBB63_371:
	s_and_not1_saveexec_b32 s10, s16
; %bb.372:
	v_add_f32_e32 v3, v7, v7
; %bb.373:
	s_or_b32 exec_lo, exec_lo, s10
.LBB63_374:
	s_delay_alu instid0(SALU_CYCLE_1)
	s_or_b32 exec_lo, exec_lo, s14
.LBB63_375:
	s_delay_alu instid0(SALU_CYCLE_1) | instskip(SKIP_2) | instid1(VALU_DEP_1)
	s_or_b32 exec_lo, exec_lo, s13
	v_cvt_f16_f32_e32 v1, v8
	s_mov_b32 s13, exec_lo
	v_cvt_f32_f16_e32 v2, v1
	v_cmp_class_f16_e64 vcc_lo, v1, 0x1f8
	s_delay_alu instid0(VALU_DEP_2) | instskip(NEXT) | instid1(VALU_DEP_1)
	v_cvt_i32_f32_e32 v7, v2
	v_ashrrev_i32_e32 v2, 31, v7
	v_cndmask_b32_e32 v1, -1, v7, vcc_lo
	s_delay_alu instid0(VALU_DEP_2) | instskip(NEXT) | instid1(VALU_DEP_1)
	v_dual_mov_b32 v7, 0 :: v_dual_cndmask_b32 v2, -1, v2
	v_cmpx_lt_i64_e32 -1, v[1:2]
	s_cbranch_execz .LBB63_387
; %bb.376:
	v_mov_b32_e32 v7, 1.0
	s_mov_b32 s14, exec_lo
	v_cmpx_lt_i64_e32 0, v[1:2]
	s_cbranch_execz .LBB63_386
; %bb.377:
	v_lshrrev_b32_e32 v4, 16, v4
                                        ; implicit-def: $vgpr7
	s_mov_b32 s10, exec_lo
	s_delay_alu instid0(VALU_DEP_1)
	v_cvt_f32_f16_e32 v4, v4
	v_cmpx_ne_u64_e32 1, v[1:2]
	s_xor_b32 s16, exec_lo, s10
	s_cbranch_execz .LBB63_383
; %bb.378:
	v_mov_b32_e32 v7, 0x7fc00000
	s_mov_b32 s17, exec_lo
	v_cmpx_gt_u64_e32 0x81, v[1:2]
	s_cbranch_execz .LBB63_382
; %bb.379:
	v_add_f32_e32 v4, v4, v4
	v_lshlrev_b64 v[1:2], 1, v[1:2]
	v_mov_b32_e32 v8, 1.0
	s_mov_b64 s[10:11], 2
	s_mov_b32 s18, 0
	v_mov_b32_e32 v7, v4
	.p2align	6
.LBB63_380:                             ; =>This Inner Loop Header: Depth=1
	s_clz_i32_u32 s19, s11
	s_delay_alu instid0(SALU_CYCLE_1) | instskip(NEXT) | instid1(SALU_CYCLE_1)
	s_min_u32 s19, s19, 32
	s_lshl_b64 s[20:21], s[10:11], s19
	s_sub_i32 s19, 32, s19
	s_min_u32 s20, s20, 1
	s_delay_alu instid0(SALU_CYCLE_1) | instskip(SKIP_3) | instid1(SALU_CYCLE_1)
	s_or_b32 s20, s21, s20
	s_add_u32 s10, s10, 2
	v_cvt_f32_u32_e32 v9, s20
	s_addc_u32 s11, s11, 0
	v_cmp_ge_u64_e32 vcc_lo, s[10:11], v[1:2]
	s_delay_alu instid0(VALU_DEP_2) | instskip(SKIP_1) | instid1(VALU_DEP_1)
	v_ldexp_f32 v9, v9, s19
	s_or_b32 s18, vcc_lo, s18
	v_dual_mul_f32 v9, v8, v9 :: v_dual_mov_b32 v8, v7
	s_delay_alu instid0(VALU_DEP_1)
	v_fma_f32 v7, v4, v7, -v9
	s_and_not1_b32 exec_lo, exec_lo, s18
	s_cbranch_execnz .LBB63_380
; %bb.381:
	s_or_b32 exec_lo, exec_lo, s18
.LBB63_382:
	s_delay_alu instid0(SALU_CYCLE_1)
	s_or_b32 exec_lo, exec_lo, s17
                                        ; implicit-def: $vgpr4
.LBB63_383:
	s_and_not1_saveexec_b32 s10, s16
; %bb.384:
	v_add_f32_e32 v7, v4, v4
; %bb.385:
	s_or_b32 exec_lo, exec_lo, s10
.LBB63_386:
	s_delay_alu instid0(SALU_CYCLE_1)
	s_or_b32 exec_lo, exec_lo, s14
.LBB63_387:
	s_delay_alu instid0(SALU_CYCLE_1)
	s_or_b32 exec_lo, exec_lo, s13
	v_cvt_f16_f32_e32 v4, v47
	v_cvt_f16_f32_e32 v8, v48
	;; [unrolled: 1-line block ×6, first 2 shown]
	v_pack_b32_f16 v32, v4, v8
	v_cvt_f16_f32_e32 v4, v40
	v_pack_b32_f16 v33, v9, v10
	v_cvt_f16_f32_e32 v8, v35
	v_cvt_f16_f32_e32 v10, v27
	v_cvt_f16_f32_e32 v21, v36
	v_cvt_f16_f32_e32 v27, v37
	v_cvt_f16_f32_e32 v1, v53
	v_cvt_f16_f32_e32 v2, v49
	v_pack_b32_f16 v34, v14, v20
	v_cvt_f16_f32_e32 v9, v29
	v_cvt_f16_f32_e32 v14, v31
	;; [unrolled: 1-line block ×3, first 2 shown]
	s_add_u32 s10, s4, s8
	v_pack_b32_f16 v36, v8, v21
	v_pack_b32_f16 v35, v4, v27
	v_cvt_f16_f32_e32 v4, v15
	v_cvt_f16_f32_e32 v8, v19
	s_addc_u32 s11, s5, s9
	v_add_co_u32 v22, s8, s10, v51
	v_pack_b32_f16 v31, v1, v2
	v_pack_b32_f16 v38, v10, v14
	;; [unrolled: 1-line block ×3, first 2 shown]
	v_cvt_f16_f32_e32 v1, v23
	v_cvt_f16_f32_e32 v2, v17
	v_cvt_f16_f32_e32 v9, v18
	v_cvt_f16_f32_e32 v14, v24
	v_add_co_ci_u32_e64 v26, null, s11, 0, s8
	v_cvt_f16_f32_e32 v15, v28
	v_cvt_f16_f32_e32 v17, v25
	v_pack_b32_f16 v10, v4, v8
	v_cvt_f16_f32_e32 v5, v5
	v_cvt_f16_f32_e32 v3, v3
	;; [unrolled: 1-line block ×4, first 2 shown]
	v_add_co_u32 v20, vcc_lo, 0x2000, v22
	v_pack_b32_f16 v9, v2, v9
	v_pack_b32_f16 v8, v1, v14
	v_cvt_f16_f32_e32 v1, v16
	v_cvt_f16_f32_e32 v2, v11
	;; [unrolled: 1-line block ×4, first 2 shown]
	v_add_co_ci_u32_e32 v21, vcc_lo, 0, v26, vcc_lo
	v_pack_b32_f16 v7, v15, v17
	v_pack_b32_f16 v4, v3, v4
	v_pack_b32_f16 v3, v5, v6
	v_add_co_u32 v5, vcc_lo, 0x6000, v22
	v_pack_b32_f16 v2, v2, v11
	v_pack_b32_f16 v1, v1, v12
	v_add_co_ci_u32_e32 v6, vcc_lo, 0, v26, vcc_lo
	s_clause 0x3
	global_store_b128 v51, v[31:34], s[10:11]
	global_store_b128 v52, v[7:10], s[10:11]
	global_store_b128 v[20:21], v[35:38], off
	global_store_b128 v[5:6], v[1:4], off
	s_branch .LBB63_2
.LBB63_388:
	s_clause 0x1
	s_load_b32 s10, s[0:1], 0x24
	s_load_b128 s[16:19], s[0:1], 0x28
	v_dual_mov_b32 v31, v0 :: v_dual_mov_b32 v0, s4
	v_dual_mov_b32 v1, s5 :: v_dual_mov_b32 v2, s6
	;; [unrolled: 1-line block ×4, first 2 shown]
	s_add_u32 s8, s0, 56
	s_addc_u32 s9, s1, 0
	s_mov_b32 s12, s15
	s_getpc_b64 s[0:1]
	s_add_u32 s0, s0, _ZN2at6native25elementwise_kernel_helperILb1ENS0_13BinaryFunctorIfffZZZNS0_12_GLOBAL__N_132hermite_polynomial_h_kernel_cudaERNS_18TensorIteratorBaseEENKUlvE_clEvENKUlvE0_clEvEUlffE_EENS0_6memory8policies11unroll_baseILi512ESt5arrayIPcLm3EE23TrivialOffsetCalculatorILi2EjESG_ILi1EjENSA_12LoadWithCastILi2EEENSA_13StoreWithCastILi1EEELi32ELi1EEEEEvT0_T1_@rel32@lo+4
	s_addc_u32 s1, s1, _ZN2at6native25elementwise_kernel_helperILb1ENS0_13BinaryFunctorIfffZZZNS0_12_GLOBAL__N_132hermite_polynomial_h_kernel_cudaERNS_18TensorIteratorBaseEENKUlvE_clEvENKUlvE0_clEvEUlffE_EENS0_6memory8policies11unroll_baseILi512ESt5arrayIPcLm3EE23TrivialOffsetCalculatorILi2EjESG_ILi1EjENSA_12LoadWithCastILi2EEENSA_13StoreWithCastILi1EEELi32ELi1EEEEEvT0_T1_@rel32@hi+12
	s_waitcnt lgkmcnt(0)
	v_lshrrev_b16 v8, 8, s10
	v_dual_mov_b32 v7, s10 :: v_dual_mov_b32 v10, s17
	v_dual_mov_b32 v9, s16 :: v_dual_mov_b32 v12, s19
	v_mov_b32_e32 v11, s18
	s_swappc_b64 s[30:31], s[0:1]
	s_endpgm
	.section	.rodata,"a",@progbits
	.p2align	6, 0x0
	.amdhsa_kernel _ZN2at6native39vectorized_templated_elementwise_kernelILi8ENS0_13BinaryFunctorIfffZZZNS0_12_GLOBAL__N_132hermite_polynomial_h_kernel_cudaERNS_18TensorIteratorBaseEENKUlvE_clEvENKUlvE0_clEvEUlffE_EESt5arrayIPcLm3EE23TrivialOffsetCalculatorILi2EjESD_ILi1EjENS0_6memory12LoadWithCastILi2EEENSG_13StoreWithCastILi1EEEN3c104HalfEJSM_fEEEviT0_T1_T2_T3_T4_T5_
		.amdhsa_group_segment_fixed_size 0
		.amdhsa_private_segment_fixed_size 272
		.amdhsa_kernarg_size 312
		.amdhsa_user_sgpr_count 15
		.amdhsa_user_sgpr_dispatch_ptr 0
		.amdhsa_user_sgpr_queue_ptr 0
		.amdhsa_user_sgpr_kernarg_segment_ptr 1
		.amdhsa_user_sgpr_dispatch_id 0
		.amdhsa_user_sgpr_private_segment_size 0
		.amdhsa_wavefront_size32 1
		.amdhsa_uses_dynamic_stack 0
		.amdhsa_enable_private_segment 1
		.amdhsa_system_sgpr_workgroup_id_x 1
		.amdhsa_system_sgpr_workgroup_id_y 0
		.amdhsa_system_sgpr_workgroup_id_z 0
		.amdhsa_system_sgpr_workgroup_info 0
		.amdhsa_system_vgpr_workitem_id 0
		.amdhsa_next_free_vgpr 68
		.amdhsa_next_free_sgpr 77
		.amdhsa_reserve_vcc 1
		.amdhsa_float_round_mode_32 0
		.amdhsa_float_round_mode_16_64 0
		.amdhsa_float_denorm_mode_32 3
		.amdhsa_float_denorm_mode_16_64 3
		.amdhsa_dx10_clamp 1
		.amdhsa_ieee_mode 1
		.amdhsa_fp16_overflow 0
		.amdhsa_workgroup_processor_mode 1
		.amdhsa_memory_ordered 1
		.amdhsa_forward_progress 0
		.amdhsa_shared_vgpr_count 0
		.amdhsa_exception_fp_ieee_invalid_op 0
		.amdhsa_exception_fp_denorm_src 0
		.amdhsa_exception_fp_ieee_div_zero 0
		.amdhsa_exception_fp_ieee_overflow 0
		.amdhsa_exception_fp_ieee_underflow 0
		.amdhsa_exception_fp_ieee_inexact 0
		.amdhsa_exception_int_div_zero 0
	.end_amdhsa_kernel
	.section	.text._ZN2at6native39vectorized_templated_elementwise_kernelILi8ENS0_13BinaryFunctorIfffZZZNS0_12_GLOBAL__N_132hermite_polynomial_h_kernel_cudaERNS_18TensorIteratorBaseEENKUlvE_clEvENKUlvE0_clEvEUlffE_EESt5arrayIPcLm3EE23TrivialOffsetCalculatorILi2EjESD_ILi1EjENS0_6memory12LoadWithCastILi2EEENSG_13StoreWithCastILi1EEEN3c104HalfEJSM_fEEEviT0_T1_T2_T3_T4_T5_,"axG",@progbits,_ZN2at6native39vectorized_templated_elementwise_kernelILi8ENS0_13BinaryFunctorIfffZZZNS0_12_GLOBAL__N_132hermite_polynomial_h_kernel_cudaERNS_18TensorIteratorBaseEENKUlvE_clEvENKUlvE0_clEvEUlffE_EESt5arrayIPcLm3EE23TrivialOffsetCalculatorILi2EjESD_ILi1EjENS0_6memory12LoadWithCastILi2EEENSG_13StoreWithCastILi1EEEN3c104HalfEJSM_fEEEviT0_T1_T2_T3_T4_T5_,comdat
.Lfunc_end63:
	.size	_ZN2at6native39vectorized_templated_elementwise_kernelILi8ENS0_13BinaryFunctorIfffZZZNS0_12_GLOBAL__N_132hermite_polynomial_h_kernel_cudaERNS_18TensorIteratorBaseEENKUlvE_clEvENKUlvE0_clEvEUlffE_EESt5arrayIPcLm3EE23TrivialOffsetCalculatorILi2EjESD_ILi1EjENS0_6memory12LoadWithCastILi2EEENSG_13StoreWithCastILi1EEEN3c104HalfEJSM_fEEEviT0_T1_T2_T3_T4_T5_, .Lfunc_end63-_ZN2at6native39vectorized_templated_elementwise_kernelILi8ENS0_13BinaryFunctorIfffZZZNS0_12_GLOBAL__N_132hermite_polynomial_h_kernel_cudaERNS_18TensorIteratorBaseEENKUlvE_clEvENKUlvE0_clEvEUlffE_EESt5arrayIPcLm3EE23TrivialOffsetCalculatorILi2EjESD_ILi1EjENS0_6memory12LoadWithCastILi2EEENSG_13StoreWithCastILi1EEEN3c104HalfEJSM_fEEEviT0_T1_T2_T3_T4_T5_
                                        ; -- End function
	.section	.AMDGPU.csdata,"",@progbits
; Kernel info:
; codeLenInByte = 10028
; NumSgprs: 79
; NumVgprs: 68
; ScratchSize: 272
; MemoryBound: 0
; FloatMode: 240
; IeeeMode: 1
; LDSByteSize: 0 bytes/workgroup (compile time only)
; SGPRBlocks: 9
; VGPRBlocks: 8
; NumSGPRsForWavesPerEU: 79
; NumVGPRsForWavesPerEU: 68
; Occupancy: 16
; WaveLimiterHint : 0
; COMPUTE_PGM_RSRC2:SCRATCH_EN: 1
; COMPUTE_PGM_RSRC2:USER_SGPR: 15
; COMPUTE_PGM_RSRC2:TRAP_HANDLER: 0
; COMPUTE_PGM_RSRC2:TGID_X_EN: 1
; COMPUTE_PGM_RSRC2:TGID_Y_EN: 0
; COMPUTE_PGM_RSRC2:TGID_Z_EN: 0
; COMPUTE_PGM_RSRC2:TIDIG_COMP_CNT: 0
	.section	.text._ZN2at6native39vectorized_templated_elementwise_kernelILi4ENS0_13BinaryFunctorIfffZZZNS0_12_GLOBAL__N_132hermite_polynomial_h_kernel_cudaERNS_18TensorIteratorBaseEENKUlvE_clEvENKUlvE0_clEvEUlffE_EESt5arrayIPcLm3EE23TrivialOffsetCalculatorILi2EjESD_ILi1EjENS0_6memory12LoadWithCastILi2EEENSG_13StoreWithCastILi1EEEN3c104HalfEJSM_fEEEviT0_T1_T2_T3_T4_T5_,"axG",@progbits,_ZN2at6native39vectorized_templated_elementwise_kernelILi4ENS0_13BinaryFunctorIfffZZZNS0_12_GLOBAL__N_132hermite_polynomial_h_kernel_cudaERNS_18TensorIteratorBaseEENKUlvE_clEvENKUlvE0_clEvEUlffE_EESt5arrayIPcLm3EE23TrivialOffsetCalculatorILi2EjESD_ILi1EjENS0_6memory12LoadWithCastILi2EEENSG_13StoreWithCastILi1EEEN3c104HalfEJSM_fEEEviT0_T1_T2_T3_T4_T5_,comdat
	.globl	_ZN2at6native39vectorized_templated_elementwise_kernelILi4ENS0_13BinaryFunctorIfffZZZNS0_12_GLOBAL__N_132hermite_polynomial_h_kernel_cudaERNS_18TensorIteratorBaseEENKUlvE_clEvENKUlvE0_clEvEUlffE_EESt5arrayIPcLm3EE23TrivialOffsetCalculatorILi2EjESD_ILi1EjENS0_6memory12LoadWithCastILi2EEENSG_13StoreWithCastILi1EEEN3c104HalfEJSM_fEEEviT0_T1_T2_T3_T4_T5_ ; -- Begin function _ZN2at6native39vectorized_templated_elementwise_kernelILi4ENS0_13BinaryFunctorIfffZZZNS0_12_GLOBAL__N_132hermite_polynomial_h_kernel_cudaERNS_18TensorIteratorBaseEENKUlvE_clEvENKUlvE0_clEvEUlffE_EESt5arrayIPcLm3EE23TrivialOffsetCalculatorILi2EjESD_ILi1EjENS0_6memory12LoadWithCastILi2EEENSG_13StoreWithCastILi1EEEN3c104HalfEJSM_fEEEviT0_T1_T2_T3_T4_T5_
	.p2align	8
	.type	_ZN2at6native39vectorized_templated_elementwise_kernelILi4ENS0_13BinaryFunctorIfffZZZNS0_12_GLOBAL__N_132hermite_polynomial_h_kernel_cudaERNS_18TensorIteratorBaseEENKUlvE_clEvENKUlvE0_clEvEUlffE_EESt5arrayIPcLm3EE23TrivialOffsetCalculatorILi2EjESD_ILi1EjENS0_6memory12LoadWithCastILi2EEENSG_13StoreWithCastILi1EEEN3c104HalfEJSM_fEEEviT0_T1_T2_T3_T4_T5_,@function
_ZN2at6native39vectorized_templated_elementwise_kernelILi4ENS0_13BinaryFunctorIfffZZZNS0_12_GLOBAL__N_132hermite_polynomial_h_kernel_cudaERNS_18TensorIteratorBaseEENKUlvE_clEvENKUlvE0_clEvEUlffE_EESt5arrayIPcLm3EE23TrivialOffsetCalculatorILi2EjESD_ILi1EjENS0_6memory12LoadWithCastILi2EEENSG_13StoreWithCastILi1EEEN3c104HalfEJSM_fEEEviT0_T1_T2_T3_T4_T5_: ; @_ZN2at6native39vectorized_templated_elementwise_kernelILi4ENS0_13BinaryFunctorIfffZZZNS0_12_GLOBAL__N_132hermite_polynomial_h_kernel_cudaERNS_18TensorIteratorBaseEENKUlvE_clEvENKUlvE0_clEvEUlffE_EESt5arrayIPcLm3EE23TrivialOffsetCalculatorILi2EjESD_ILi1EjENS0_6memory12LoadWithCastILi2EEENSG_13StoreWithCastILi1EEEN3c104HalfEJSM_fEEEviT0_T1_T2_T3_T4_T5_
; %bb.0:
	s_clause 0x3
	s_load_b32 s8, s[0:1], 0x38
	s_load_b32 s9, s[0:1], 0x0
	s_load_b64 s[2:3], s[0:1], 0x18
	s_load_b128 s[4:7], s[0:1], 0x8
	s_not_b32 s10, s15
	s_mov_b32 s11, -1
	s_mov_b32 s32, 0
	s_waitcnt lgkmcnt(0)
	s_add_i32 s8, s8, s10
	s_delay_alu instid0(SALU_CYCLE_1) | instskip(NEXT) | instid1(SALU_CYCLE_1)
	s_lshl_b32 s10, s8, 14
	s_sub_i32 s12, s9, s10
	s_delay_alu instid0(SALU_CYCLE_1)
	s_cmpk_gt_i32 s12, 0x3fff
	s_cbranch_scc1 .LBB64_3
; %bb.1:
	s_and_b32 vcc_lo, exec_lo, s11
	s_cbranch_vccnz .LBB64_388
.LBB64_2:
	s_nop 0
	s_sendmsg sendmsg(MSG_DEALLOC_VGPRS)
	s_endpgm
.LBB64_3:
	s_ashr_i32 s11, s10, 31
	v_lshlrev_b32_e32 v51, 3, v0
	s_lshl_b64 s[8:9], s[10:11], 1
	v_or_b32_e32 v7, 0x400, v0
	s_add_u32 s16, s6, s8
	s_addc_u32 s17, s7, s9
	v_add_co_u32 v5, s13, s16, v51
	s_delay_alu instid0(VALU_DEP_1) | instskip(SKIP_1) | instid1(VALU_DEP_3)
	v_add_co_ci_u32_e64 v6, null, s17, 0, s13
	v_lshlrev_b32_e32 v52, 3, v7
	v_add_co_u32 v1, vcc_lo, 0x1000, v5
	s_delay_alu instid0(VALU_DEP_3)
	v_add_co_ci_u32_e32 v2, vcc_lo, 0, v6, vcc_lo
	v_add_co_u32 v3, vcc_lo, 0x3000, v5
	v_add_co_ci_u32_e32 v4, vcc_lo, 0, v6, vcc_lo
	s_clause 0x3
	global_load_b64 v[47:48], v51, s[16:17]
	global_load_b64 v[45:46], v[1:2], off
	global_load_b64 v[43:44], v52, s[16:17]
	global_load_b64 v[41:42], v[3:4], off
	s_lshl_b64 s[10:11], s[10:11], 2
	v_lshlrev_b32_e32 v3, 4, v0
	s_add_u32 s10, s2, s10
	s_addc_u32 s11, s3, s11
	v_or_b32_e32 v8, 0x800, v0
	v_add_co_u32 v1, vcc_lo, 0x5000, v5
	global_load_b128 v[29:32], v3, s[10:11]
	v_or_b32_e32 v9, 0xc00, v0
	v_add_co_u32 v10, s13, s10, v3
	v_add_co_ci_u32_e32 v2, vcc_lo, 0, v6, vcc_lo
	v_add_co_ci_u32_e64 v11, null, s11, 0, s13
	v_add_co_u32 v3, vcc_lo, 0x7000, v5
	v_lshlrev_b32_e32 v53, 3, v8
	v_add_co_ci_u32_e32 v4, vcc_lo, 0, v6, vcc_lo
	v_dual_mov_b32 v55, 0 :: v_dual_lshlrev_b32 v54, 3, v9
	v_add_co_u32 v5, vcc_lo, 0x2000, v10
	v_add_co_ci_u32_e32 v6, vcc_lo, 0, v11, vcc_lo
	s_clause 0x3
	global_load_b64 v[39:40], v53, s[16:17]
	global_load_b64 v[37:38], v[1:2], off
	global_load_b64 v[35:36], v54, s[16:17]
	global_load_b64 v[33:34], v[3:4], off
	global_load_b128 v[25:28], v[5:6], off
	v_add_co_u32 v1, vcc_lo, 0x6000, v10
	v_add_co_ci_u32_e32 v2, vcc_lo, 0, v11, vcc_lo
	v_lshlrev_b32_e32 v5, 4, v7
	v_add_co_u32 v3, vcc_lo, 0xa000, v10
	v_lshlrev_b32_e32 v6, 4, v8
	v_add_co_ci_u32_e32 v4, vcc_lo, 0, v11, vcc_lo
	v_add_co_u32 v49, vcc_lo, 0xe000, v10
	v_lshlrev_b32_e32 v7, 4, v9
	v_add_co_ci_u32_e32 v50, vcc_lo, 0, v11, vcc_lo
	s_clause 0x5
	global_load_b128 v[21:24], v5, s[10:11]
	global_load_b128 v[17:20], v[1:2], off
	global_load_b128 v[13:16], v6, s[10:11]
	global_load_b128 v[9:12], v[3:4], off
	;; [unrolled: 2-line block ×3, first 2 shown]
	s_mov_b32 s13, exec_lo
	s_waitcnt vmcnt(11)
	v_cvt_f16_f32_e32 v29, v29
	s_delay_alu instid0(VALU_DEP_1) | instskip(SKIP_1) | instid1(VALU_DEP_2)
	v_cvt_f32_f16_e32 v49, v29
	v_cmp_class_f16_e64 vcc_lo, v29, 0x1f8
	v_cvt_i32_f32_e32 v49, v49
	s_delay_alu instid0(VALU_DEP_1) | instskip(NEXT) | instid1(VALU_DEP_1)
	v_ashrrev_i32_e32 v50, 31, v49
	v_dual_cndmask_b32 v49, -1, v49 :: v_dual_cndmask_b32 v50, -1, v50
	s_delay_alu instid0(VALU_DEP_1)
	v_cmpx_lt_i64_e32 -1, v[49:50]
	s_cbranch_execz .LBB64_15
; %bb.4:
	v_mov_b32_e32 v55, 1.0
	s_mov_b32 s14, exec_lo
	v_cmpx_lt_i64_e32 0, v[49:50]
	s_cbranch_execz .LBB64_14
; %bb.5:
	v_cvt_f32_f16_e32 v29, v47
                                        ; implicit-def: $vgpr55
	s_mov_b32 s10, exec_lo
	v_cmpx_ne_u64_e32 1, v[49:50]
	s_xor_b32 s16, exec_lo, s10
	s_cbranch_execz .LBB64_11
; %bb.6:
	v_mov_b32_e32 v55, 0x7fc00000
	s_mov_b32 s17, exec_lo
	v_cmpx_gt_u64_e32 0x81, v[49:50]
	s_cbranch_execz .LBB64_10
; %bb.7:
	v_dual_add_f32 v29, v29, v29 :: v_dual_mov_b32 v56, 1.0
	v_lshlrev_b64 v[49:50], 1, v[49:50]
	s_mov_b64 s[10:11], 2
	s_mov_b32 s18, 0
	s_delay_alu instid0(VALU_DEP_2)
	v_mov_b32_e32 v55, v29
	.p2align	6
.LBB64_8:                               ; =>This Inner Loop Header: Depth=1
	s_clz_i32_u32 s19, s11
	s_delay_alu instid0(SALU_CYCLE_1) | instskip(NEXT) | instid1(SALU_CYCLE_1)
	s_min_u32 s19, s19, 32
	s_lshl_b64 s[20:21], s[10:11], s19
	s_sub_i32 s19, 32, s19
	s_min_u32 s20, s20, 1
	s_delay_alu instid0(SALU_CYCLE_1) | instskip(SKIP_3) | instid1(SALU_CYCLE_1)
	s_or_b32 s20, s21, s20
	s_add_u32 s10, s10, 2
	v_cvt_f32_u32_e32 v57, s20
	s_addc_u32 s11, s11, 0
	v_cmp_ge_u64_e32 vcc_lo, s[10:11], v[49:50]
	s_delay_alu instid0(VALU_DEP_2) | instskip(SKIP_1) | instid1(VALU_DEP_1)
	v_ldexp_f32 v57, v57, s19
	s_or_b32 s18, vcc_lo, s18
	v_dual_mul_f32 v57, v56, v57 :: v_dual_mov_b32 v56, v55
	s_delay_alu instid0(VALU_DEP_1)
	v_fma_f32 v55, v29, v55, -v57
	s_and_not1_b32 exec_lo, exec_lo, s18
	s_cbranch_execnz .LBB64_8
; %bb.9:
	s_or_b32 exec_lo, exec_lo, s18
.LBB64_10:
	s_delay_alu instid0(SALU_CYCLE_1)
	s_or_b32 exec_lo, exec_lo, s17
                                        ; implicit-def: $vgpr29
.LBB64_11:
	s_and_not1_saveexec_b32 s10, s16
; %bb.12:
	v_add_f32_e32 v55, v29, v29
; %bb.13:
	s_or_b32 exec_lo, exec_lo, s10
.LBB64_14:
	s_delay_alu instid0(SALU_CYCLE_1)
	s_or_b32 exec_lo, exec_lo, s14
.LBB64_15:
	s_delay_alu instid0(SALU_CYCLE_1) | instskip(SKIP_2) | instid1(VALU_DEP_1)
	s_or_b32 exec_lo, exec_lo, s13
	v_cvt_f16_f32_e32 v29, v30
	s_mov_b32 s13, exec_lo
	v_cvt_f32_f16_e32 v30, v29
	v_cmp_class_f16_e64 vcc_lo, v29, 0x1f8
	s_delay_alu instid0(VALU_DEP_2) | instskip(NEXT) | instid1(VALU_DEP_1)
	v_cvt_i32_f32_e32 v49, v30
	v_ashrrev_i32_e32 v30, 31, v49
	v_cndmask_b32_e32 v29, -1, v49, vcc_lo
	s_delay_alu instid0(VALU_DEP_2) | instskip(NEXT) | instid1(VALU_DEP_1)
	v_dual_mov_b32 v49, 0 :: v_dual_cndmask_b32 v30, -1, v30
	v_cmpx_lt_i64_e32 -1, v[29:30]
	s_cbranch_execz .LBB64_27
; %bb.16:
	v_mov_b32_e32 v49, 1.0
	s_mov_b32 s14, exec_lo
	v_cmpx_lt_i64_e32 0, v[29:30]
	s_cbranch_execz .LBB64_26
; %bb.17:
	v_lshrrev_b32_e32 v47, 16, v47
                                        ; implicit-def: $vgpr49
	s_mov_b32 s10, exec_lo
	s_delay_alu instid0(VALU_DEP_1)
	v_cvt_f32_f16_e32 v47, v47
	v_cmpx_ne_u64_e32 1, v[29:30]
	s_xor_b32 s16, exec_lo, s10
	s_cbranch_execz .LBB64_23
; %bb.18:
	v_mov_b32_e32 v49, 0x7fc00000
	s_mov_b32 s17, exec_lo
	v_cmpx_gt_u64_e32 0x81, v[29:30]
	s_cbranch_execz .LBB64_22
; %bb.19:
	v_dual_add_f32 v47, v47, v47 :: v_dual_mov_b32 v50, 1.0
	v_lshlrev_b64 v[29:30], 1, v[29:30]
	s_mov_b64 s[10:11], 2
	s_mov_b32 s18, 0
	s_delay_alu instid0(VALU_DEP_2)
	v_mov_b32_e32 v49, v47
	.p2align	6
.LBB64_20:                              ; =>This Inner Loop Header: Depth=1
	s_clz_i32_u32 s19, s11
	s_delay_alu instid0(SALU_CYCLE_1) | instskip(NEXT) | instid1(SALU_CYCLE_1)
	s_min_u32 s19, s19, 32
	s_lshl_b64 s[20:21], s[10:11], s19
	s_sub_i32 s19, 32, s19
	s_min_u32 s20, s20, 1
	s_delay_alu instid0(SALU_CYCLE_1) | instskip(SKIP_3) | instid1(SALU_CYCLE_1)
	s_or_b32 s20, s21, s20
	s_add_u32 s10, s10, 2
	v_cvt_f32_u32_e32 v56, s20
	s_addc_u32 s11, s11, 0
	v_cmp_ge_u64_e32 vcc_lo, s[10:11], v[29:30]
	s_delay_alu instid0(VALU_DEP_2) | instskip(SKIP_1) | instid1(VALU_DEP_1)
	v_ldexp_f32 v56, v56, s19
	s_or_b32 s18, vcc_lo, s18
	v_mul_f32_e32 v56, v50, v56
	v_mov_b32_e32 v50, v49
	s_delay_alu instid0(VALU_DEP_2)
	v_fma_f32 v49, v47, v49, -v56
	s_and_not1_b32 exec_lo, exec_lo, s18
	s_cbranch_execnz .LBB64_20
; %bb.21:
	s_or_b32 exec_lo, exec_lo, s18
.LBB64_22:
	s_delay_alu instid0(SALU_CYCLE_1)
	s_or_b32 exec_lo, exec_lo, s17
                                        ; implicit-def: $vgpr47
.LBB64_23:
	s_and_not1_saveexec_b32 s10, s16
; %bb.24:
	v_add_f32_e32 v49, v47, v47
; %bb.25:
	s_or_b32 exec_lo, exec_lo, s10
.LBB64_26:
	s_delay_alu instid0(SALU_CYCLE_1)
	s_or_b32 exec_lo, exec_lo, s14
.LBB64_27:
	s_delay_alu instid0(SALU_CYCLE_1) | instskip(SKIP_2) | instid1(VALU_DEP_1)
	s_or_b32 exec_lo, exec_lo, s13
	v_cvt_f16_f32_e32 v29, v31
	s_mov_b32 s13, exec_lo
	v_cvt_f32_f16_e32 v30, v29
	v_cmp_class_f16_e64 vcc_lo, v29, 0x1f8
	s_delay_alu instid0(VALU_DEP_2) | instskip(NEXT) | instid1(VALU_DEP_1)
	v_cvt_i32_f32_e32 v31, v30
	v_ashrrev_i32_e32 v30, 31, v31
	v_cndmask_b32_e32 v29, -1, v31, vcc_lo
	s_delay_alu instid0(VALU_DEP_2) | instskip(NEXT) | instid1(VALU_DEP_1)
	v_dual_mov_b32 v31, 0 :: v_dual_cndmask_b32 v30, -1, v30
	v_cmpx_lt_i64_e32 -1, v[29:30]
	s_cbranch_execz .LBB64_39
; %bb.28:
	v_mov_b32_e32 v31, 1.0
	s_mov_b32 s14, exec_lo
	v_cmpx_lt_i64_e32 0, v[29:30]
	s_cbranch_execz .LBB64_38
; %bb.29:
	v_cvt_f32_f16_e32 v47, v48
                                        ; implicit-def: $vgpr31
	s_mov_b32 s10, exec_lo
	v_cmpx_ne_u64_e32 1, v[29:30]
	s_xor_b32 s16, exec_lo, s10
	s_cbranch_execz .LBB64_35
; %bb.30:
	v_mov_b32_e32 v31, 0x7fc00000
	s_mov_b32 s17, exec_lo
	v_cmpx_gt_u64_e32 0x81, v[29:30]
	s_cbranch_execz .LBB64_34
; %bb.31:
	v_dual_add_f32 v47, v47, v47 :: v_dual_mov_b32 v50, 1.0
	v_lshlrev_b64 v[29:30], 1, v[29:30]
	s_mov_b64 s[10:11], 2
	s_mov_b32 s18, 0
	s_delay_alu instid0(VALU_DEP_2)
	v_mov_b32_e32 v31, v47
	.p2align	6
.LBB64_32:                              ; =>This Inner Loop Header: Depth=1
	s_clz_i32_u32 s19, s11
	s_delay_alu instid0(SALU_CYCLE_1) | instskip(NEXT) | instid1(SALU_CYCLE_1)
	s_min_u32 s19, s19, 32
	s_lshl_b64 s[20:21], s[10:11], s19
	s_sub_i32 s19, 32, s19
	s_min_u32 s20, s20, 1
	s_delay_alu instid0(SALU_CYCLE_1) | instskip(SKIP_3) | instid1(SALU_CYCLE_1)
	s_or_b32 s20, s21, s20
	s_add_u32 s10, s10, 2
	v_cvt_f32_u32_e32 v56, s20
	s_addc_u32 s11, s11, 0
	v_cmp_ge_u64_e32 vcc_lo, s[10:11], v[29:30]
	s_delay_alu instid0(VALU_DEP_2) | instskip(SKIP_1) | instid1(VALU_DEP_1)
	v_ldexp_f32 v56, v56, s19
	s_or_b32 s18, vcc_lo, s18
	v_mul_f32_e32 v56, v50, v56
	v_mov_b32_e32 v50, v31
	s_delay_alu instid0(VALU_DEP_2)
	v_fma_f32 v31, v47, v31, -v56
	s_and_not1_b32 exec_lo, exec_lo, s18
	s_cbranch_execnz .LBB64_32
; %bb.33:
	s_or_b32 exec_lo, exec_lo, s18
.LBB64_34:
	s_delay_alu instid0(SALU_CYCLE_1)
	s_or_b32 exec_lo, exec_lo, s17
                                        ; implicit-def: $vgpr47
.LBB64_35:
	s_and_not1_saveexec_b32 s10, s16
; %bb.36:
	v_add_f32_e32 v31, v47, v47
; %bb.37:
	s_or_b32 exec_lo, exec_lo, s10
.LBB64_38:
	s_delay_alu instid0(SALU_CYCLE_1)
	s_or_b32 exec_lo, exec_lo, s14
.LBB64_39:
	s_delay_alu instid0(SALU_CYCLE_1) | instskip(SKIP_2) | instid1(VALU_DEP_1)
	s_or_b32 exec_lo, exec_lo, s13
	v_cvt_f16_f32_e32 v29, v32
	s_mov_b32 s13, exec_lo
	v_cvt_f32_f16_e32 v30, v29
	v_cmp_class_f16_e64 vcc_lo, v29, 0x1f8
	s_delay_alu instid0(VALU_DEP_2) | instskip(NEXT) | instid1(VALU_DEP_1)
	v_cvt_i32_f32_e32 v32, v30
	v_ashrrev_i32_e32 v30, 31, v32
	v_dual_cndmask_b32 v29, -1, v32 :: v_dual_mov_b32 v32, 0
	s_delay_alu instid0(VALU_DEP_2) | instskip(NEXT) | instid1(VALU_DEP_1)
	v_cndmask_b32_e32 v30, -1, v30, vcc_lo
	v_cmpx_lt_i64_e32 -1, v[29:30]
	s_cbranch_execz .LBB64_51
; %bb.40:
	v_mov_b32_e32 v32, 1.0
	s_mov_b32 s14, exec_lo
	v_cmpx_lt_i64_e32 0, v[29:30]
	s_cbranch_execz .LBB64_50
; %bb.41:
	v_lshrrev_b32_e32 v32, 16, v48
	s_mov_b32 s10, exec_lo
	s_delay_alu instid0(VALU_DEP_1)
	v_cvt_f32_f16_e32 v47, v32
                                        ; implicit-def: $vgpr32
	v_cmpx_ne_u64_e32 1, v[29:30]
	s_xor_b32 s16, exec_lo, s10
	s_cbranch_execz .LBB64_47
; %bb.42:
	v_mov_b32_e32 v32, 0x7fc00000
	s_mov_b32 s17, exec_lo
	v_cmpx_gt_u64_e32 0x81, v[29:30]
	s_cbranch_execz .LBB64_46
; %bb.43:
	v_dual_add_f32 v47, v47, v47 :: v_dual_mov_b32 v48, 1.0
	v_lshlrev_b64 v[29:30], 1, v[29:30]
	s_mov_b64 s[10:11], 2
	s_mov_b32 s18, 0
	s_delay_alu instid0(VALU_DEP_2)
	v_mov_b32_e32 v32, v47
	.p2align	6
.LBB64_44:                              ; =>This Inner Loop Header: Depth=1
	s_clz_i32_u32 s19, s11
	s_delay_alu instid0(SALU_CYCLE_1) | instskip(NEXT) | instid1(SALU_CYCLE_1)
	s_min_u32 s19, s19, 32
	s_lshl_b64 s[20:21], s[10:11], s19
	s_sub_i32 s19, 32, s19
	s_min_u32 s20, s20, 1
	s_delay_alu instid0(SALU_CYCLE_1) | instskip(SKIP_3) | instid1(SALU_CYCLE_1)
	s_or_b32 s20, s21, s20
	s_add_u32 s10, s10, 2
	v_cvt_f32_u32_e32 v50, s20
	s_addc_u32 s11, s11, 0
	v_cmp_ge_u64_e32 vcc_lo, s[10:11], v[29:30]
	s_delay_alu instid0(VALU_DEP_2) | instskip(SKIP_1) | instid1(VALU_DEP_1)
	v_ldexp_f32 v50, v50, s19
	s_or_b32 s18, vcc_lo, s18
	v_mul_f32_e32 v50, v48, v50
	v_mov_b32_e32 v48, v32
	s_delay_alu instid0(VALU_DEP_2)
	v_fma_f32 v32, v47, v32, -v50
	s_and_not1_b32 exec_lo, exec_lo, s18
	s_cbranch_execnz .LBB64_44
; %bb.45:
	s_or_b32 exec_lo, exec_lo, s18
.LBB64_46:
	s_delay_alu instid0(SALU_CYCLE_1)
	s_or_b32 exec_lo, exec_lo, s17
                                        ; implicit-def: $vgpr47
.LBB64_47:
	s_and_not1_saveexec_b32 s10, s16
; %bb.48:
	v_add_f32_e32 v32, v47, v47
; %bb.49:
	s_or_b32 exec_lo, exec_lo, s10
.LBB64_50:
	s_delay_alu instid0(SALU_CYCLE_1)
	s_or_b32 exec_lo, exec_lo, s14
.LBB64_51:
	s_delay_alu instid0(SALU_CYCLE_1) | instskip(SKIP_4) | instid1(VALU_DEP_2)
	s_or_b32 exec_lo, exec_lo, s13
	s_waitcnt vmcnt(6)
	v_cvt_f16_f32_e32 v25, v25
	v_mov_b32_e32 v47, 0
	s_mov_b32 s13, exec_lo
	v_cvt_f32_f16_e32 v29, v25
	v_cmp_class_f16_e64 vcc_lo, v25, 0x1f8
	s_delay_alu instid0(VALU_DEP_2) | instskip(NEXT) | instid1(VALU_DEP_1)
	v_cvt_i32_f32_e32 v29, v29
	v_ashrrev_i32_e32 v30, 31, v29
	s_delay_alu instid0(VALU_DEP_1) | instskip(NEXT) | instid1(VALU_DEP_1)
	v_dual_cndmask_b32 v29, -1, v29 :: v_dual_cndmask_b32 v30, -1, v30
	v_cmpx_lt_i64_e32 -1, v[29:30]
	s_cbranch_execz .LBB64_63
; %bb.52:
	v_mov_b32_e32 v47, 1.0
	s_mov_b32 s14, exec_lo
	v_cmpx_lt_i64_e32 0, v[29:30]
	s_cbranch_execz .LBB64_62
; %bb.53:
	v_cvt_f32_f16_e32 v25, v45
                                        ; implicit-def: $vgpr47
	s_mov_b32 s10, exec_lo
	v_cmpx_ne_u64_e32 1, v[29:30]
	s_xor_b32 s16, exec_lo, s10
	s_cbranch_execz .LBB64_59
; %bb.54:
	v_mov_b32_e32 v47, 0x7fc00000
	s_mov_b32 s17, exec_lo
	v_cmpx_gt_u64_e32 0x81, v[29:30]
	s_cbranch_execz .LBB64_58
; %bb.55:
	v_dual_add_f32 v25, v25, v25 :: v_dual_mov_b32 v48, 1.0
	v_lshlrev_b64 v[29:30], 1, v[29:30]
	s_mov_b64 s[10:11], 2
	s_mov_b32 s18, 0
	s_delay_alu instid0(VALU_DEP_2)
	v_mov_b32_e32 v47, v25
	.p2align	6
.LBB64_56:                              ; =>This Inner Loop Header: Depth=1
	s_clz_i32_u32 s19, s11
	s_delay_alu instid0(SALU_CYCLE_1) | instskip(NEXT) | instid1(SALU_CYCLE_1)
	s_min_u32 s19, s19, 32
	s_lshl_b64 s[20:21], s[10:11], s19
	s_sub_i32 s19, 32, s19
	s_min_u32 s20, s20, 1
	s_delay_alu instid0(SALU_CYCLE_1) | instskip(SKIP_3) | instid1(SALU_CYCLE_1)
	s_or_b32 s20, s21, s20
	s_add_u32 s10, s10, 2
	v_cvt_f32_u32_e32 v50, s20
	s_addc_u32 s11, s11, 0
	v_cmp_ge_u64_e32 vcc_lo, s[10:11], v[29:30]
	s_delay_alu instid0(VALU_DEP_2) | instskip(SKIP_1) | instid1(VALU_DEP_1)
	v_ldexp_f32 v50, v50, s19
	s_or_b32 s18, vcc_lo, s18
	v_mul_f32_e32 v50, v48, v50
	v_mov_b32_e32 v48, v47
	s_delay_alu instid0(VALU_DEP_2)
	v_fma_f32 v47, v25, v47, -v50
	s_and_not1_b32 exec_lo, exec_lo, s18
	s_cbranch_execnz .LBB64_56
; %bb.57:
	s_or_b32 exec_lo, exec_lo, s18
.LBB64_58:
	s_delay_alu instid0(SALU_CYCLE_1)
	s_or_b32 exec_lo, exec_lo, s17
                                        ; implicit-def: $vgpr25
.LBB64_59:
	s_and_not1_saveexec_b32 s10, s16
; %bb.60:
	v_add_f32_e32 v47, v25, v25
; %bb.61:
	s_or_b32 exec_lo, exec_lo, s10
.LBB64_62:
	s_delay_alu instid0(SALU_CYCLE_1)
	s_or_b32 exec_lo, exec_lo, s14
.LBB64_63:
	s_delay_alu instid0(SALU_CYCLE_1) | instskip(SKIP_2) | instid1(VALU_DEP_1)
	s_or_b32 exec_lo, exec_lo, s13
	v_cvt_f16_f32_e32 v25, v26
	s_mov_b32 s13, exec_lo
	v_cvt_f32_f16_e32 v26, v25
	v_cmp_class_f16_e64 vcc_lo, v25, 0x1f8
	s_delay_alu instid0(VALU_DEP_2) | instskip(NEXT) | instid1(VALU_DEP_1)
	v_cvt_i32_f32_e32 v29, v26
	v_ashrrev_i32_e32 v26, 31, v29
	v_cndmask_b32_e32 v25, -1, v29, vcc_lo
	s_delay_alu instid0(VALU_DEP_2) | instskip(NEXT) | instid1(VALU_DEP_1)
	v_dual_mov_b32 v29, 0 :: v_dual_cndmask_b32 v26, -1, v26
	v_cmpx_lt_i64_e32 -1, v[25:26]
	s_cbranch_execz .LBB64_75
; %bb.64:
	v_mov_b32_e32 v29, 1.0
	s_mov_b32 s14, exec_lo
	v_cmpx_lt_i64_e32 0, v[25:26]
	s_cbranch_execz .LBB64_74
; %bb.65:
	v_lshrrev_b32_e32 v29, 16, v45
	s_mov_b32 s10, exec_lo
	s_delay_alu instid0(VALU_DEP_1)
	v_cvt_f32_f16_e32 v30, v29
                                        ; implicit-def: $vgpr29
	v_cmpx_ne_u64_e32 1, v[25:26]
	s_xor_b32 s16, exec_lo, s10
	s_cbranch_execz .LBB64_71
; %bb.66:
	v_mov_b32_e32 v29, 0x7fc00000
	s_mov_b32 s17, exec_lo
	v_cmpx_gt_u64_e32 0x81, v[25:26]
	s_cbranch_execz .LBB64_70
; %bb.67:
	v_dual_add_f32 v30, v30, v30 :: v_dual_mov_b32 v45, 1.0
	v_lshlrev_b64 v[25:26], 1, v[25:26]
	s_mov_b64 s[10:11], 2
	s_mov_b32 s18, 0
	s_delay_alu instid0(VALU_DEP_2)
	v_mov_b32_e32 v29, v30
	.p2align	6
.LBB64_68:                              ; =>This Inner Loop Header: Depth=1
	s_clz_i32_u32 s19, s11
	s_delay_alu instid0(SALU_CYCLE_1) | instskip(NEXT) | instid1(SALU_CYCLE_1)
	s_min_u32 s19, s19, 32
	s_lshl_b64 s[20:21], s[10:11], s19
	s_sub_i32 s19, 32, s19
	s_min_u32 s20, s20, 1
	s_delay_alu instid0(SALU_CYCLE_1) | instskip(SKIP_3) | instid1(SALU_CYCLE_1)
	s_or_b32 s20, s21, s20
	s_add_u32 s10, s10, 2
	v_cvt_f32_u32_e32 v48, s20
	s_addc_u32 s11, s11, 0
	v_cmp_ge_u64_e32 vcc_lo, s[10:11], v[25:26]
	s_delay_alu instid0(VALU_DEP_2) | instskip(SKIP_1) | instid1(VALU_DEP_1)
	v_ldexp_f32 v48, v48, s19
	s_or_b32 s18, vcc_lo, s18
	v_mul_f32_e32 v48, v45, v48
	v_mov_b32_e32 v45, v29
	s_delay_alu instid0(VALU_DEP_2)
	v_fma_f32 v29, v30, v29, -v48
	s_and_not1_b32 exec_lo, exec_lo, s18
	s_cbranch_execnz .LBB64_68
; %bb.69:
	s_or_b32 exec_lo, exec_lo, s18
.LBB64_70:
	s_delay_alu instid0(SALU_CYCLE_1)
	s_or_b32 exec_lo, exec_lo, s17
                                        ; implicit-def: $vgpr30
.LBB64_71:
	s_and_not1_saveexec_b32 s10, s16
; %bb.72:
	v_add_f32_e32 v29, v30, v30
; %bb.73:
	s_or_b32 exec_lo, exec_lo, s10
.LBB64_74:
	s_delay_alu instid0(SALU_CYCLE_1)
	s_or_b32 exec_lo, exec_lo, s14
.LBB64_75:
	s_delay_alu instid0(SALU_CYCLE_1) | instskip(SKIP_2) | instid1(VALU_DEP_1)
	s_or_b32 exec_lo, exec_lo, s13
	v_cvt_f16_f32_e32 v25, v27
	s_mov_b32 s13, exec_lo
	v_cvt_f32_f16_e32 v26, v25
	v_cmp_class_f16_e64 vcc_lo, v25, 0x1f8
	s_delay_alu instid0(VALU_DEP_2) | instskip(NEXT) | instid1(VALU_DEP_1)
	v_cvt_i32_f32_e32 v27, v26
	v_ashrrev_i32_e32 v26, 31, v27
	v_cndmask_b32_e32 v25, -1, v27, vcc_lo
	s_delay_alu instid0(VALU_DEP_2) | instskip(NEXT) | instid1(VALU_DEP_1)
	v_dual_mov_b32 v27, 0 :: v_dual_cndmask_b32 v26, -1, v26
	v_cmpx_lt_i64_e32 -1, v[25:26]
	s_cbranch_execz .LBB64_87
; %bb.76:
	v_mov_b32_e32 v27, 1.0
	s_mov_b32 s14, exec_lo
	v_cmpx_lt_i64_e32 0, v[25:26]
	s_cbranch_execz .LBB64_86
; %bb.77:
	v_cvt_f32_f16_e32 v30, v46
                                        ; implicit-def: $vgpr27
	s_mov_b32 s10, exec_lo
	v_cmpx_ne_u64_e32 1, v[25:26]
	s_xor_b32 s16, exec_lo, s10
	s_cbranch_execz .LBB64_83
; %bb.78:
	v_mov_b32_e32 v27, 0x7fc00000
	s_mov_b32 s17, exec_lo
	v_cmpx_gt_u64_e32 0x81, v[25:26]
	s_cbranch_execz .LBB64_82
; %bb.79:
	v_dual_add_f32 v30, v30, v30 :: v_dual_mov_b32 v45, 1.0
	v_lshlrev_b64 v[25:26], 1, v[25:26]
	s_mov_b64 s[10:11], 2
	s_mov_b32 s18, 0
	s_delay_alu instid0(VALU_DEP_2)
	v_mov_b32_e32 v27, v30
	.p2align	6
.LBB64_80:                              ; =>This Inner Loop Header: Depth=1
	s_clz_i32_u32 s19, s11
	s_delay_alu instid0(SALU_CYCLE_1) | instskip(NEXT) | instid1(SALU_CYCLE_1)
	s_min_u32 s19, s19, 32
	s_lshl_b64 s[20:21], s[10:11], s19
	s_sub_i32 s19, 32, s19
	s_min_u32 s20, s20, 1
	s_delay_alu instid0(SALU_CYCLE_1) | instskip(SKIP_3) | instid1(SALU_CYCLE_1)
	s_or_b32 s20, s21, s20
	s_add_u32 s10, s10, 2
	v_cvt_f32_u32_e32 v48, s20
	s_addc_u32 s11, s11, 0
	v_cmp_ge_u64_e32 vcc_lo, s[10:11], v[25:26]
	s_delay_alu instid0(VALU_DEP_2) | instskip(SKIP_1) | instid1(VALU_DEP_1)
	v_ldexp_f32 v48, v48, s19
	s_or_b32 s18, vcc_lo, s18
	v_dual_mul_f32 v48, v45, v48 :: v_dual_mov_b32 v45, v27
	s_delay_alu instid0(VALU_DEP_1)
	v_fma_f32 v27, v30, v27, -v48
	s_and_not1_b32 exec_lo, exec_lo, s18
	s_cbranch_execnz .LBB64_80
; %bb.81:
	s_or_b32 exec_lo, exec_lo, s18
.LBB64_82:
	s_delay_alu instid0(SALU_CYCLE_1)
	s_or_b32 exec_lo, exec_lo, s17
                                        ; implicit-def: $vgpr30
.LBB64_83:
	s_and_not1_saveexec_b32 s10, s16
; %bb.84:
	v_add_f32_e32 v27, v30, v30
; %bb.85:
	s_or_b32 exec_lo, exec_lo, s10
.LBB64_86:
	s_delay_alu instid0(SALU_CYCLE_1)
	s_or_b32 exec_lo, exec_lo, s14
.LBB64_87:
	s_delay_alu instid0(SALU_CYCLE_1) | instskip(SKIP_2) | instid1(VALU_DEP_1)
	s_or_b32 exec_lo, exec_lo, s13
	v_cvt_f16_f32_e32 v25, v28
	s_mov_b32 s13, exec_lo
	v_cvt_f32_f16_e32 v26, v25
	v_cmp_class_f16_e64 vcc_lo, v25, 0x1f8
	s_delay_alu instid0(VALU_DEP_2) | instskip(NEXT) | instid1(VALU_DEP_1)
	v_cvt_i32_f32_e32 v28, v26
	v_ashrrev_i32_e32 v26, 31, v28
	v_dual_cndmask_b32 v25, -1, v28 :: v_dual_mov_b32 v28, 0
	s_delay_alu instid0(VALU_DEP_2) | instskip(NEXT) | instid1(VALU_DEP_1)
	v_cndmask_b32_e32 v26, -1, v26, vcc_lo
	v_cmpx_lt_i64_e32 -1, v[25:26]
	s_cbranch_execz .LBB64_99
; %bb.88:
	v_mov_b32_e32 v28, 1.0
	s_mov_b32 s14, exec_lo
	v_cmpx_lt_i64_e32 0, v[25:26]
	s_cbranch_execz .LBB64_98
; %bb.89:
	v_lshrrev_b32_e32 v28, 16, v46
	s_mov_b32 s10, exec_lo
	s_delay_alu instid0(VALU_DEP_1)
	v_cvt_f32_f16_e32 v30, v28
                                        ; implicit-def: $vgpr28
	v_cmpx_ne_u64_e32 1, v[25:26]
	s_xor_b32 s16, exec_lo, s10
	s_cbranch_execz .LBB64_95
; %bb.90:
	v_mov_b32_e32 v28, 0x7fc00000
	s_mov_b32 s17, exec_lo
	v_cmpx_gt_u64_e32 0x81, v[25:26]
	s_cbranch_execz .LBB64_94
; %bb.91:
	v_dual_add_f32 v30, v30, v30 :: v_dual_mov_b32 v45, 1.0
	v_lshlrev_b64 v[25:26], 1, v[25:26]
	s_mov_b64 s[10:11], 2
	s_mov_b32 s18, 0
	s_delay_alu instid0(VALU_DEP_2)
	v_mov_b32_e32 v28, v30
	.p2align	6
.LBB64_92:                              ; =>This Inner Loop Header: Depth=1
	s_clz_i32_u32 s19, s11
	s_delay_alu instid0(SALU_CYCLE_1) | instskip(NEXT) | instid1(SALU_CYCLE_1)
	s_min_u32 s19, s19, 32
	s_lshl_b64 s[20:21], s[10:11], s19
	s_sub_i32 s19, 32, s19
	s_min_u32 s20, s20, 1
	s_delay_alu instid0(SALU_CYCLE_1) | instskip(SKIP_3) | instid1(SALU_CYCLE_1)
	s_or_b32 s20, s21, s20
	s_add_u32 s10, s10, 2
	v_cvt_f32_u32_e32 v46, s20
	s_addc_u32 s11, s11, 0
	v_cmp_ge_u64_e32 vcc_lo, s[10:11], v[25:26]
	s_delay_alu instid0(VALU_DEP_2) | instskip(SKIP_1) | instid1(VALU_DEP_1)
	v_ldexp_f32 v46, v46, s19
	s_or_b32 s18, vcc_lo, s18
	v_dual_mul_f32 v46, v45, v46 :: v_dual_mov_b32 v45, v28
	s_delay_alu instid0(VALU_DEP_1)
	v_fma_f32 v28, v30, v28, -v46
	s_and_not1_b32 exec_lo, exec_lo, s18
	s_cbranch_execnz .LBB64_92
; %bb.93:
	s_or_b32 exec_lo, exec_lo, s18
.LBB64_94:
	s_delay_alu instid0(SALU_CYCLE_1)
	s_or_b32 exec_lo, exec_lo, s17
                                        ; implicit-def: $vgpr30
.LBB64_95:
	s_and_not1_saveexec_b32 s10, s16
; %bb.96:
	v_add_f32_e32 v28, v30, v30
; %bb.97:
	s_or_b32 exec_lo, exec_lo, s10
.LBB64_98:
	s_delay_alu instid0(SALU_CYCLE_1)
	s_or_b32 exec_lo, exec_lo, s14
.LBB64_99:
	s_delay_alu instid0(SALU_CYCLE_1) | instskip(SKIP_4) | instid1(VALU_DEP_2)
	s_or_b32 exec_lo, exec_lo, s13
	s_waitcnt vmcnt(5)
	v_cvt_f16_f32_e32 v21, v21
	v_mov_b32_e32 v30, 0
	s_mov_b32 s13, exec_lo
	v_cvt_f32_f16_e32 v25, v21
	v_cmp_class_f16_e64 vcc_lo, v21, 0x1f8
	s_delay_alu instid0(VALU_DEP_2) | instskip(NEXT) | instid1(VALU_DEP_1)
	v_cvt_i32_f32_e32 v25, v25
	v_ashrrev_i32_e32 v26, 31, v25
	s_delay_alu instid0(VALU_DEP_1) | instskip(NEXT) | instid1(VALU_DEP_1)
	v_dual_cndmask_b32 v25, -1, v25 :: v_dual_cndmask_b32 v26, -1, v26
	v_cmpx_lt_i64_e32 -1, v[25:26]
	s_cbranch_execz .LBB64_111
; %bb.100:
	v_mov_b32_e32 v30, 1.0
	s_mov_b32 s14, exec_lo
	v_cmpx_lt_i64_e32 0, v[25:26]
	s_cbranch_execz .LBB64_110
; %bb.101:
	v_cvt_f32_f16_e32 v21, v43
                                        ; implicit-def: $vgpr30
	s_mov_b32 s10, exec_lo
	v_cmpx_ne_u64_e32 1, v[25:26]
	s_xor_b32 s16, exec_lo, s10
	s_cbranch_execz .LBB64_107
; %bb.102:
	v_mov_b32_e32 v30, 0x7fc00000
	s_mov_b32 s17, exec_lo
	v_cmpx_gt_u64_e32 0x81, v[25:26]
	s_cbranch_execz .LBB64_106
; %bb.103:
	v_add_f32_e32 v21, v21, v21
	v_lshlrev_b64 v[25:26], 1, v[25:26]
	v_mov_b32_e32 v45, 1.0
	s_mov_b64 s[10:11], 2
	s_mov_b32 s18, 0
	v_mov_b32_e32 v30, v21
	.p2align	6
.LBB64_104:                             ; =>This Inner Loop Header: Depth=1
	s_clz_i32_u32 s19, s11
	s_delay_alu instid0(SALU_CYCLE_1) | instskip(NEXT) | instid1(SALU_CYCLE_1)
	s_min_u32 s19, s19, 32
	s_lshl_b64 s[20:21], s[10:11], s19
	s_sub_i32 s19, 32, s19
	s_min_u32 s20, s20, 1
	s_delay_alu instid0(SALU_CYCLE_1) | instskip(SKIP_3) | instid1(SALU_CYCLE_1)
	s_or_b32 s20, s21, s20
	s_add_u32 s10, s10, 2
	v_cvt_f32_u32_e32 v46, s20
	s_addc_u32 s11, s11, 0
	v_cmp_ge_u64_e32 vcc_lo, s[10:11], v[25:26]
	s_delay_alu instid0(VALU_DEP_2) | instskip(SKIP_1) | instid1(VALU_DEP_1)
	v_ldexp_f32 v46, v46, s19
	s_or_b32 s18, vcc_lo, s18
	v_dual_mul_f32 v46, v45, v46 :: v_dual_mov_b32 v45, v30
	s_delay_alu instid0(VALU_DEP_1)
	v_fma_f32 v30, v21, v30, -v46
	s_and_not1_b32 exec_lo, exec_lo, s18
	s_cbranch_execnz .LBB64_104
; %bb.105:
	s_or_b32 exec_lo, exec_lo, s18
.LBB64_106:
	s_delay_alu instid0(SALU_CYCLE_1)
	s_or_b32 exec_lo, exec_lo, s17
                                        ; implicit-def: $vgpr21
.LBB64_107:
	s_and_not1_saveexec_b32 s10, s16
; %bb.108:
	v_add_f32_e32 v30, v21, v21
; %bb.109:
	s_or_b32 exec_lo, exec_lo, s10
.LBB64_110:
	s_delay_alu instid0(SALU_CYCLE_1)
	s_or_b32 exec_lo, exec_lo, s14
.LBB64_111:
	s_delay_alu instid0(SALU_CYCLE_1) | instskip(SKIP_2) | instid1(VALU_DEP_1)
	s_or_b32 exec_lo, exec_lo, s13
	v_cvt_f16_f32_e32 v21, v22
	s_mov_b32 s13, exec_lo
	v_cvt_f32_f16_e32 v22, v21
	v_cmp_class_f16_e64 vcc_lo, v21, 0x1f8
	s_delay_alu instid0(VALU_DEP_2) | instskip(NEXT) | instid1(VALU_DEP_1)
	v_cvt_i32_f32_e32 v25, v22
	v_ashrrev_i32_e32 v22, 31, v25
	v_cndmask_b32_e32 v21, -1, v25, vcc_lo
	s_delay_alu instid0(VALU_DEP_2) | instskip(NEXT) | instid1(VALU_DEP_1)
	v_dual_mov_b32 v25, 0 :: v_dual_cndmask_b32 v22, -1, v22
	v_cmpx_lt_i64_e32 -1, v[21:22]
	s_cbranch_execz .LBB64_123
; %bb.112:
	v_mov_b32_e32 v25, 1.0
	s_mov_b32 s14, exec_lo
	v_cmpx_lt_i64_e32 0, v[21:22]
	s_cbranch_execz .LBB64_122
; %bb.113:
	v_lshrrev_b32_e32 v25, 16, v43
	s_mov_b32 s10, exec_lo
	s_delay_alu instid0(VALU_DEP_1)
	v_cvt_f32_f16_e32 v26, v25
                                        ; implicit-def: $vgpr25
	v_cmpx_ne_u64_e32 1, v[21:22]
	s_xor_b32 s16, exec_lo, s10
	s_cbranch_execz .LBB64_119
; %bb.114:
	v_mov_b32_e32 v25, 0x7fc00000
	s_mov_b32 s17, exec_lo
	v_cmpx_gt_u64_e32 0x81, v[21:22]
	s_cbranch_execz .LBB64_118
; %bb.115:
	v_dual_add_f32 v26, v26, v26 :: v_dual_mov_b32 v43, 1.0
	v_lshlrev_b64 v[21:22], 1, v[21:22]
	s_mov_b64 s[10:11], 2
	s_mov_b32 s18, 0
	s_delay_alu instid0(VALU_DEP_2)
	v_mov_b32_e32 v25, v26
	.p2align	6
.LBB64_116:                             ; =>This Inner Loop Header: Depth=1
	s_clz_i32_u32 s19, s11
	s_delay_alu instid0(SALU_CYCLE_1) | instskip(NEXT) | instid1(SALU_CYCLE_1)
	s_min_u32 s19, s19, 32
	s_lshl_b64 s[20:21], s[10:11], s19
	s_sub_i32 s19, 32, s19
	s_min_u32 s20, s20, 1
	s_delay_alu instid0(SALU_CYCLE_1) | instskip(SKIP_3) | instid1(SALU_CYCLE_1)
	s_or_b32 s20, s21, s20
	s_add_u32 s10, s10, 2
	v_cvt_f32_u32_e32 v45, s20
	s_addc_u32 s11, s11, 0
	v_cmp_ge_u64_e32 vcc_lo, s[10:11], v[21:22]
	s_delay_alu instid0(VALU_DEP_2) | instskip(SKIP_1) | instid1(VALU_DEP_1)
	v_ldexp_f32 v45, v45, s19
	s_or_b32 s18, vcc_lo, s18
	v_mul_f32_e32 v45, v43, v45
	v_mov_b32_e32 v43, v25
	s_delay_alu instid0(VALU_DEP_2)
	v_fma_f32 v25, v26, v25, -v45
	s_and_not1_b32 exec_lo, exec_lo, s18
	s_cbranch_execnz .LBB64_116
; %bb.117:
	s_or_b32 exec_lo, exec_lo, s18
.LBB64_118:
	s_delay_alu instid0(SALU_CYCLE_1)
	s_or_b32 exec_lo, exec_lo, s17
                                        ; implicit-def: $vgpr26
.LBB64_119:
	s_and_not1_saveexec_b32 s10, s16
; %bb.120:
	v_add_f32_e32 v25, v26, v26
; %bb.121:
	s_or_b32 exec_lo, exec_lo, s10
.LBB64_122:
	s_delay_alu instid0(SALU_CYCLE_1)
	s_or_b32 exec_lo, exec_lo, s14
.LBB64_123:
	s_delay_alu instid0(SALU_CYCLE_1) | instskip(SKIP_2) | instid1(VALU_DEP_1)
	s_or_b32 exec_lo, exec_lo, s13
	v_cvt_f16_f32_e32 v21, v23
	s_mov_b32 s13, exec_lo
	v_cvt_f32_f16_e32 v22, v21
	v_cmp_class_f16_e64 vcc_lo, v21, 0x1f8
	s_delay_alu instid0(VALU_DEP_2) | instskip(NEXT) | instid1(VALU_DEP_1)
	v_cvt_i32_f32_e32 v23, v22
	v_ashrrev_i32_e32 v22, 31, v23
	v_cndmask_b32_e32 v21, -1, v23, vcc_lo
	s_delay_alu instid0(VALU_DEP_2) | instskip(NEXT) | instid1(VALU_DEP_1)
	v_dual_mov_b32 v23, 0 :: v_dual_cndmask_b32 v22, -1, v22
	v_cmpx_lt_i64_e32 -1, v[21:22]
	s_cbranch_execz .LBB64_135
; %bb.124:
	v_mov_b32_e32 v23, 1.0
	s_mov_b32 s14, exec_lo
	v_cmpx_lt_i64_e32 0, v[21:22]
	s_cbranch_execz .LBB64_134
; %bb.125:
	v_cvt_f32_f16_e32 v26, v44
                                        ; implicit-def: $vgpr23
	s_mov_b32 s10, exec_lo
	v_cmpx_ne_u64_e32 1, v[21:22]
	s_xor_b32 s16, exec_lo, s10
	s_cbranch_execz .LBB64_131
; %bb.126:
	v_mov_b32_e32 v23, 0x7fc00000
	s_mov_b32 s17, exec_lo
	v_cmpx_gt_u64_e32 0x81, v[21:22]
	s_cbranch_execz .LBB64_130
; %bb.127:
	v_dual_add_f32 v26, v26, v26 :: v_dual_mov_b32 v43, 1.0
	v_lshlrev_b64 v[21:22], 1, v[21:22]
	s_mov_b64 s[10:11], 2
	s_mov_b32 s18, 0
	s_delay_alu instid0(VALU_DEP_2)
	v_mov_b32_e32 v23, v26
	.p2align	6
.LBB64_128:                             ; =>This Inner Loop Header: Depth=1
	s_clz_i32_u32 s19, s11
	s_delay_alu instid0(SALU_CYCLE_1) | instskip(NEXT) | instid1(SALU_CYCLE_1)
	s_min_u32 s19, s19, 32
	s_lshl_b64 s[20:21], s[10:11], s19
	s_sub_i32 s19, 32, s19
	s_min_u32 s20, s20, 1
	s_delay_alu instid0(SALU_CYCLE_1) | instskip(SKIP_3) | instid1(SALU_CYCLE_1)
	s_or_b32 s20, s21, s20
	s_add_u32 s10, s10, 2
	v_cvt_f32_u32_e32 v45, s20
	s_addc_u32 s11, s11, 0
	v_cmp_ge_u64_e32 vcc_lo, s[10:11], v[21:22]
	s_delay_alu instid0(VALU_DEP_2) | instskip(SKIP_1) | instid1(VALU_DEP_1)
	v_ldexp_f32 v45, v45, s19
	s_or_b32 s18, vcc_lo, s18
	v_mul_f32_e32 v45, v43, v45
	v_mov_b32_e32 v43, v23
	s_delay_alu instid0(VALU_DEP_2)
	v_fma_f32 v23, v26, v23, -v45
	s_and_not1_b32 exec_lo, exec_lo, s18
	s_cbranch_execnz .LBB64_128
; %bb.129:
	s_or_b32 exec_lo, exec_lo, s18
.LBB64_130:
	s_delay_alu instid0(SALU_CYCLE_1)
	s_or_b32 exec_lo, exec_lo, s17
                                        ; implicit-def: $vgpr26
.LBB64_131:
	s_and_not1_saveexec_b32 s10, s16
; %bb.132:
	v_add_f32_e32 v23, v26, v26
; %bb.133:
	s_or_b32 exec_lo, exec_lo, s10
.LBB64_134:
	s_delay_alu instid0(SALU_CYCLE_1)
	s_or_b32 exec_lo, exec_lo, s14
.LBB64_135:
	s_delay_alu instid0(SALU_CYCLE_1) | instskip(SKIP_2) | instid1(VALU_DEP_1)
	s_or_b32 exec_lo, exec_lo, s13
	v_cvt_f16_f32_e32 v21, v24
	s_mov_b32 s13, exec_lo
	v_cvt_f32_f16_e32 v22, v21
	v_cmp_class_f16_e64 vcc_lo, v21, 0x1f8
	s_delay_alu instid0(VALU_DEP_2) | instskip(NEXT) | instid1(VALU_DEP_1)
	v_cvt_i32_f32_e32 v24, v22
	v_ashrrev_i32_e32 v22, 31, v24
	v_dual_cndmask_b32 v21, -1, v24 :: v_dual_mov_b32 v24, 0
	s_delay_alu instid0(VALU_DEP_2) | instskip(NEXT) | instid1(VALU_DEP_1)
	v_cndmask_b32_e32 v22, -1, v22, vcc_lo
	v_cmpx_lt_i64_e32 -1, v[21:22]
	s_cbranch_execz .LBB64_147
; %bb.136:
	v_mov_b32_e32 v24, 1.0
	s_mov_b32 s14, exec_lo
	v_cmpx_lt_i64_e32 0, v[21:22]
	s_cbranch_execz .LBB64_146
; %bb.137:
	v_lshrrev_b32_e32 v24, 16, v44
	s_mov_b32 s10, exec_lo
	s_delay_alu instid0(VALU_DEP_1)
	v_cvt_f32_f16_e32 v26, v24
                                        ; implicit-def: $vgpr24
	v_cmpx_ne_u64_e32 1, v[21:22]
	s_xor_b32 s16, exec_lo, s10
	s_cbranch_execz .LBB64_143
; %bb.138:
	v_mov_b32_e32 v24, 0x7fc00000
	s_mov_b32 s17, exec_lo
	v_cmpx_gt_u64_e32 0x81, v[21:22]
	s_cbranch_execz .LBB64_142
; %bb.139:
	v_dual_add_f32 v26, v26, v26 :: v_dual_mov_b32 v43, 1.0
	v_lshlrev_b64 v[21:22], 1, v[21:22]
	s_mov_b64 s[10:11], 2
	s_mov_b32 s18, 0
	s_delay_alu instid0(VALU_DEP_2)
	v_mov_b32_e32 v24, v26
	.p2align	6
.LBB64_140:                             ; =>This Inner Loop Header: Depth=1
	s_clz_i32_u32 s19, s11
	s_delay_alu instid0(SALU_CYCLE_1) | instskip(NEXT) | instid1(SALU_CYCLE_1)
	s_min_u32 s19, s19, 32
	s_lshl_b64 s[20:21], s[10:11], s19
	s_sub_i32 s19, 32, s19
	s_min_u32 s20, s20, 1
	s_delay_alu instid0(SALU_CYCLE_1) | instskip(SKIP_3) | instid1(SALU_CYCLE_1)
	s_or_b32 s20, s21, s20
	s_add_u32 s10, s10, 2
	v_cvt_f32_u32_e32 v44, s20
	s_addc_u32 s11, s11, 0
	v_cmp_ge_u64_e32 vcc_lo, s[10:11], v[21:22]
	s_delay_alu instid0(VALU_DEP_2) | instskip(SKIP_1) | instid1(VALU_DEP_1)
	v_ldexp_f32 v44, v44, s19
	s_or_b32 s18, vcc_lo, s18
	v_dual_mul_f32 v44, v43, v44 :: v_dual_mov_b32 v43, v24
	s_delay_alu instid0(VALU_DEP_1)
	v_fma_f32 v24, v26, v24, -v44
	s_and_not1_b32 exec_lo, exec_lo, s18
	s_cbranch_execnz .LBB64_140
; %bb.141:
	s_or_b32 exec_lo, exec_lo, s18
.LBB64_142:
	s_delay_alu instid0(SALU_CYCLE_1)
	s_or_b32 exec_lo, exec_lo, s17
                                        ; implicit-def: $vgpr26
.LBB64_143:
	s_and_not1_saveexec_b32 s10, s16
; %bb.144:
	v_add_f32_e32 v24, v26, v26
; %bb.145:
	s_or_b32 exec_lo, exec_lo, s10
.LBB64_146:
	s_delay_alu instid0(SALU_CYCLE_1)
	s_or_b32 exec_lo, exec_lo, s14
.LBB64_147:
	s_delay_alu instid0(SALU_CYCLE_1) | instskip(SKIP_4) | instid1(VALU_DEP_2)
	s_or_b32 exec_lo, exec_lo, s13
	s_waitcnt vmcnt(4)
	v_cvt_f16_f32_e32 v17, v17
	v_mov_b32_e32 v26, 0
	s_mov_b32 s13, exec_lo
	v_cvt_f32_f16_e32 v21, v17
	v_cmp_class_f16_e64 vcc_lo, v17, 0x1f8
	s_delay_alu instid0(VALU_DEP_2) | instskip(NEXT) | instid1(VALU_DEP_1)
	v_cvt_i32_f32_e32 v21, v21
	v_ashrrev_i32_e32 v22, 31, v21
	s_delay_alu instid0(VALU_DEP_1) | instskip(NEXT) | instid1(VALU_DEP_1)
	v_dual_cndmask_b32 v21, -1, v21 :: v_dual_cndmask_b32 v22, -1, v22
	v_cmpx_lt_i64_e32 -1, v[21:22]
	s_cbranch_execz .LBB64_159
; %bb.148:
	v_mov_b32_e32 v26, 1.0
	s_mov_b32 s14, exec_lo
	v_cmpx_lt_i64_e32 0, v[21:22]
	s_cbranch_execz .LBB64_158
; %bb.149:
	v_cvt_f32_f16_e32 v17, v41
                                        ; implicit-def: $vgpr26
	s_mov_b32 s10, exec_lo
	v_cmpx_ne_u64_e32 1, v[21:22]
	s_xor_b32 s16, exec_lo, s10
	s_cbranch_execz .LBB64_155
; %bb.150:
	v_mov_b32_e32 v26, 0x7fc00000
	s_mov_b32 s17, exec_lo
	v_cmpx_gt_u64_e32 0x81, v[21:22]
	s_cbranch_execz .LBB64_154
; %bb.151:
	v_add_f32_e32 v17, v17, v17
	v_lshlrev_b64 v[21:22], 1, v[21:22]
	v_mov_b32_e32 v43, 1.0
	s_mov_b64 s[10:11], 2
	s_mov_b32 s18, 0
	v_mov_b32_e32 v26, v17
	.p2align	6
.LBB64_152:                             ; =>This Inner Loop Header: Depth=1
	s_clz_i32_u32 s19, s11
	s_delay_alu instid0(SALU_CYCLE_1) | instskip(NEXT) | instid1(SALU_CYCLE_1)
	s_min_u32 s19, s19, 32
	s_lshl_b64 s[20:21], s[10:11], s19
	s_sub_i32 s19, 32, s19
	s_min_u32 s20, s20, 1
	s_delay_alu instid0(SALU_CYCLE_1) | instskip(SKIP_3) | instid1(SALU_CYCLE_1)
	s_or_b32 s20, s21, s20
	s_add_u32 s10, s10, 2
	v_cvt_f32_u32_e32 v44, s20
	s_addc_u32 s11, s11, 0
	v_cmp_ge_u64_e32 vcc_lo, s[10:11], v[21:22]
	s_delay_alu instid0(VALU_DEP_2) | instskip(SKIP_1) | instid1(VALU_DEP_1)
	v_ldexp_f32 v44, v44, s19
	s_or_b32 s18, vcc_lo, s18
	v_dual_mul_f32 v44, v43, v44 :: v_dual_mov_b32 v43, v26
	s_delay_alu instid0(VALU_DEP_1)
	v_fma_f32 v26, v17, v26, -v44
	s_and_not1_b32 exec_lo, exec_lo, s18
	s_cbranch_execnz .LBB64_152
; %bb.153:
	s_or_b32 exec_lo, exec_lo, s18
.LBB64_154:
	s_delay_alu instid0(SALU_CYCLE_1)
	s_or_b32 exec_lo, exec_lo, s17
                                        ; implicit-def: $vgpr17
.LBB64_155:
	s_and_not1_saveexec_b32 s10, s16
; %bb.156:
	v_add_f32_e32 v26, v17, v17
; %bb.157:
	s_or_b32 exec_lo, exec_lo, s10
.LBB64_158:
	s_delay_alu instid0(SALU_CYCLE_1)
	s_or_b32 exec_lo, exec_lo, s14
.LBB64_159:
	s_delay_alu instid0(SALU_CYCLE_1) | instskip(SKIP_2) | instid1(VALU_DEP_1)
	s_or_b32 exec_lo, exec_lo, s13
	v_cvt_f16_f32_e32 v17, v18
	s_mov_b32 s13, exec_lo
	v_cvt_f32_f16_e32 v18, v17
	v_cmp_class_f16_e64 vcc_lo, v17, 0x1f8
	s_delay_alu instid0(VALU_DEP_2) | instskip(NEXT) | instid1(VALU_DEP_1)
	v_cvt_i32_f32_e32 v21, v18
	v_ashrrev_i32_e32 v18, 31, v21
	v_cndmask_b32_e32 v17, -1, v21, vcc_lo
	s_delay_alu instid0(VALU_DEP_2) | instskip(NEXT) | instid1(VALU_DEP_1)
	v_dual_mov_b32 v21, 0 :: v_dual_cndmask_b32 v18, -1, v18
	v_cmpx_lt_i64_e32 -1, v[17:18]
	s_cbranch_execz .LBB64_171
; %bb.160:
	v_mov_b32_e32 v21, 1.0
	s_mov_b32 s14, exec_lo
	v_cmpx_lt_i64_e32 0, v[17:18]
	s_cbranch_execz .LBB64_170
; %bb.161:
	v_lshrrev_b32_e32 v21, 16, v41
	s_mov_b32 s10, exec_lo
	s_delay_alu instid0(VALU_DEP_1)
	v_cvt_f32_f16_e32 v22, v21
                                        ; implicit-def: $vgpr21
	v_cmpx_ne_u64_e32 1, v[17:18]
	s_xor_b32 s16, exec_lo, s10
	s_cbranch_execz .LBB64_167
; %bb.162:
	v_mov_b32_e32 v21, 0x7fc00000
	s_mov_b32 s17, exec_lo
	v_cmpx_gt_u64_e32 0x81, v[17:18]
	s_cbranch_execz .LBB64_166
; %bb.163:
	v_dual_add_f32 v22, v22, v22 :: v_dual_mov_b32 v41, 1.0
	v_lshlrev_b64 v[17:18], 1, v[17:18]
	s_mov_b64 s[10:11], 2
	s_mov_b32 s18, 0
	s_delay_alu instid0(VALU_DEP_2)
	v_mov_b32_e32 v21, v22
	.p2align	6
.LBB64_164:                             ; =>This Inner Loop Header: Depth=1
	s_clz_i32_u32 s19, s11
	s_delay_alu instid0(SALU_CYCLE_1) | instskip(NEXT) | instid1(SALU_CYCLE_1)
	s_min_u32 s19, s19, 32
	s_lshl_b64 s[20:21], s[10:11], s19
	s_sub_i32 s19, 32, s19
	s_min_u32 s20, s20, 1
	s_delay_alu instid0(SALU_CYCLE_1) | instskip(SKIP_3) | instid1(SALU_CYCLE_1)
	s_or_b32 s20, s21, s20
	s_add_u32 s10, s10, 2
	v_cvt_f32_u32_e32 v43, s20
	s_addc_u32 s11, s11, 0
	v_cmp_ge_u64_e32 vcc_lo, s[10:11], v[17:18]
	s_delay_alu instid0(VALU_DEP_2) | instskip(SKIP_1) | instid1(VALU_DEP_1)
	v_ldexp_f32 v43, v43, s19
	s_or_b32 s18, vcc_lo, s18
	v_mul_f32_e32 v43, v41, v43
	v_mov_b32_e32 v41, v21
	s_delay_alu instid0(VALU_DEP_2)
	v_fma_f32 v21, v22, v21, -v43
	s_and_not1_b32 exec_lo, exec_lo, s18
	s_cbranch_execnz .LBB64_164
; %bb.165:
	s_or_b32 exec_lo, exec_lo, s18
.LBB64_166:
	s_delay_alu instid0(SALU_CYCLE_1)
	s_or_b32 exec_lo, exec_lo, s17
                                        ; implicit-def: $vgpr22
.LBB64_167:
	s_and_not1_saveexec_b32 s10, s16
; %bb.168:
	v_add_f32_e32 v21, v22, v22
; %bb.169:
	s_or_b32 exec_lo, exec_lo, s10
.LBB64_170:
	s_delay_alu instid0(SALU_CYCLE_1)
	s_or_b32 exec_lo, exec_lo, s14
.LBB64_171:
	s_delay_alu instid0(SALU_CYCLE_1) | instskip(SKIP_2) | instid1(VALU_DEP_1)
	s_or_b32 exec_lo, exec_lo, s13
	v_cvt_f16_f32_e32 v17, v19
	s_mov_b32 s13, exec_lo
	v_cvt_f32_f16_e32 v18, v17
	v_cmp_class_f16_e64 vcc_lo, v17, 0x1f8
	s_delay_alu instid0(VALU_DEP_2) | instskip(NEXT) | instid1(VALU_DEP_1)
	v_cvt_i32_f32_e32 v19, v18
	v_ashrrev_i32_e32 v18, 31, v19
	v_cndmask_b32_e32 v17, -1, v19, vcc_lo
	s_delay_alu instid0(VALU_DEP_2) | instskip(NEXT) | instid1(VALU_DEP_1)
	v_dual_mov_b32 v19, 0 :: v_dual_cndmask_b32 v18, -1, v18
	v_cmpx_lt_i64_e32 -1, v[17:18]
	s_cbranch_execz .LBB64_183
; %bb.172:
	v_mov_b32_e32 v19, 1.0
	s_mov_b32 s14, exec_lo
	v_cmpx_lt_i64_e32 0, v[17:18]
	s_cbranch_execz .LBB64_182
; %bb.173:
	v_cvt_f32_f16_e32 v22, v42
                                        ; implicit-def: $vgpr19
	s_mov_b32 s10, exec_lo
	v_cmpx_ne_u64_e32 1, v[17:18]
	s_xor_b32 s16, exec_lo, s10
	s_cbranch_execz .LBB64_179
; %bb.174:
	v_mov_b32_e32 v19, 0x7fc00000
	s_mov_b32 s17, exec_lo
	v_cmpx_gt_u64_e32 0x81, v[17:18]
	s_cbranch_execz .LBB64_178
; %bb.175:
	v_dual_add_f32 v22, v22, v22 :: v_dual_mov_b32 v41, 1.0
	v_lshlrev_b64 v[17:18], 1, v[17:18]
	s_mov_b64 s[10:11], 2
	s_mov_b32 s18, 0
	s_delay_alu instid0(VALU_DEP_2)
	v_mov_b32_e32 v19, v22
	.p2align	6
.LBB64_176:                             ; =>This Inner Loop Header: Depth=1
	s_clz_i32_u32 s19, s11
	s_delay_alu instid0(SALU_CYCLE_1) | instskip(NEXT) | instid1(SALU_CYCLE_1)
	s_min_u32 s19, s19, 32
	s_lshl_b64 s[20:21], s[10:11], s19
	s_sub_i32 s19, 32, s19
	s_min_u32 s20, s20, 1
	s_delay_alu instid0(SALU_CYCLE_1) | instskip(SKIP_3) | instid1(SALU_CYCLE_1)
	s_or_b32 s20, s21, s20
	s_add_u32 s10, s10, 2
	v_cvt_f32_u32_e32 v43, s20
	s_addc_u32 s11, s11, 0
	v_cmp_ge_u64_e32 vcc_lo, s[10:11], v[17:18]
	s_delay_alu instid0(VALU_DEP_2) | instskip(SKIP_1) | instid1(VALU_DEP_1)
	v_ldexp_f32 v43, v43, s19
	s_or_b32 s18, vcc_lo, s18
	v_mul_f32_e32 v43, v41, v43
	v_mov_b32_e32 v41, v19
	s_delay_alu instid0(VALU_DEP_2)
	v_fma_f32 v19, v22, v19, -v43
	s_and_not1_b32 exec_lo, exec_lo, s18
	s_cbranch_execnz .LBB64_176
; %bb.177:
	s_or_b32 exec_lo, exec_lo, s18
.LBB64_178:
	s_delay_alu instid0(SALU_CYCLE_1)
	s_or_b32 exec_lo, exec_lo, s17
                                        ; implicit-def: $vgpr22
.LBB64_179:
	s_and_not1_saveexec_b32 s10, s16
; %bb.180:
	v_add_f32_e32 v19, v22, v22
; %bb.181:
	s_or_b32 exec_lo, exec_lo, s10
.LBB64_182:
	s_delay_alu instid0(SALU_CYCLE_1)
	s_or_b32 exec_lo, exec_lo, s14
.LBB64_183:
	s_delay_alu instid0(SALU_CYCLE_1) | instskip(SKIP_2) | instid1(VALU_DEP_1)
	s_or_b32 exec_lo, exec_lo, s13
	v_cvt_f16_f32_e32 v17, v20
	s_mov_b32 s13, exec_lo
	v_cvt_f32_f16_e32 v18, v17
	v_cmp_class_f16_e64 vcc_lo, v17, 0x1f8
	s_delay_alu instid0(VALU_DEP_2) | instskip(NEXT) | instid1(VALU_DEP_1)
	v_cvt_i32_f32_e32 v20, v18
	v_ashrrev_i32_e32 v18, 31, v20
	v_dual_cndmask_b32 v17, -1, v20 :: v_dual_mov_b32 v20, 0
	s_delay_alu instid0(VALU_DEP_2) | instskip(NEXT) | instid1(VALU_DEP_1)
	v_cndmask_b32_e32 v18, -1, v18, vcc_lo
	v_cmpx_lt_i64_e32 -1, v[17:18]
	s_cbranch_execz .LBB64_195
; %bb.184:
	v_mov_b32_e32 v20, 1.0
	s_mov_b32 s14, exec_lo
	v_cmpx_lt_i64_e32 0, v[17:18]
	s_cbranch_execz .LBB64_194
; %bb.185:
	v_lshrrev_b32_e32 v20, 16, v42
	s_mov_b32 s10, exec_lo
	s_delay_alu instid0(VALU_DEP_1)
	v_cvt_f32_f16_e32 v22, v20
                                        ; implicit-def: $vgpr20
	v_cmpx_ne_u64_e32 1, v[17:18]
	s_xor_b32 s16, exec_lo, s10
	s_cbranch_execz .LBB64_191
; %bb.186:
	v_mov_b32_e32 v20, 0x7fc00000
	s_mov_b32 s17, exec_lo
	v_cmpx_gt_u64_e32 0x81, v[17:18]
	s_cbranch_execz .LBB64_190
; %bb.187:
	v_dual_add_f32 v22, v22, v22 :: v_dual_mov_b32 v41, 1.0
	v_lshlrev_b64 v[17:18], 1, v[17:18]
	s_mov_b64 s[10:11], 2
	s_mov_b32 s18, 0
	s_delay_alu instid0(VALU_DEP_2)
	v_mov_b32_e32 v20, v22
	.p2align	6
.LBB64_188:                             ; =>This Inner Loop Header: Depth=1
	s_clz_i32_u32 s19, s11
	s_delay_alu instid0(SALU_CYCLE_1) | instskip(NEXT) | instid1(SALU_CYCLE_1)
	s_min_u32 s19, s19, 32
	s_lshl_b64 s[20:21], s[10:11], s19
	s_sub_i32 s19, 32, s19
	s_min_u32 s20, s20, 1
	s_delay_alu instid0(SALU_CYCLE_1) | instskip(SKIP_3) | instid1(SALU_CYCLE_1)
	s_or_b32 s20, s21, s20
	s_add_u32 s10, s10, 2
	v_cvt_f32_u32_e32 v42, s20
	s_addc_u32 s11, s11, 0
	v_cmp_ge_u64_e32 vcc_lo, s[10:11], v[17:18]
	s_delay_alu instid0(VALU_DEP_2) | instskip(SKIP_1) | instid1(VALU_DEP_1)
	v_ldexp_f32 v42, v42, s19
	s_or_b32 s18, vcc_lo, s18
	v_dual_mul_f32 v42, v41, v42 :: v_dual_mov_b32 v41, v20
	s_delay_alu instid0(VALU_DEP_1)
	v_fma_f32 v20, v22, v20, -v42
	s_and_not1_b32 exec_lo, exec_lo, s18
	s_cbranch_execnz .LBB64_188
; %bb.189:
	s_or_b32 exec_lo, exec_lo, s18
.LBB64_190:
	s_delay_alu instid0(SALU_CYCLE_1)
	s_or_b32 exec_lo, exec_lo, s17
                                        ; implicit-def: $vgpr22
.LBB64_191:
	s_and_not1_saveexec_b32 s10, s16
; %bb.192:
	v_add_f32_e32 v20, v22, v22
; %bb.193:
	s_or_b32 exec_lo, exec_lo, s10
.LBB64_194:
	s_delay_alu instid0(SALU_CYCLE_1)
	s_or_b32 exec_lo, exec_lo, s14
.LBB64_195:
	s_delay_alu instid0(SALU_CYCLE_1) | instskip(SKIP_4) | instid1(VALU_DEP_2)
	s_or_b32 exec_lo, exec_lo, s13
	s_waitcnt vmcnt(3)
	v_cvt_f16_f32_e32 v13, v13
	v_mov_b32_e32 v22, 0
	s_mov_b32 s13, exec_lo
	v_cvt_f32_f16_e32 v17, v13
	v_cmp_class_f16_e64 vcc_lo, v13, 0x1f8
	s_delay_alu instid0(VALU_DEP_2) | instskip(NEXT) | instid1(VALU_DEP_1)
	v_cvt_i32_f32_e32 v17, v17
	v_ashrrev_i32_e32 v18, 31, v17
	s_delay_alu instid0(VALU_DEP_1) | instskip(NEXT) | instid1(VALU_DEP_1)
	v_dual_cndmask_b32 v17, -1, v17 :: v_dual_cndmask_b32 v18, -1, v18
	v_cmpx_lt_i64_e32 -1, v[17:18]
	s_cbranch_execz .LBB64_207
; %bb.196:
	v_mov_b32_e32 v22, 1.0
	s_mov_b32 s14, exec_lo
	v_cmpx_lt_i64_e32 0, v[17:18]
	s_cbranch_execz .LBB64_206
; %bb.197:
	v_cvt_f32_f16_e32 v13, v39
                                        ; implicit-def: $vgpr22
	s_mov_b32 s10, exec_lo
	v_cmpx_ne_u64_e32 1, v[17:18]
	s_xor_b32 s16, exec_lo, s10
	s_cbranch_execz .LBB64_203
; %bb.198:
	v_mov_b32_e32 v22, 0x7fc00000
	s_mov_b32 s17, exec_lo
	v_cmpx_gt_u64_e32 0x81, v[17:18]
	s_cbranch_execz .LBB64_202
; %bb.199:
	v_add_f32_e32 v13, v13, v13
	v_lshlrev_b64 v[17:18], 1, v[17:18]
	v_mov_b32_e32 v41, 1.0
	s_mov_b64 s[10:11], 2
	s_mov_b32 s18, 0
	v_mov_b32_e32 v22, v13
	.p2align	6
.LBB64_200:                             ; =>This Inner Loop Header: Depth=1
	s_clz_i32_u32 s19, s11
	s_delay_alu instid0(SALU_CYCLE_1) | instskip(NEXT) | instid1(SALU_CYCLE_1)
	s_min_u32 s19, s19, 32
	s_lshl_b64 s[20:21], s[10:11], s19
	s_sub_i32 s19, 32, s19
	s_min_u32 s20, s20, 1
	s_delay_alu instid0(SALU_CYCLE_1) | instskip(SKIP_3) | instid1(SALU_CYCLE_1)
	s_or_b32 s20, s21, s20
	s_add_u32 s10, s10, 2
	v_cvt_f32_u32_e32 v42, s20
	s_addc_u32 s11, s11, 0
	v_cmp_ge_u64_e32 vcc_lo, s[10:11], v[17:18]
	s_delay_alu instid0(VALU_DEP_2) | instskip(SKIP_1) | instid1(VALU_DEP_1)
	v_ldexp_f32 v42, v42, s19
	s_or_b32 s18, vcc_lo, s18
	v_dual_mul_f32 v42, v41, v42 :: v_dual_mov_b32 v41, v22
	s_delay_alu instid0(VALU_DEP_1)
	v_fma_f32 v22, v13, v22, -v42
	s_and_not1_b32 exec_lo, exec_lo, s18
	s_cbranch_execnz .LBB64_200
; %bb.201:
	s_or_b32 exec_lo, exec_lo, s18
.LBB64_202:
	s_delay_alu instid0(SALU_CYCLE_1)
	s_or_b32 exec_lo, exec_lo, s17
                                        ; implicit-def: $vgpr13
.LBB64_203:
	s_and_not1_saveexec_b32 s10, s16
; %bb.204:
	v_add_f32_e32 v22, v13, v13
; %bb.205:
	s_or_b32 exec_lo, exec_lo, s10
.LBB64_206:
	s_delay_alu instid0(SALU_CYCLE_1)
	s_or_b32 exec_lo, exec_lo, s14
.LBB64_207:
	s_delay_alu instid0(SALU_CYCLE_1) | instskip(SKIP_2) | instid1(VALU_DEP_1)
	s_or_b32 exec_lo, exec_lo, s13
	v_cvt_f16_f32_e32 v13, v14
	s_mov_b32 s13, exec_lo
	v_cvt_f32_f16_e32 v14, v13
	v_cmp_class_f16_e64 vcc_lo, v13, 0x1f8
	s_delay_alu instid0(VALU_DEP_2) | instskip(NEXT) | instid1(VALU_DEP_1)
	v_cvt_i32_f32_e32 v17, v14
	v_ashrrev_i32_e32 v14, 31, v17
	v_cndmask_b32_e32 v13, -1, v17, vcc_lo
	s_delay_alu instid0(VALU_DEP_2) | instskip(NEXT) | instid1(VALU_DEP_1)
	v_dual_mov_b32 v17, 0 :: v_dual_cndmask_b32 v14, -1, v14
	v_cmpx_lt_i64_e32 -1, v[13:14]
	s_cbranch_execz .LBB64_219
; %bb.208:
	v_mov_b32_e32 v17, 1.0
	s_mov_b32 s14, exec_lo
	v_cmpx_lt_i64_e32 0, v[13:14]
	s_cbranch_execz .LBB64_218
; %bb.209:
	v_lshrrev_b32_e32 v17, 16, v39
	s_mov_b32 s10, exec_lo
	s_delay_alu instid0(VALU_DEP_1)
	v_cvt_f32_f16_e32 v18, v17
                                        ; implicit-def: $vgpr17
	v_cmpx_ne_u64_e32 1, v[13:14]
	s_xor_b32 s16, exec_lo, s10
	s_cbranch_execz .LBB64_215
; %bb.210:
	v_mov_b32_e32 v17, 0x7fc00000
	s_mov_b32 s17, exec_lo
	v_cmpx_gt_u64_e32 0x81, v[13:14]
	s_cbranch_execz .LBB64_214
; %bb.211:
	v_dual_add_f32 v18, v18, v18 :: v_dual_mov_b32 v39, 1.0
	v_lshlrev_b64 v[13:14], 1, v[13:14]
	s_mov_b64 s[10:11], 2
	s_mov_b32 s18, 0
	s_delay_alu instid0(VALU_DEP_2)
	v_mov_b32_e32 v17, v18
	.p2align	6
.LBB64_212:                             ; =>This Inner Loop Header: Depth=1
	s_clz_i32_u32 s19, s11
	s_delay_alu instid0(SALU_CYCLE_1) | instskip(NEXT) | instid1(SALU_CYCLE_1)
	s_min_u32 s19, s19, 32
	s_lshl_b64 s[20:21], s[10:11], s19
	s_sub_i32 s19, 32, s19
	s_min_u32 s20, s20, 1
	s_delay_alu instid0(SALU_CYCLE_1) | instskip(SKIP_3) | instid1(SALU_CYCLE_1)
	s_or_b32 s20, s21, s20
	s_add_u32 s10, s10, 2
	v_cvt_f32_u32_e32 v41, s20
	s_addc_u32 s11, s11, 0
	v_cmp_ge_u64_e32 vcc_lo, s[10:11], v[13:14]
	s_delay_alu instid0(VALU_DEP_2) | instskip(SKIP_1) | instid1(VALU_DEP_1)
	v_ldexp_f32 v41, v41, s19
	s_or_b32 s18, vcc_lo, s18
	v_mul_f32_e32 v41, v39, v41
	v_mov_b32_e32 v39, v17
	s_delay_alu instid0(VALU_DEP_2)
	v_fma_f32 v17, v18, v17, -v41
	s_and_not1_b32 exec_lo, exec_lo, s18
	s_cbranch_execnz .LBB64_212
; %bb.213:
	s_or_b32 exec_lo, exec_lo, s18
.LBB64_214:
	s_delay_alu instid0(SALU_CYCLE_1)
	s_or_b32 exec_lo, exec_lo, s17
                                        ; implicit-def: $vgpr18
.LBB64_215:
	s_and_not1_saveexec_b32 s10, s16
; %bb.216:
	v_add_f32_e32 v17, v18, v18
; %bb.217:
	s_or_b32 exec_lo, exec_lo, s10
.LBB64_218:
	s_delay_alu instid0(SALU_CYCLE_1)
	s_or_b32 exec_lo, exec_lo, s14
.LBB64_219:
	s_delay_alu instid0(SALU_CYCLE_1) | instskip(SKIP_2) | instid1(VALU_DEP_1)
	s_or_b32 exec_lo, exec_lo, s13
	v_cvt_f16_f32_e32 v13, v15
	s_mov_b32 s13, exec_lo
	v_cvt_f32_f16_e32 v14, v13
	v_cmp_class_f16_e64 vcc_lo, v13, 0x1f8
	s_delay_alu instid0(VALU_DEP_2) | instskip(NEXT) | instid1(VALU_DEP_1)
	v_cvt_i32_f32_e32 v15, v14
	v_ashrrev_i32_e32 v14, 31, v15
	v_cndmask_b32_e32 v13, -1, v15, vcc_lo
	s_delay_alu instid0(VALU_DEP_2) | instskip(NEXT) | instid1(VALU_DEP_1)
	v_dual_mov_b32 v15, 0 :: v_dual_cndmask_b32 v14, -1, v14
	v_cmpx_lt_i64_e32 -1, v[13:14]
	s_cbranch_execz .LBB64_231
; %bb.220:
	v_mov_b32_e32 v15, 1.0
	s_mov_b32 s14, exec_lo
	v_cmpx_lt_i64_e32 0, v[13:14]
	s_cbranch_execz .LBB64_230
; %bb.221:
	v_cvt_f32_f16_e32 v18, v40
                                        ; implicit-def: $vgpr15
	s_mov_b32 s10, exec_lo
	v_cmpx_ne_u64_e32 1, v[13:14]
	s_xor_b32 s16, exec_lo, s10
	s_cbranch_execz .LBB64_227
; %bb.222:
	v_mov_b32_e32 v15, 0x7fc00000
	s_mov_b32 s17, exec_lo
	v_cmpx_gt_u64_e32 0x81, v[13:14]
	s_cbranch_execz .LBB64_226
; %bb.223:
	v_dual_add_f32 v18, v18, v18 :: v_dual_mov_b32 v39, 1.0
	v_lshlrev_b64 v[13:14], 1, v[13:14]
	s_mov_b64 s[10:11], 2
	s_mov_b32 s18, 0
	s_delay_alu instid0(VALU_DEP_2)
	v_mov_b32_e32 v15, v18
	.p2align	6
.LBB64_224:                             ; =>This Inner Loop Header: Depth=1
	s_clz_i32_u32 s19, s11
	s_delay_alu instid0(SALU_CYCLE_1) | instskip(NEXT) | instid1(SALU_CYCLE_1)
	s_min_u32 s19, s19, 32
	s_lshl_b64 s[20:21], s[10:11], s19
	s_sub_i32 s19, 32, s19
	s_min_u32 s20, s20, 1
	s_delay_alu instid0(SALU_CYCLE_1) | instskip(SKIP_3) | instid1(SALU_CYCLE_1)
	s_or_b32 s20, s21, s20
	s_add_u32 s10, s10, 2
	v_cvt_f32_u32_e32 v41, s20
	s_addc_u32 s11, s11, 0
	v_cmp_ge_u64_e32 vcc_lo, s[10:11], v[13:14]
	s_delay_alu instid0(VALU_DEP_2) | instskip(SKIP_1) | instid1(VALU_DEP_1)
	v_ldexp_f32 v41, v41, s19
	s_or_b32 s18, vcc_lo, s18
	v_mul_f32_e32 v41, v39, v41
	v_mov_b32_e32 v39, v15
	s_delay_alu instid0(VALU_DEP_2)
	v_fma_f32 v15, v18, v15, -v41
	s_and_not1_b32 exec_lo, exec_lo, s18
	s_cbranch_execnz .LBB64_224
; %bb.225:
	s_or_b32 exec_lo, exec_lo, s18
.LBB64_226:
	s_delay_alu instid0(SALU_CYCLE_1)
	s_or_b32 exec_lo, exec_lo, s17
                                        ; implicit-def: $vgpr18
.LBB64_227:
	s_and_not1_saveexec_b32 s10, s16
; %bb.228:
	v_add_f32_e32 v15, v18, v18
; %bb.229:
	s_or_b32 exec_lo, exec_lo, s10
.LBB64_230:
	s_delay_alu instid0(SALU_CYCLE_1)
	s_or_b32 exec_lo, exec_lo, s14
.LBB64_231:
	s_delay_alu instid0(SALU_CYCLE_1) | instskip(SKIP_2) | instid1(VALU_DEP_1)
	s_or_b32 exec_lo, exec_lo, s13
	v_cvt_f16_f32_e32 v13, v16
	s_mov_b32 s13, exec_lo
	v_cvt_f32_f16_e32 v14, v13
	v_cmp_class_f16_e64 vcc_lo, v13, 0x1f8
	s_delay_alu instid0(VALU_DEP_2) | instskip(NEXT) | instid1(VALU_DEP_1)
	v_cvt_i32_f32_e32 v16, v14
	v_ashrrev_i32_e32 v14, 31, v16
	v_dual_cndmask_b32 v13, -1, v16 :: v_dual_mov_b32 v16, 0
	s_delay_alu instid0(VALU_DEP_2) | instskip(NEXT) | instid1(VALU_DEP_1)
	v_cndmask_b32_e32 v14, -1, v14, vcc_lo
	v_cmpx_lt_i64_e32 -1, v[13:14]
	s_cbranch_execz .LBB64_243
; %bb.232:
	v_mov_b32_e32 v16, 1.0
	s_mov_b32 s14, exec_lo
	v_cmpx_lt_i64_e32 0, v[13:14]
	s_cbranch_execz .LBB64_242
; %bb.233:
	v_lshrrev_b32_e32 v16, 16, v40
	s_mov_b32 s10, exec_lo
	s_delay_alu instid0(VALU_DEP_1)
	v_cvt_f32_f16_e32 v18, v16
                                        ; implicit-def: $vgpr16
	v_cmpx_ne_u64_e32 1, v[13:14]
	s_xor_b32 s16, exec_lo, s10
	s_cbranch_execz .LBB64_239
; %bb.234:
	v_mov_b32_e32 v16, 0x7fc00000
	s_mov_b32 s17, exec_lo
	v_cmpx_gt_u64_e32 0x81, v[13:14]
	s_cbranch_execz .LBB64_238
; %bb.235:
	v_dual_add_f32 v18, v18, v18 :: v_dual_mov_b32 v39, 1.0
	v_lshlrev_b64 v[13:14], 1, v[13:14]
	s_mov_b64 s[10:11], 2
	s_mov_b32 s18, 0
	s_delay_alu instid0(VALU_DEP_2)
	v_mov_b32_e32 v16, v18
	.p2align	6
.LBB64_236:                             ; =>This Inner Loop Header: Depth=1
	s_clz_i32_u32 s19, s11
	s_delay_alu instid0(SALU_CYCLE_1) | instskip(NEXT) | instid1(SALU_CYCLE_1)
	s_min_u32 s19, s19, 32
	s_lshl_b64 s[20:21], s[10:11], s19
	s_sub_i32 s19, 32, s19
	s_min_u32 s20, s20, 1
	s_delay_alu instid0(SALU_CYCLE_1) | instskip(SKIP_3) | instid1(SALU_CYCLE_1)
	s_or_b32 s20, s21, s20
	s_add_u32 s10, s10, 2
	v_cvt_f32_u32_e32 v40, s20
	s_addc_u32 s11, s11, 0
	v_cmp_ge_u64_e32 vcc_lo, s[10:11], v[13:14]
	s_delay_alu instid0(VALU_DEP_2) | instskip(SKIP_1) | instid1(VALU_DEP_1)
	v_ldexp_f32 v40, v40, s19
	s_or_b32 s18, vcc_lo, s18
	v_dual_mul_f32 v40, v39, v40 :: v_dual_mov_b32 v39, v16
	s_delay_alu instid0(VALU_DEP_1)
	v_fma_f32 v16, v18, v16, -v40
	s_and_not1_b32 exec_lo, exec_lo, s18
	s_cbranch_execnz .LBB64_236
; %bb.237:
	s_or_b32 exec_lo, exec_lo, s18
.LBB64_238:
	s_delay_alu instid0(SALU_CYCLE_1)
	s_or_b32 exec_lo, exec_lo, s17
                                        ; implicit-def: $vgpr18
.LBB64_239:
	s_and_not1_saveexec_b32 s10, s16
; %bb.240:
	v_add_f32_e32 v16, v18, v18
; %bb.241:
	s_or_b32 exec_lo, exec_lo, s10
.LBB64_242:
	s_delay_alu instid0(SALU_CYCLE_1)
	s_or_b32 exec_lo, exec_lo, s14
.LBB64_243:
	s_delay_alu instid0(SALU_CYCLE_1) | instskip(SKIP_4) | instid1(VALU_DEP_2)
	s_or_b32 exec_lo, exec_lo, s13
	s_waitcnt vmcnt(2)
	v_cvt_f16_f32_e32 v9, v9
	v_mov_b32_e32 v18, 0
	s_mov_b32 s13, exec_lo
	v_cvt_f32_f16_e32 v13, v9
	v_cmp_class_f16_e64 vcc_lo, v9, 0x1f8
	s_delay_alu instid0(VALU_DEP_2) | instskip(NEXT) | instid1(VALU_DEP_1)
	v_cvt_i32_f32_e32 v13, v13
	v_ashrrev_i32_e32 v14, 31, v13
	s_delay_alu instid0(VALU_DEP_1) | instskip(NEXT) | instid1(VALU_DEP_1)
	v_dual_cndmask_b32 v13, -1, v13 :: v_dual_cndmask_b32 v14, -1, v14
	v_cmpx_lt_i64_e32 -1, v[13:14]
	s_cbranch_execz .LBB64_255
; %bb.244:
	v_mov_b32_e32 v18, 1.0
	s_mov_b32 s14, exec_lo
	v_cmpx_lt_i64_e32 0, v[13:14]
	s_cbranch_execz .LBB64_254
; %bb.245:
	v_cvt_f32_f16_e32 v9, v37
                                        ; implicit-def: $vgpr18
	s_mov_b32 s10, exec_lo
	v_cmpx_ne_u64_e32 1, v[13:14]
	s_xor_b32 s16, exec_lo, s10
	s_cbranch_execz .LBB64_251
; %bb.246:
	v_mov_b32_e32 v18, 0x7fc00000
	s_mov_b32 s17, exec_lo
	v_cmpx_gt_u64_e32 0x81, v[13:14]
	s_cbranch_execz .LBB64_250
; %bb.247:
	v_add_f32_e32 v9, v9, v9
	v_lshlrev_b64 v[13:14], 1, v[13:14]
	v_mov_b32_e32 v39, 1.0
	s_mov_b64 s[10:11], 2
	s_mov_b32 s18, 0
	v_mov_b32_e32 v18, v9
	.p2align	6
.LBB64_248:                             ; =>This Inner Loop Header: Depth=1
	s_clz_i32_u32 s19, s11
	s_delay_alu instid0(SALU_CYCLE_1) | instskip(NEXT) | instid1(SALU_CYCLE_1)
	s_min_u32 s19, s19, 32
	s_lshl_b64 s[20:21], s[10:11], s19
	s_sub_i32 s19, 32, s19
	s_min_u32 s20, s20, 1
	s_delay_alu instid0(SALU_CYCLE_1) | instskip(SKIP_3) | instid1(SALU_CYCLE_1)
	s_or_b32 s20, s21, s20
	s_add_u32 s10, s10, 2
	v_cvt_f32_u32_e32 v40, s20
	s_addc_u32 s11, s11, 0
	v_cmp_ge_u64_e32 vcc_lo, s[10:11], v[13:14]
	s_delay_alu instid0(VALU_DEP_2) | instskip(SKIP_1) | instid1(VALU_DEP_1)
	v_ldexp_f32 v40, v40, s19
	s_or_b32 s18, vcc_lo, s18
	v_dual_mul_f32 v40, v39, v40 :: v_dual_mov_b32 v39, v18
	s_delay_alu instid0(VALU_DEP_1)
	v_fma_f32 v18, v9, v18, -v40
	s_and_not1_b32 exec_lo, exec_lo, s18
	s_cbranch_execnz .LBB64_248
; %bb.249:
	s_or_b32 exec_lo, exec_lo, s18
.LBB64_250:
	s_delay_alu instid0(SALU_CYCLE_1)
	s_or_b32 exec_lo, exec_lo, s17
                                        ; implicit-def: $vgpr9
.LBB64_251:
	s_and_not1_saveexec_b32 s10, s16
; %bb.252:
	v_add_f32_e32 v18, v9, v9
; %bb.253:
	s_or_b32 exec_lo, exec_lo, s10
.LBB64_254:
	s_delay_alu instid0(SALU_CYCLE_1)
	s_or_b32 exec_lo, exec_lo, s14
.LBB64_255:
	s_delay_alu instid0(SALU_CYCLE_1) | instskip(SKIP_2) | instid1(VALU_DEP_1)
	s_or_b32 exec_lo, exec_lo, s13
	v_cvt_f16_f32_e32 v9, v10
	s_mov_b32 s13, exec_lo
	v_cvt_f32_f16_e32 v10, v9
	v_cmp_class_f16_e64 vcc_lo, v9, 0x1f8
	s_delay_alu instid0(VALU_DEP_2) | instskip(NEXT) | instid1(VALU_DEP_1)
	v_cvt_i32_f32_e32 v13, v10
	v_ashrrev_i32_e32 v10, 31, v13
	v_cndmask_b32_e32 v9, -1, v13, vcc_lo
	s_delay_alu instid0(VALU_DEP_2) | instskip(NEXT) | instid1(VALU_DEP_1)
	v_dual_mov_b32 v13, 0 :: v_dual_cndmask_b32 v10, -1, v10
	v_cmpx_lt_i64_e32 -1, v[9:10]
	s_cbranch_execz .LBB64_267
; %bb.256:
	v_mov_b32_e32 v13, 1.0
	s_mov_b32 s14, exec_lo
	v_cmpx_lt_i64_e32 0, v[9:10]
	s_cbranch_execz .LBB64_266
; %bb.257:
	v_lshrrev_b32_e32 v13, 16, v37
	s_mov_b32 s10, exec_lo
	s_delay_alu instid0(VALU_DEP_1)
	v_cvt_f32_f16_e32 v14, v13
                                        ; implicit-def: $vgpr13
	v_cmpx_ne_u64_e32 1, v[9:10]
	s_xor_b32 s16, exec_lo, s10
	s_cbranch_execz .LBB64_263
; %bb.258:
	v_mov_b32_e32 v13, 0x7fc00000
	s_mov_b32 s17, exec_lo
	v_cmpx_gt_u64_e32 0x81, v[9:10]
	s_cbranch_execz .LBB64_262
; %bb.259:
	v_dual_add_f32 v14, v14, v14 :: v_dual_mov_b32 v37, 1.0
	v_lshlrev_b64 v[9:10], 1, v[9:10]
	s_mov_b64 s[10:11], 2
	s_mov_b32 s18, 0
	s_delay_alu instid0(VALU_DEP_2)
	v_mov_b32_e32 v13, v14
	.p2align	6
.LBB64_260:                             ; =>This Inner Loop Header: Depth=1
	s_clz_i32_u32 s19, s11
	s_delay_alu instid0(SALU_CYCLE_1) | instskip(NEXT) | instid1(SALU_CYCLE_1)
	s_min_u32 s19, s19, 32
	s_lshl_b64 s[20:21], s[10:11], s19
	s_sub_i32 s19, 32, s19
	s_min_u32 s20, s20, 1
	s_delay_alu instid0(SALU_CYCLE_1) | instskip(SKIP_3) | instid1(SALU_CYCLE_1)
	s_or_b32 s20, s21, s20
	s_add_u32 s10, s10, 2
	v_cvt_f32_u32_e32 v39, s20
	s_addc_u32 s11, s11, 0
	v_cmp_ge_u64_e32 vcc_lo, s[10:11], v[9:10]
	s_delay_alu instid0(VALU_DEP_2) | instskip(SKIP_1) | instid1(VALU_DEP_1)
	v_ldexp_f32 v39, v39, s19
	s_or_b32 s18, vcc_lo, s18
	v_mul_f32_e32 v39, v37, v39
	v_mov_b32_e32 v37, v13
	s_delay_alu instid0(VALU_DEP_2)
	v_fma_f32 v13, v14, v13, -v39
	s_and_not1_b32 exec_lo, exec_lo, s18
	s_cbranch_execnz .LBB64_260
; %bb.261:
	s_or_b32 exec_lo, exec_lo, s18
.LBB64_262:
	s_delay_alu instid0(SALU_CYCLE_1)
	s_or_b32 exec_lo, exec_lo, s17
                                        ; implicit-def: $vgpr14
.LBB64_263:
	s_and_not1_saveexec_b32 s10, s16
; %bb.264:
	v_add_f32_e32 v13, v14, v14
; %bb.265:
	s_or_b32 exec_lo, exec_lo, s10
.LBB64_266:
	s_delay_alu instid0(SALU_CYCLE_1)
	s_or_b32 exec_lo, exec_lo, s14
.LBB64_267:
	s_delay_alu instid0(SALU_CYCLE_1) | instskip(SKIP_2) | instid1(VALU_DEP_1)
	s_or_b32 exec_lo, exec_lo, s13
	v_cvt_f16_f32_e32 v9, v11
	s_mov_b32 s13, exec_lo
	v_cvt_f32_f16_e32 v10, v9
	v_cmp_class_f16_e64 vcc_lo, v9, 0x1f8
	s_delay_alu instid0(VALU_DEP_2) | instskip(NEXT) | instid1(VALU_DEP_1)
	v_cvt_i32_f32_e32 v11, v10
	v_ashrrev_i32_e32 v10, 31, v11
	v_cndmask_b32_e32 v9, -1, v11, vcc_lo
	s_delay_alu instid0(VALU_DEP_2) | instskip(NEXT) | instid1(VALU_DEP_1)
	v_dual_mov_b32 v11, 0 :: v_dual_cndmask_b32 v10, -1, v10
	v_cmpx_lt_i64_e32 -1, v[9:10]
	s_cbranch_execz .LBB64_279
; %bb.268:
	v_mov_b32_e32 v11, 1.0
	s_mov_b32 s14, exec_lo
	v_cmpx_lt_i64_e32 0, v[9:10]
	s_cbranch_execz .LBB64_278
; %bb.269:
	v_cvt_f32_f16_e32 v14, v38
                                        ; implicit-def: $vgpr11
	s_mov_b32 s10, exec_lo
	v_cmpx_ne_u64_e32 1, v[9:10]
	s_xor_b32 s16, exec_lo, s10
	s_cbranch_execz .LBB64_275
; %bb.270:
	v_mov_b32_e32 v11, 0x7fc00000
	s_mov_b32 s17, exec_lo
	v_cmpx_gt_u64_e32 0x81, v[9:10]
	s_cbranch_execz .LBB64_274
; %bb.271:
	v_dual_add_f32 v14, v14, v14 :: v_dual_mov_b32 v37, 1.0
	v_lshlrev_b64 v[9:10], 1, v[9:10]
	s_mov_b64 s[10:11], 2
	s_mov_b32 s18, 0
	s_delay_alu instid0(VALU_DEP_2)
	v_mov_b32_e32 v11, v14
	.p2align	6
.LBB64_272:                             ; =>This Inner Loop Header: Depth=1
	s_clz_i32_u32 s19, s11
	s_delay_alu instid0(SALU_CYCLE_1) | instskip(NEXT) | instid1(SALU_CYCLE_1)
	s_min_u32 s19, s19, 32
	s_lshl_b64 s[20:21], s[10:11], s19
	s_sub_i32 s19, 32, s19
	s_min_u32 s20, s20, 1
	s_delay_alu instid0(SALU_CYCLE_1) | instskip(SKIP_3) | instid1(SALU_CYCLE_1)
	s_or_b32 s20, s21, s20
	s_add_u32 s10, s10, 2
	v_cvt_f32_u32_e32 v39, s20
	s_addc_u32 s11, s11, 0
	v_cmp_ge_u64_e32 vcc_lo, s[10:11], v[9:10]
	s_delay_alu instid0(VALU_DEP_2) | instskip(SKIP_1) | instid1(VALU_DEP_1)
	v_ldexp_f32 v39, v39, s19
	s_or_b32 s18, vcc_lo, s18
	v_mul_f32_e32 v39, v37, v39
	v_mov_b32_e32 v37, v11
	s_delay_alu instid0(VALU_DEP_2)
	v_fma_f32 v11, v14, v11, -v39
	s_and_not1_b32 exec_lo, exec_lo, s18
	s_cbranch_execnz .LBB64_272
; %bb.273:
	s_or_b32 exec_lo, exec_lo, s18
.LBB64_274:
	s_delay_alu instid0(SALU_CYCLE_1)
	s_or_b32 exec_lo, exec_lo, s17
                                        ; implicit-def: $vgpr14
.LBB64_275:
	s_and_not1_saveexec_b32 s10, s16
; %bb.276:
	v_add_f32_e32 v11, v14, v14
; %bb.277:
	s_or_b32 exec_lo, exec_lo, s10
.LBB64_278:
	s_delay_alu instid0(SALU_CYCLE_1)
	s_or_b32 exec_lo, exec_lo, s14
.LBB64_279:
	s_delay_alu instid0(SALU_CYCLE_1) | instskip(SKIP_2) | instid1(VALU_DEP_1)
	s_or_b32 exec_lo, exec_lo, s13
	v_cvt_f16_f32_e32 v9, v12
	s_mov_b32 s13, exec_lo
	v_cvt_f32_f16_e32 v10, v9
	v_cmp_class_f16_e64 vcc_lo, v9, 0x1f8
	s_delay_alu instid0(VALU_DEP_2) | instskip(NEXT) | instid1(VALU_DEP_1)
	v_cvt_i32_f32_e32 v12, v10
	v_ashrrev_i32_e32 v10, 31, v12
	v_dual_cndmask_b32 v9, -1, v12 :: v_dual_mov_b32 v12, 0
	s_delay_alu instid0(VALU_DEP_2) | instskip(NEXT) | instid1(VALU_DEP_1)
	v_cndmask_b32_e32 v10, -1, v10, vcc_lo
	v_cmpx_lt_i64_e32 -1, v[9:10]
	s_cbranch_execz .LBB64_291
; %bb.280:
	v_mov_b32_e32 v12, 1.0
	s_mov_b32 s14, exec_lo
	v_cmpx_lt_i64_e32 0, v[9:10]
	s_cbranch_execz .LBB64_290
; %bb.281:
	v_lshrrev_b32_e32 v12, 16, v38
	s_mov_b32 s10, exec_lo
	s_delay_alu instid0(VALU_DEP_1)
	v_cvt_f32_f16_e32 v14, v12
                                        ; implicit-def: $vgpr12
	v_cmpx_ne_u64_e32 1, v[9:10]
	s_xor_b32 s16, exec_lo, s10
	s_cbranch_execz .LBB64_287
; %bb.282:
	v_mov_b32_e32 v12, 0x7fc00000
	s_mov_b32 s17, exec_lo
	v_cmpx_gt_u64_e32 0x81, v[9:10]
	s_cbranch_execz .LBB64_286
; %bb.283:
	v_dual_add_f32 v14, v14, v14 :: v_dual_mov_b32 v37, 1.0
	v_lshlrev_b64 v[9:10], 1, v[9:10]
	s_mov_b64 s[10:11], 2
	s_mov_b32 s18, 0
	s_delay_alu instid0(VALU_DEP_2)
	v_mov_b32_e32 v12, v14
	.p2align	6
.LBB64_284:                             ; =>This Inner Loop Header: Depth=1
	s_clz_i32_u32 s19, s11
	s_delay_alu instid0(SALU_CYCLE_1) | instskip(NEXT) | instid1(SALU_CYCLE_1)
	s_min_u32 s19, s19, 32
	s_lshl_b64 s[20:21], s[10:11], s19
	s_sub_i32 s19, 32, s19
	s_min_u32 s20, s20, 1
	s_delay_alu instid0(SALU_CYCLE_1) | instskip(SKIP_3) | instid1(SALU_CYCLE_1)
	s_or_b32 s20, s21, s20
	s_add_u32 s10, s10, 2
	v_cvt_f32_u32_e32 v38, s20
	s_addc_u32 s11, s11, 0
	v_cmp_ge_u64_e32 vcc_lo, s[10:11], v[9:10]
	s_delay_alu instid0(VALU_DEP_2) | instskip(SKIP_1) | instid1(VALU_DEP_1)
	v_ldexp_f32 v38, v38, s19
	s_or_b32 s18, vcc_lo, s18
	v_dual_mul_f32 v38, v37, v38 :: v_dual_mov_b32 v37, v12
	s_delay_alu instid0(VALU_DEP_1)
	v_fma_f32 v12, v14, v12, -v38
	s_and_not1_b32 exec_lo, exec_lo, s18
	s_cbranch_execnz .LBB64_284
; %bb.285:
	s_or_b32 exec_lo, exec_lo, s18
.LBB64_286:
	s_delay_alu instid0(SALU_CYCLE_1)
	s_or_b32 exec_lo, exec_lo, s17
                                        ; implicit-def: $vgpr14
.LBB64_287:
	s_and_not1_saveexec_b32 s10, s16
; %bb.288:
	v_add_f32_e32 v12, v14, v14
; %bb.289:
	s_or_b32 exec_lo, exec_lo, s10
.LBB64_290:
	s_delay_alu instid0(SALU_CYCLE_1)
	s_or_b32 exec_lo, exec_lo, s14
.LBB64_291:
	s_delay_alu instid0(SALU_CYCLE_1) | instskip(SKIP_4) | instid1(VALU_DEP_2)
	s_or_b32 exec_lo, exec_lo, s13
	s_waitcnt vmcnt(1)
	v_cvt_f16_f32_e32 v5, v5
	v_mov_b32_e32 v14, 0
	s_mov_b32 s13, exec_lo
	v_cvt_f32_f16_e32 v9, v5
	v_cmp_class_f16_e64 vcc_lo, v5, 0x1f8
	s_delay_alu instid0(VALU_DEP_2) | instskip(NEXT) | instid1(VALU_DEP_1)
	v_cvt_i32_f32_e32 v9, v9
	v_ashrrev_i32_e32 v10, 31, v9
	s_delay_alu instid0(VALU_DEP_1) | instskip(NEXT) | instid1(VALU_DEP_1)
	v_dual_cndmask_b32 v9, -1, v9 :: v_dual_cndmask_b32 v10, -1, v10
	v_cmpx_lt_i64_e32 -1, v[9:10]
	s_cbranch_execz .LBB64_303
; %bb.292:
	v_mov_b32_e32 v14, 1.0
	s_mov_b32 s14, exec_lo
	v_cmpx_lt_i64_e32 0, v[9:10]
	s_cbranch_execz .LBB64_302
; %bb.293:
	v_cvt_f32_f16_e32 v5, v35
                                        ; implicit-def: $vgpr14
	s_mov_b32 s10, exec_lo
	v_cmpx_ne_u64_e32 1, v[9:10]
	s_xor_b32 s16, exec_lo, s10
	s_cbranch_execz .LBB64_299
; %bb.294:
	v_mov_b32_e32 v14, 0x7fc00000
	s_mov_b32 s17, exec_lo
	v_cmpx_gt_u64_e32 0x81, v[9:10]
	s_cbranch_execz .LBB64_298
; %bb.295:
	v_add_f32_e32 v5, v5, v5
	v_lshlrev_b64 v[9:10], 1, v[9:10]
	v_mov_b32_e32 v37, 1.0
	s_mov_b64 s[10:11], 2
	s_mov_b32 s18, 0
	v_mov_b32_e32 v14, v5
	.p2align	6
.LBB64_296:                             ; =>This Inner Loop Header: Depth=1
	s_clz_i32_u32 s19, s11
	s_delay_alu instid0(SALU_CYCLE_1) | instskip(NEXT) | instid1(SALU_CYCLE_1)
	s_min_u32 s19, s19, 32
	s_lshl_b64 s[20:21], s[10:11], s19
	s_sub_i32 s19, 32, s19
	s_min_u32 s20, s20, 1
	s_delay_alu instid0(SALU_CYCLE_1) | instskip(SKIP_3) | instid1(SALU_CYCLE_1)
	s_or_b32 s20, s21, s20
	s_add_u32 s10, s10, 2
	v_cvt_f32_u32_e32 v38, s20
	s_addc_u32 s11, s11, 0
	v_cmp_ge_u64_e32 vcc_lo, s[10:11], v[9:10]
	s_delay_alu instid0(VALU_DEP_2) | instskip(SKIP_1) | instid1(VALU_DEP_1)
	v_ldexp_f32 v38, v38, s19
	s_or_b32 s18, vcc_lo, s18
	v_dual_mul_f32 v38, v37, v38 :: v_dual_mov_b32 v37, v14
	s_delay_alu instid0(VALU_DEP_1)
	v_fma_f32 v14, v5, v14, -v38
	s_and_not1_b32 exec_lo, exec_lo, s18
	s_cbranch_execnz .LBB64_296
; %bb.297:
	s_or_b32 exec_lo, exec_lo, s18
.LBB64_298:
	s_delay_alu instid0(SALU_CYCLE_1)
	s_or_b32 exec_lo, exec_lo, s17
                                        ; implicit-def: $vgpr5
.LBB64_299:
	s_and_not1_saveexec_b32 s10, s16
; %bb.300:
	v_add_f32_e32 v14, v5, v5
; %bb.301:
	s_or_b32 exec_lo, exec_lo, s10
.LBB64_302:
	s_delay_alu instid0(SALU_CYCLE_1)
	s_or_b32 exec_lo, exec_lo, s14
.LBB64_303:
	s_delay_alu instid0(SALU_CYCLE_1) | instskip(SKIP_2) | instid1(VALU_DEP_1)
	s_or_b32 exec_lo, exec_lo, s13
	v_cvt_f16_f32_e32 v5, v6
	s_mov_b32 s13, exec_lo
	v_cvt_f32_f16_e32 v6, v5
	v_cmp_class_f16_e64 vcc_lo, v5, 0x1f8
	s_delay_alu instid0(VALU_DEP_2) | instskip(NEXT) | instid1(VALU_DEP_1)
	v_cvt_i32_f32_e32 v9, v6
	v_ashrrev_i32_e32 v6, 31, v9
	v_cndmask_b32_e32 v5, -1, v9, vcc_lo
	s_delay_alu instid0(VALU_DEP_2) | instskip(NEXT) | instid1(VALU_DEP_1)
	v_dual_mov_b32 v9, 0 :: v_dual_cndmask_b32 v6, -1, v6
	v_cmpx_lt_i64_e32 -1, v[5:6]
	s_cbranch_execz .LBB64_315
; %bb.304:
	v_mov_b32_e32 v9, 1.0
	s_mov_b32 s14, exec_lo
	v_cmpx_lt_i64_e32 0, v[5:6]
	s_cbranch_execz .LBB64_314
; %bb.305:
	v_lshrrev_b32_e32 v9, 16, v35
	s_mov_b32 s10, exec_lo
	s_delay_alu instid0(VALU_DEP_1)
	v_cvt_f32_f16_e32 v10, v9
                                        ; implicit-def: $vgpr9
	v_cmpx_ne_u64_e32 1, v[5:6]
	s_xor_b32 s16, exec_lo, s10
	s_cbranch_execz .LBB64_311
; %bb.306:
	v_mov_b32_e32 v9, 0x7fc00000
	s_mov_b32 s17, exec_lo
	v_cmpx_gt_u64_e32 0x81, v[5:6]
	s_cbranch_execz .LBB64_310
; %bb.307:
	v_dual_add_f32 v10, v10, v10 :: v_dual_mov_b32 v35, 1.0
	v_lshlrev_b64 v[5:6], 1, v[5:6]
	s_mov_b64 s[10:11], 2
	s_mov_b32 s18, 0
	s_delay_alu instid0(VALU_DEP_2)
	v_mov_b32_e32 v9, v10
	.p2align	6
.LBB64_308:                             ; =>This Inner Loop Header: Depth=1
	s_clz_i32_u32 s19, s11
	s_delay_alu instid0(SALU_CYCLE_1) | instskip(NEXT) | instid1(SALU_CYCLE_1)
	s_min_u32 s19, s19, 32
	s_lshl_b64 s[20:21], s[10:11], s19
	s_sub_i32 s19, 32, s19
	s_min_u32 s20, s20, 1
	s_delay_alu instid0(SALU_CYCLE_1) | instskip(SKIP_3) | instid1(SALU_CYCLE_1)
	s_or_b32 s20, s21, s20
	s_add_u32 s10, s10, 2
	v_cvt_f32_u32_e32 v37, s20
	s_addc_u32 s11, s11, 0
	v_cmp_ge_u64_e32 vcc_lo, s[10:11], v[5:6]
	s_delay_alu instid0(VALU_DEP_2) | instskip(SKIP_1) | instid1(VALU_DEP_1)
	v_ldexp_f32 v37, v37, s19
	s_or_b32 s18, vcc_lo, s18
	v_mul_f32_e32 v37, v35, v37
	v_mov_b32_e32 v35, v9
	s_delay_alu instid0(VALU_DEP_2)
	v_fma_f32 v9, v10, v9, -v37
	s_and_not1_b32 exec_lo, exec_lo, s18
	s_cbranch_execnz .LBB64_308
; %bb.309:
	s_or_b32 exec_lo, exec_lo, s18
.LBB64_310:
	s_delay_alu instid0(SALU_CYCLE_1)
	s_or_b32 exec_lo, exec_lo, s17
                                        ; implicit-def: $vgpr10
.LBB64_311:
	s_and_not1_saveexec_b32 s10, s16
; %bb.312:
	v_add_f32_e32 v9, v10, v10
; %bb.313:
	s_or_b32 exec_lo, exec_lo, s10
.LBB64_314:
	s_delay_alu instid0(SALU_CYCLE_1)
	s_or_b32 exec_lo, exec_lo, s14
.LBB64_315:
	s_delay_alu instid0(SALU_CYCLE_1) | instskip(SKIP_2) | instid1(VALU_DEP_1)
	s_or_b32 exec_lo, exec_lo, s13
	v_cvt_f16_f32_e32 v5, v7
	s_mov_b32 s13, exec_lo
	v_cvt_f32_f16_e32 v6, v5
	v_cmp_class_f16_e64 vcc_lo, v5, 0x1f8
	s_delay_alu instid0(VALU_DEP_2) | instskip(NEXT) | instid1(VALU_DEP_1)
	v_cvt_i32_f32_e32 v7, v6
	v_ashrrev_i32_e32 v6, 31, v7
	v_cndmask_b32_e32 v5, -1, v7, vcc_lo
	s_delay_alu instid0(VALU_DEP_2) | instskip(NEXT) | instid1(VALU_DEP_1)
	v_dual_mov_b32 v7, 0 :: v_dual_cndmask_b32 v6, -1, v6
	v_cmpx_lt_i64_e32 -1, v[5:6]
	s_cbranch_execz .LBB64_327
; %bb.316:
	v_mov_b32_e32 v7, 1.0
	s_mov_b32 s14, exec_lo
	v_cmpx_lt_i64_e32 0, v[5:6]
	s_cbranch_execz .LBB64_326
; %bb.317:
	v_cvt_f32_f16_e32 v10, v36
                                        ; implicit-def: $vgpr7
	s_mov_b32 s10, exec_lo
	v_cmpx_ne_u64_e32 1, v[5:6]
	s_xor_b32 s16, exec_lo, s10
	s_cbranch_execz .LBB64_323
; %bb.318:
	v_mov_b32_e32 v7, 0x7fc00000
	s_mov_b32 s17, exec_lo
	v_cmpx_gt_u64_e32 0x81, v[5:6]
	s_cbranch_execz .LBB64_322
; %bb.319:
	v_dual_add_f32 v10, v10, v10 :: v_dual_mov_b32 v35, 1.0
	v_lshlrev_b64 v[5:6], 1, v[5:6]
	s_mov_b64 s[10:11], 2
	s_mov_b32 s18, 0
	s_delay_alu instid0(VALU_DEP_2)
	v_mov_b32_e32 v7, v10
	.p2align	6
.LBB64_320:                             ; =>This Inner Loop Header: Depth=1
	s_clz_i32_u32 s19, s11
	s_delay_alu instid0(SALU_CYCLE_1) | instskip(NEXT) | instid1(SALU_CYCLE_1)
	s_min_u32 s19, s19, 32
	s_lshl_b64 s[20:21], s[10:11], s19
	s_sub_i32 s19, 32, s19
	s_min_u32 s20, s20, 1
	s_delay_alu instid0(SALU_CYCLE_1) | instskip(SKIP_3) | instid1(SALU_CYCLE_1)
	s_or_b32 s20, s21, s20
	s_add_u32 s10, s10, 2
	v_cvt_f32_u32_e32 v37, s20
	s_addc_u32 s11, s11, 0
	v_cmp_ge_u64_e32 vcc_lo, s[10:11], v[5:6]
	s_delay_alu instid0(VALU_DEP_2) | instskip(SKIP_1) | instid1(VALU_DEP_1)
	v_ldexp_f32 v37, v37, s19
	s_or_b32 s18, vcc_lo, s18
	v_mul_f32_e32 v37, v35, v37
	v_mov_b32_e32 v35, v7
	s_delay_alu instid0(VALU_DEP_2)
	v_fma_f32 v7, v10, v7, -v37
	s_and_not1_b32 exec_lo, exec_lo, s18
	s_cbranch_execnz .LBB64_320
; %bb.321:
	s_or_b32 exec_lo, exec_lo, s18
.LBB64_322:
	s_delay_alu instid0(SALU_CYCLE_1)
	s_or_b32 exec_lo, exec_lo, s17
                                        ; implicit-def: $vgpr10
.LBB64_323:
	s_and_not1_saveexec_b32 s10, s16
; %bb.324:
	v_add_f32_e32 v7, v10, v10
; %bb.325:
	s_or_b32 exec_lo, exec_lo, s10
.LBB64_326:
	s_delay_alu instid0(SALU_CYCLE_1)
	s_or_b32 exec_lo, exec_lo, s14
.LBB64_327:
	s_delay_alu instid0(SALU_CYCLE_1) | instskip(SKIP_2) | instid1(VALU_DEP_1)
	s_or_b32 exec_lo, exec_lo, s13
	v_cvt_f16_f32_e32 v5, v8
	s_mov_b32 s13, exec_lo
	v_cvt_f32_f16_e32 v6, v5
	v_cmp_class_f16_e64 vcc_lo, v5, 0x1f8
	s_delay_alu instid0(VALU_DEP_2) | instskip(NEXT) | instid1(VALU_DEP_1)
	v_cvt_i32_f32_e32 v8, v6
	v_ashrrev_i32_e32 v6, 31, v8
	v_dual_cndmask_b32 v5, -1, v8 :: v_dual_mov_b32 v8, 0
	s_delay_alu instid0(VALU_DEP_2) | instskip(NEXT) | instid1(VALU_DEP_1)
	v_cndmask_b32_e32 v6, -1, v6, vcc_lo
	v_cmpx_lt_i64_e32 -1, v[5:6]
	s_cbranch_execz .LBB64_339
; %bb.328:
	v_mov_b32_e32 v8, 1.0
	s_mov_b32 s14, exec_lo
	v_cmpx_lt_i64_e32 0, v[5:6]
	s_cbranch_execz .LBB64_338
; %bb.329:
	v_lshrrev_b32_e32 v8, 16, v36
	s_mov_b32 s10, exec_lo
	s_delay_alu instid0(VALU_DEP_1)
	v_cvt_f32_f16_e32 v10, v8
                                        ; implicit-def: $vgpr8
	v_cmpx_ne_u64_e32 1, v[5:6]
	s_xor_b32 s16, exec_lo, s10
	s_cbranch_execz .LBB64_335
; %bb.330:
	v_mov_b32_e32 v8, 0x7fc00000
	s_mov_b32 s17, exec_lo
	v_cmpx_gt_u64_e32 0x81, v[5:6]
	s_cbranch_execz .LBB64_334
; %bb.331:
	v_dual_add_f32 v10, v10, v10 :: v_dual_mov_b32 v35, 1.0
	v_lshlrev_b64 v[5:6], 1, v[5:6]
	s_mov_b64 s[10:11], 2
	s_mov_b32 s18, 0
	s_delay_alu instid0(VALU_DEP_2)
	v_mov_b32_e32 v8, v10
	.p2align	6
.LBB64_332:                             ; =>This Inner Loop Header: Depth=1
	s_clz_i32_u32 s19, s11
	s_delay_alu instid0(SALU_CYCLE_1) | instskip(NEXT) | instid1(SALU_CYCLE_1)
	s_min_u32 s19, s19, 32
	s_lshl_b64 s[20:21], s[10:11], s19
	s_sub_i32 s19, 32, s19
	s_min_u32 s20, s20, 1
	s_delay_alu instid0(SALU_CYCLE_1) | instskip(SKIP_3) | instid1(SALU_CYCLE_1)
	s_or_b32 s20, s21, s20
	s_add_u32 s10, s10, 2
	v_cvt_f32_u32_e32 v36, s20
	s_addc_u32 s11, s11, 0
	v_cmp_ge_u64_e32 vcc_lo, s[10:11], v[5:6]
	s_delay_alu instid0(VALU_DEP_2) | instskip(SKIP_1) | instid1(VALU_DEP_1)
	v_ldexp_f32 v36, v36, s19
	s_or_b32 s18, vcc_lo, s18
	v_dual_mul_f32 v36, v35, v36 :: v_dual_mov_b32 v35, v8
	s_delay_alu instid0(VALU_DEP_1)
	v_fma_f32 v8, v10, v8, -v36
	s_and_not1_b32 exec_lo, exec_lo, s18
	s_cbranch_execnz .LBB64_332
; %bb.333:
	s_or_b32 exec_lo, exec_lo, s18
.LBB64_334:
	s_delay_alu instid0(SALU_CYCLE_1)
	s_or_b32 exec_lo, exec_lo, s17
                                        ; implicit-def: $vgpr10
.LBB64_335:
	s_and_not1_saveexec_b32 s10, s16
; %bb.336:
	v_add_f32_e32 v8, v10, v10
; %bb.337:
	s_or_b32 exec_lo, exec_lo, s10
.LBB64_338:
	s_delay_alu instid0(SALU_CYCLE_1)
	s_or_b32 exec_lo, exec_lo, s14
.LBB64_339:
	s_delay_alu instid0(SALU_CYCLE_1) | instskip(SKIP_4) | instid1(VALU_DEP_2)
	s_or_b32 exec_lo, exec_lo, s13
	s_waitcnt vmcnt(0)
	v_cvt_f16_f32_e32 v1, v1
	v_mov_b32_e32 v10, 0
	s_mov_b32 s13, exec_lo
	v_cvt_f32_f16_e32 v5, v1
	v_cmp_class_f16_e64 vcc_lo, v1, 0x1f8
	s_delay_alu instid0(VALU_DEP_2) | instskip(NEXT) | instid1(VALU_DEP_1)
	v_cvt_i32_f32_e32 v5, v5
	v_ashrrev_i32_e32 v6, 31, v5
	s_delay_alu instid0(VALU_DEP_1) | instskip(NEXT) | instid1(VALU_DEP_1)
	v_dual_cndmask_b32 v5, -1, v5 :: v_dual_cndmask_b32 v6, -1, v6
	v_cmpx_lt_i64_e32 -1, v[5:6]
	s_cbranch_execz .LBB64_351
; %bb.340:
	v_mov_b32_e32 v10, 1.0
	s_mov_b32 s14, exec_lo
	v_cmpx_lt_i64_e32 0, v[5:6]
	s_cbranch_execz .LBB64_350
; %bb.341:
	v_cvt_f32_f16_e32 v1, v33
                                        ; implicit-def: $vgpr10
	s_mov_b32 s10, exec_lo
	v_cmpx_ne_u64_e32 1, v[5:6]
	s_xor_b32 s16, exec_lo, s10
	s_cbranch_execz .LBB64_347
; %bb.342:
	v_mov_b32_e32 v10, 0x7fc00000
	s_mov_b32 s17, exec_lo
	v_cmpx_gt_u64_e32 0x81, v[5:6]
	s_cbranch_execz .LBB64_346
; %bb.343:
	v_add_f32_e32 v1, v1, v1
	v_lshlrev_b64 v[5:6], 1, v[5:6]
	v_mov_b32_e32 v35, 1.0
	s_mov_b64 s[10:11], 2
	s_mov_b32 s18, 0
	v_mov_b32_e32 v10, v1
	.p2align	6
.LBB64_344:                             ; =>This Inner Loop Header: Depth=1
	s_clz_i32_u32 s19, s11
	s_delay_alu instid0(SALU_CYCLE_1) | instskip(NEXT) | instid1(SALU_CYCLE_1)
	s_min_u32 s19, s19, 32
	s_lshl_b64 s[20:21], s[10:11], s19
	s_sub_i32 s19, 32, s19
	s_min_u32 s20, s20, 1
	s_delay_alu instid0(SALU_CYCLE_1) | instskip(SKIP_3) | instid1(SALU_CYCLE_1)
	s_or_b32 s20, s21, s20
	s_add_u32 s10, s10, 2
	v_cvt_f32_u32_e32 v36, s20
	s_addc_u32 s11, s11, 0
	v_cmp_ge_u64_e32 vcc_lo, s[10:11], v[5:6]
	s_delay_alu instid0(VALU_DEP_2) | instskip(SKIP_1) | instid1(VALU_DEP_1)
	v_ldexp_f32 v36, v36, s19
	s_or_b32 s18, vcc_lo, s18
	v_dual_mul_f32 v36, v35, v36 :: v_dual_mov_b32 v35, v10
	s_delay_alu instid0(VALU_DEP_1)
	v_fma_f32 v10, v1, v10, -v36
	s_and_not1_b32 exec_lo, exec_lo, s18
	s_cbranch_execnz .LBB64_344
; %bb.345:
	s_or_b32 exec_lo, exec_lo, s18
.LBB64_346:
	s_delay_alu instid0(SALU_CYCLE_1)
	s_or_b32 exec_lo, exec_lo, s17
                                        ; implicit-def: $vgpr1
.LBB64_347:
	s_and_not1_saveexec_b32 s10, s16
; %bb.348:
	v_add_f32_e32 v10, v1, v1
; %bb.349:
	s_or_b32 exec_lo, exec_lo, s10
.LBB64_350:
	s_delay_alu instid0(SALU_CYCLE_1)
	s_or_b32 exec_lo, exec_lo, s14
.LBB64_351:
	s_delay_alu instid0(SALU_CYCLE_1) | instskip(SKIP_2) | instid1(VALU_DEP_1)
	s_or_b32 exec_lo, exec_lo, s13
	v_cvt_f16_f32_e32 v1, v2
	s_mov_b32 s13, exec_lo
	v_cvt_f32_f16_e32 v2, v1
	v_cmp_class_f16_e64 vcc_lo, v1, 0x1f8
	s_delay_alu instid0(VALU_DEP_2) | instskip(NEXT) | instid1(VALU_DEP_1)
	v_cvt_i32_f32_e32 v5, v2
	v_ashrrev_i32_e32 v2, 31, v5
	v_cndmask_b32_e32 v1, -1, v5, vcc_lo
	s_delay_alu instid0(VALU_DEP_2) | instskip(NEXT) | instid1(VALU_DEP_1)
	v_dual_mov_b32 v5, 0 :: v_dual_cndmask_b32 v2, -1, v2
	v_cmpx_lt_i64_e32 -1, v[1:2]
	s_cbranch_execz .LBB64_363
; %bb.352:
	v_mov_b32_e32 v5, 1.0
	s_mov_b32 s14, exec_lo
	v_cmpx_lt_i64_e32 0, v[1:2]
	s_cbranch_execz .LBB64_362
; %bb.353:
	v_lshrrev_b32_e32 v5, 16, v33
	s_mov_b32 s10, exec_lo
	s_delay_alu instid0(VALU_DEP_1)
	v_cvt_f32_f16_e32 v6, v5
                                        ; implicit-def: $vgpr5
	v_cmpx_ne_u64_e32 1, v[1:2]
	s_xor_b32 s16, exec_lo, s10
	s_cbranch_execz .LBB64_359
; %bb.354:
	v_mov_b32_e32 v5, 0x7fc00000
	s_mov_b32 s17, exec_lo
	v_cmpx_gt_u64_e32 0x81, v[1:2]
	s_cbranch_execz .LBB64_358
; %bb.355:
	v_dual_add_f32 v6, v6, v6 :: v_dual_mov_b32 v33, 1.0
	v_lshlrev_b64 v[1:2], 1, v[1:2]
	s_mov_b64 s[10:11], 2
	s_mov_b32 s18, 0
	s_delay_alu instid0(VALU_DEP_2)
	v_mov_b32_e32 v5, v6
	.p2align	6
.LBB64_356:                             ; =>This Inner Loop Header: Depth=1
	s_clz_i32_u32 s19, s11
	s_delay_alu instid0(SALU_CYCLE_1) | instskip(NEXT) | instid1(SALU_CYCLE_1)
	s_min_u32 s19, s19, 32
	s_lshl_b64 s[20:21], s[10:11], s19
	s_sub_i32 s19, 32, s19
	s_min_u32 s20, s20, 1
	s_delay_alu instid0(SALU_CYCLE_1) | instskip(SKIP_3) | instid1(SALU_CYCLE_1)
	s_or_b32 s20, s21, s20
	s_add_u32 s10, s10, 2
	v_cvt_f32_u32_e32 v35, s20
	s_addc_u32 s11, s11, 0
	v_cmp_ge_u64_e32 vcc_lo, s[10:11], v[1:2]
	s_delay_alu instid0(VALU_DEP_2) | instskip(SKIP_1) | instid1(VALU_DEP_1)
	v_ldexp_f32 v35, v35, s19
	s_or_b32 s18, vcc_lo, s18
	v_mul_f32_e32 v35, v33, v35
	v_mov_b32_e32 v33, v5
	s_delay_alu instid0(VALU_DEP_2)
	v_fma_f32 v5, v6, v5, -v35
	s_and_not1_b32 exec_lo, exec_lo, s18
	s_cbranch_execnz .LBB64_356
; %bb.357:
	s_or_b32 exec_lo, exec_lo, s18
.LBB64_358:
	s_delay_alu instid0(SALU_CYCLE_1)
	s_or_b32 exec_lo, exec_lo, s17
                                        ; implicit-def: $vgpr6
.LBB64_359:
	s_and_not1_saveexec_b32 s10, s16
; %bb.360:
	v_add_f32_e32 v5, v6, v6
; %bb.361:
	s_or_b32 exec_lo, exec_lo, s10
.LBB64_362:
	s_delay_alu instid0(SALU_CYCLE_1)
	s_or_b32 exec_lo, exec_lo, s14
.LBB64_363:
	s_delay_alu instid0(SALU_CYCLE_1) | instskip(SKIP_2) | instid1(VALU_DEP_1)
	s_or_b32 exec_lo, exec_lo, s13
	v_cvt_f16_f32_e32 v1, v3
	s_mov_b32 s13, exec_lo
	v_cvt_f32_f16_e32 v2, v1
	v_cmp_class_f16_e64 vcc_lo, v1, 0x1f8
	s_delay_alu instid0(VALU_DEP_2) | instskip(NEXT) | instid1(VALU_DEP_1)
	v_cvt_i32_f32_e32 v3, v2
	v_ashrrev_i32_e32 v2, 31, v3
	v_cndmask_b32_e32 v1, -1, v3, vcc_lo
	s_delay_alu instid0(VALU_DEP_2) | instskip(NEXT) | instid1(VALU_DEP_1)
	v_dual_mov_b32 v3, 0 :: v_dual_cndmask_b32 v2, -1, v2
	v_cmpx_lt_i64_e32 -1, v[1:2]
	s_cbranch_execz .LBB64_375
; %bb.364:
	v_mov_b32_e32 v3, 1.0
	s_mov_b32 s14, exec_lo
	v_cmpx_lt_i64_e32 0, v[1:2]
	s_cbranch_execz .LBB64_374
; %bb.365:
	v_cvt_f32_f16_e32 v6, v34
                                        ; implicit-def: $vgpr3
	s_mov_b32 s10, exec_lo
	v_cmpx_ne_u64_e32 1, v[1:2]
	s_xor_b32 s16, exec_lo, s10
	s_cbranch_execz .LBB64_371
; %bb.366:
	v_mov_b32_e32 v3, 0x7fc00000
	s_mov_b32 s17, exec_lo
	v_cmpx_gt_u64_e32 0x81, v[1:2]
	s_cbranch_execz .LBB64_370
; %bb.367:
	v_dual_add_f32 v6, v6, v6 :: v_dual_mov_b32 v33, 1.0
	v_lshlrev_b64 v[1:2], 1, v[1:2]
	s_mov_b64 s[10:11], 2
	s_mov_b32 s18, 0
	s_delay_alu instid0(VALU_DEP_2)
	v_mov_b32_e32 v3, v6
	.p2align	6
.LBB64_368:                             ; =>This Inner Loop Header: Depth=1
	s_clz_i32_u32 s19, s11
	s_delay_alu instid0(SALU_CYCLE_1) | instskip(NEXT) | instid1(SALU_CYCLE_1)
	s_min_u32 s19, s19, 32
	s_lshl_b64 s[20:21], s[10:11], s19
	s_sub_i32 s19, 32, s19
	s_min_u32 s20, s20, 1
	s_delay_alu instid0(SALU_CYCLE_1) | instskip(SKIP_3) | instid1(SALU_CYCLE_1)
	s_or_b32 s20, s21, s20
	s_add_u32 s10, s10, 2
	v_cvt_f32_u32_e32 v35, s20
	s_addc_u32 s11, s11, 0
	v_cmp_ge_u64_e32 vcc_lo, s[10:11], v[1:2]
	s_delay_alu instid0(VALU_DEP_2) | instskip(SKIP_1) | instid1(VALU_DEP_1)
	v_ldexp_f32 v35, v35, s19
	s_or_b32 s18, vcc_lo, s18
	v_mul_f32_e32 v35, v33, v35
	v_mov_b32_e32 v33, v3
	s_delay_alu instid0(VALU_DEP_2)
	v_fma_f32 v3, v6, v3, -v35
	s_and_not1_b32 exec_lo, exec_lo, s18
	s_cbranch_execnz .LBB64_368
; %bb.369:
	s_or_b32 exec_lo, exec_lo, s18
.LBB64_370:
	s_delay_alu instid0(SALU_CYCLE_1)
	s_or_b32 exec_lo, exec_lo, s17
                                        ; implicit-def: $vgpr6
.LBB64_371:
	s_and_not1_saveexec_b32 s10, s16
; %bb.372:
	v_add_f32_e32 v3, v6, v6
; %bb.373:
	s_or_b32 exec_lo, exec_lo, s10
.LBB64_374:
	s_delay_alu instid0(SALU_CYCLE_1)
	s_or_b32 exec_lo, exec_lo, s14
.LBB64_375:
	s_delay_alu instid0(SALU_CYCLE_1) | instskip(SKIP_2) | instid1(VALU_DEP_1)
	s_or_b32 exec_lo, exec_lo, s13
	v_cvt_f16_f32_e32 v1, v4
	s_mov_b32 s13, exec_lo
	v_cvt_f32_f16_e32 v2, v1
	v_cmp_class_f16_e64 vcc_lo, v1, 0x1f8
	s_delay_alu instid0(VALU_DEP_2) | instskip(NEXT) | instid1(VALU_DEP_1)
	v_cvt_i32_f32_e32 v4, v2
	v_ashrrev_i32_e32 v2, 31, v4
	v_dual_cndmask_b32 v1, -1, v4 :: v_dual_mov_b32 v4, 0
	s_delay_alu instid0(VALU_DEP_2) | instskip(NEXT) | instid1(VALU_DEP_1)
	v_cndmask_b32_e32 v2, -1, v2, vcc_lo
	v_cmpx_lt_i64_e32 -1, v[1:2]
	s_cbranch_execz .LBB64_387
; %bb.376:
	v_mov_b32_e32 v4, 1.0
	s_mov_b32 s14, exec_lo
	v_cmpx_lt_i64_e32 0, v[1:2]
	s_cbranch_execz .LBB64_386
; %bb.377:
	v_lshrrev_b32_e32 v4, 16, v34
	s_mov_b32 s10, exec_lo
	s_delay_alu instid0(VALU_DEP_1)
	v_cvt_f32_f16_e32 v6, v4
                                        ; implicit-def: $vgpr4
	v_cmpx_ne_u64_e32 1, v[1:2]
	s_xor_b32 s16, exec_lo, s10
	s_cbranch_execz .LBB64_383
; %bb.378:
	v_mov_b32_e32 v4, 0x7fc00000
	s_mov_b32 s17, exec_lo
	v_cmpx_gt_u64_e32 0x81, v[1:2]
	s_cbranch_execz .LBB64_382
; %bb.379:
	v_dual_add_f32 v6, v6, v6 :: v_dual_mov_b32 v33, 1.0
	v_lshlrev_b64 v[1:2], 1, v[1:2]
	s_mov_b64 s[10:11], 2
	s_mov_b32 s18, 0
	s_delay_alu instid0(VALU_DEP_2)
	v_mov_b32_e32 v4, v6
	.p2align	6
.LBB64_380:                             ; =>This Inner Loop Header: Depth=1
	s_clz_i32_u32 s19, s11
	s_delay_alu instid0(SALU_CYCLE_1) | instskip(NEXT) | instid1(SALU_CYCLE_1)
	s_min_u32 s19, s19, 32
	s_lshl_b64 s[20:21], s[10:11], s19
	s_sub_i32 s19, 32, s19
	s_min_u32 s20, s20, 1
	s_delay_alu instid0(SALU_CYCLE_1) | instskip(SKIP_3) | instid1(SALU_CYCLE_1)
	s_or_b32 s20, s21, s20
	s_add_u32 s10, s10, 2
	v_cvt_f32_u32_e32 v34, s20
	s_addc_u32 s11, s11, 0
	v_cmp_ge_u64_e32 vcc_lo, s[10:11], v[1:2]
	s_delay_alu instid0(VALU_DEP_2) | instskip(SKIP_1) | instid1(VALU_DEP_1)
	v_ldexp_f32 v34, v34, s19
	s_or_b32 s18, vcc_lo, s18
	v_dual_mul_f32 v34, v33, v34 :: v_dual_mov_b32 v33, v4
	s_delay_alu instid0(VALU_DEP_1)
	v_fma_f32 v4, v6, v4, -v34
	s_and_not1_b32 exec_lo, exec_lo, s18
	s_cbranch_execnz .LBB64_380
; %bb.381:
	s_or_b32 exec_lo, exec_lo, s18
.LBB64_382:
	s_delay_alu instid0(SALU_CYCLE_1)
	s_or_b32 exec_lo, exec_lo, s17
                                        ; implicit-def: $vgpr6
.LBB64_383:
	s_and_not1_saveexec_b32 s10, s16
; %bb.384:
	v_add_f32_e32 v4, v6, v6
; %bb.385:
	s_or_b32 exec_lo, exec_lo, s10
.LBB64_386:
	s_delay_alu instid0(SALU_CYCLE_1)
	s_or_b32 exec_lo, exec_lo, s14
.LBB64_387:
	s_delay_alu instid0(SALU_CYCLE_1)
	s_or_b32 exec_lo, exec_lo, s13
	v_cvt_f16_f32_e32 v1, v55
	v_cvt_f16_f32_e32 v6, v49
	;; [unrolled: 1-line block ×8, first 2 shown]
	s_add_u32 s8, s4, s8
	v_pack_b32_f16 v1, v1, v6
	v_cvt_f16_f32_e32 v6, v30
	v_cvt_f16_f32_e32 v25, v25
	v_pack_b32_f16 v28, v27, v28
	v_pack_b32_f16 v27, v32, v29
	v_cvt_f16_f32_e32 v23, v23
	v_cvt_f16_f32_e32 v24, v24
	;; [unrolled: 1-line block ×4, first 2 shown]
	s_addc_u32 s9, s5, s9
	v_add_co_u32 v33, s10, s8, v51
	s_delay_alu instid0(VALU_DEP_1)
	v_add_co_ci_u32_e64 v34, null, s9, 0, s10
	v_pack_b32_f16 v24, v23, v24
	v_pack_b32_f16 v23, v6, v25
	;; [unrolled: 1-line block ×3, first 2 shown]
	v_cvt_f16_f32_e32 v6, v22
	v_cvt_f16_f32_e32 v17, v17
	;; [unrolled: 1-line block ×7, first 2 shown]
	v_add_co_u32 v19, vcc_lo, 0x1000, v33
	v_cvt_f16_f32_e32 v30, v20
	v_add_co_ci_u32_e32 v20, vcc_lo, 0, v34, vcc_lo
	v_cvt_f16_f32_e32 v18, v11
	v_add_co_u32 v11, vcc_lo, 0x3000, v33
	v_pack_b32_f16 v16, v15, v16
	v_pack_b32_f16 v15, v6, v17
	;; [unrolled: 1-line block ×3, first 2 shown]
	v_cvt_f16_f32_e32 v13, v14
	v_cvt_f16_f32_e32 v9, v9
	;; [unrolled: 1-line block ×5, first 2 shown]
	v_add_co_ci_u32_e32 v12, vcc_lo, 0, v34, vcc_lo
	v_pack_b32_f16 v2, v2, v31
	v_cvt_f16_f32_e32 v10, v10
	v_cvt_f16_f32_e32 v14, v5
	;; [unrolled: 1-line block ×4, first 2 shown]
	v_add_co_u32 v3, vcc_lo, 0x5000, v33
	v_add_co_ci_u32_e32 v4, vcc_lo, 0, v34, vcc_lo
	v_pack_b32_f16 v6, v6, v7
	v_pack_b32_f16 v5, v13, v9
	v_add_co_u32 v9, vcc_lo, 0x7000, v33
	v_pack_b32_f16 v26, v26, v30
	v_pack_b32_f16 v18, v18, v22
	;; [unrolled: 1-line block ×4, first 2 shown]
	v_add_co_ci_u32_e32 v10, vcc_lo, 0, v34, vcc_lo
	s_clause 0x7
	global_store_b64 v51, v[1:2], s[8:9]
	global_store_b64 v52, v[23:24], s[8:9]
	;; [unrolled: 1-line block ×4, first 2 shown]
	global_store_b64 v[19:20], v[27:28], off
	global_store_b64 v[11:12], v[25:26], off
	;; [unrolled: 1-line block ×4, first 2 shown]
	s_branch .LBB64_2
.LBB64_388:
	s_clause 0x1
	s_load_b32 s10, s[0:1], 0x24
	s_load_b128 s[16:19], s[0:1], 0x28
	v_dual_mov_b32 v31, v0 :: v_dual_mov_b32 v0, s4
	v_dual_mov_b32 v1, s5 :: v_dual_mov_b32 v2, s6
	;; [unrolled: 1-line block ×4, first 2 shown]
	s_add_u32 s8, s0, 56
	s_addc_u32 s9, s1, 0
	s_mov_b32 s12, s15
	s_getpc_b64 s[0:1]
	s_add_u32 s0, s0, _ZN2at6native25elementwise_kernel_helperILb1ENS0_13BinaryFunctorIfffZZZNS0_12_GLOBAL__N_132hermite_polynomial_h_kernel_cudaERNS_18TensorIteratorBaseEENKUlvE_clEvENKUlvE0_clEvEUlffE_EENS0_6memory8policies11unroll_baseILi512ESt5arrayIPcLm3EE23TrivialOffsetCalculatorILi2EjESG_ILi1EjENSA_12LoadWithCastILi2EEENSA_13StoreWithCastILi1EEELi32ELi1EEEEEvT0_T1_@rel32@lo+4
	s_addc_u32 s1, s1, _ZN2at6native25elementwise_kernel_helperILb1ENS0_13BinaryFunctorIfffZZZNS0_12_GLOBAL__N_132hermite_polynomial_h_kernel_cudaERNS_18TensorIteratorBaseEENKUlvE_clEvENKUlvE0_clEvEUlffE_EENS0_6memory8policies11unroll_baseILi512ESt5arrayIPcLm3EE23TrivialOffsetCalculatorILi2EjESG_ILi1EjENSA_12LoadWithCastILi2EEENSA_13StoreWithCastILi1EEELi32ELi1EEEEEvT0_T1_@rel32@hi+12
	s_waitcnt lgkmcnt(0)
	v_lshrrev_b16 v8, 8, s10
	v_dual_mov_b32 v7, s10 :: v_dual_mov_b32 v10, s17
	v_dual_mov_b32 v9, s16 :: v_dual_mov_b32 v12, s19
	v_mov_b32_e32 v11, s18
	s_swappc_b64 s[30:31], s[0:1]
	s_endpgm
	.section	.rodata,"a",@progbits
	.p2align	6, 0x0
	.amdhsa_kernel _ZN2at6native39vectorized_templated_elementwise_kernelILi4ENS0_13BinaryFunctorIfffZZZNS0_12_GLOBAL__N_132hermite_polynomial_h_kernel_cudaERNS_18TensorIteratorBaseEENKUlvE_clEvENKUlvE0_clEvEUlffE_EESt5arrayIPcLm3EE23TrivialOffsetCalculatorILi2EjESD_ILi1EjENS0_6memory12LoadWithCastILi2EEENSG_13StoreWithCastILi1EEEN3c104HalfEJSM_fEEEviT0_T1_T2_T3_T4_T5_
		.amdhsa_group_segment_fixed_size 0
		.amdhsa_private_segment_fixed_size 272
		.amdhsa_kernarg_size 312
		.amdhsa_user_sgpr_count 15
		.amdhsa_user_sgpr_dispatch_ptr 0
		.amdhsa_user_sgpr_queue_ptr 0
		.amdhsa_user_sgpr_kernarg_segment_ptr 1
		.amdhsa_user_sgpr_dispatch_id 0
		.amdhsa_user_sgpr_private_segment_size 0
		.amdhsa_wavefront_size32 1
		.amdhsa_uses_dynamic_stack 0
		.amdhsa_enable_private_segment 1
		.amdhsa_system_sgpr_workgroup_id_x 1
		.amdhsa_system_sgpr_workgroup_id_y 0
		.amdhsa_system_sgpr_workgroup_id_z 0
		.amdhsa_system_sgpr_workgroup_info 0
		.amdhsa_system_vgpr_workitem_id 0
		.amdhsa_next_free_vgpr 68
		.amdhsa_next_free_sgpr 77
		.amdhsa_reserve_vcc 1
		.amdhsa_float_round_mode_32 0
		.amdhsa_float_round_mode_16_64 0
		.amdhsa_float_denorm_mode_32 3
		.amdhsa_float_denorm_mode_16_64 3
		.amdhsa_dx10_clamp 1
		.amdhsa_ieee_mode 1
		.amdhsa_fp16_overflow 0
		.amdhsa_workgroup_processor_mode 1
		.amdhsa_memory_ordered 1
		.amdhsa_forward_progress 0
		.amdhsa_shared_vgpr_count 0
		.amdhsa_exception_fp_ieee_invalid_op 0
		.amdhsa_exception_fp_denorm_src 0
		.amdhsa_exception_fp_ieee_div_zero 0
		.amdhsa_exception_fp_ieee_overflow 0
		.amdhsa_exception_fp_ieee_underflow 0
		.amdhsa_exception_fp_ieee_inexact 0
		.amdhsa_exception_int_div_zero 0
	.end_amdhsa_kernel
	.section	.text._ZN2at6native39vectorized_templated_elementwise_kernelILi4ENS0_13BinaryFunctorIfffZZZNS0_12_GLOBAL__N_132hermite_polynomial_h_kernel_cudaERNS_18TensorIteratorBaseEENKUlvE_clEvENKUlvE0_clEvEUlffE_EESt5arrayIPcLm3EE23TrivialOffsetCalculatorILi2EjESD_ILi1EjENS0_6memory12LoadWithCastILi2EEENSG_13StoreWithCastILi1EEEN3c104HalfEJSM_fEEEviT0_T1_T2_T3_T4_T5_,"axG",@progbits,_ZN2at6native39vectorized_templated_elementwise_kernelILi4ENS0_13BinaryFunctorIfffZZZNS0_12_GLOBAL__N_132hermite_polynomial_h_kernel_cudaERNS_18TensorIteratorBaseEENKUlvE_clEvENKUlvE0_clEvEUlffE_EESt5arrayIPcLm3EE23TrivialOffsetCalculatorILi2EjESD_ILi1EjENS0_6memory12LoadWithCastILi2EEENSG_13StoreWithCastILi1EEEN3c104HalfEJSM_fEEEviT0_T1_T2_T3_T4_T5_,comdat
.Lfunc_end64:
	.size	_ZN2at6native39vectorized_templated_elementwise_kernelILi4ENS0_13BinaryFunctorIfffZZZNS0_12_GLOBAL__N_132hermite_polynomial_h_kernel_cudaERNS_18TensorIteratorBaseEENKUlvE_clEvENKUlvE0_clEvEUlffE_EESt5arrayIPcLm3EE23TrivialOffsetCalculatorILi2EjESD_ILi1EjENS0_6memory12LoadWithCastILi2EEENSG_13StoreWithCastILi1EEEN3c104HalfEJSM_fEEEviT0_T1_T2_T3_T4_T5_, .Lfunc_end64-_ZN2at6native39vectorized_templated_elementwise_kernelILi4ENS0_13BinaryFunctorIfffZZZNS0_12_GLOBAL__N_132hermite_polynomial_h_kernel_cudaERNS_18TensorIteratorBaseEENKUlvE_clEvENKUlvE0_clEvEUlffE_EESt5arrayIPcLm3EE23TrivialOffsetCalculatorILi2EjESD_ILi1EjENS0_6memory12LoadWithCastILi2EEENSG_13StoreWithCastILi1EEEN3c104HalfEJSM_fEEEviT0_T1_T2_T3_T4_T5_
                                        ; -- End function
	.section	.AMDGPU.csdata,"",@progbits
; Kernel info:
; codeLenInByte = 10264
; NumSgprs: 79
; NumVgprs: 68
; ScratchSize: 272
; MemoryBound: 0
; FloatMode: 240
; IeeeMode: 1
; LDSByteSize: 0 bytes/workgroup (compile time only)
; SGPRBlocks: 9
; VGPRBlocks: 8
; NumSGPRsForWavesPerEU: 79
; NumVGPRsForWavesPerEU: 68
; Occupancy: 16
; WaveLimiterHint : 0
; COMPUTE_PGM_RSRC2:SCRATCH_EN: 1
; COMPUTE_PGM_RSRC2:USER_SGPR: 15
; COMPUTE_PGM_RSRC2:TRAP_HANDLER: 0
; COMPUTE_PGM_RSRC2:TGID_X_EN: 1
; COMPUTE_PGM_RSRC2:TGID_Y_EN: 0
; COMPUTE_PGM_RSRC2:TGID_Z_EN: 0
; COMPUTE_PGM_RSRC2:TIDIG_COMP_CNT: 0
	.section	.text._ZN2at6native39vectorized_templated_elementwise_kernelILi2ENS0_13BinaryFunctorIfffZZZNS0_12_GLOBAL__N_132hermite_polynomial_h_kernel_cudaERNS_18TensorIteratorBaseEENKUlvE_clEvENKUlvE0_clEvEUlffE_EESt5arrayIPcLm3EE23TrivialOffsetCalculatorILi2EjESD_ILi1EjENS0_6memory12LoadWithCastILi2EEENSG_13StoreWithCastILi1EEEN3c104HalfEJSM_fEEEviT0_T1_T2_T3_T4_T5_,"axG",@progbits,_ZN2at6native39vectorized_templated_elementwise_kernelILi2ENS0_13BinaryFunctorIfffZZZNS0_12_GLOBAL__N_132hermite_polynomial_h_kernel_cudaERNS_18TensorIteratorBaseEENKUlvE_clEvENKUlvE0_clEvEUlffE_EESt5arrayIPcLm3EE23TrivialOffsetCalculatorILi2EjESD_ILi1EjENS0_6memory12LoadWithCastILi2EEENSG_13StoreWithCastILi1EEEN3c104HalfEJSM_fEEEviT0_T1_T2_T3_T4_T5_,comdat
	.globl	_ZN2at6native39vectorized_templated_elementwise_kernelILi2ENS0_13BinaryFunctorIfffZZZNS0_12_GLOBAL__N_132hermite_polynomial_h_kernel_cudaERNS_18TensorIteratorBaseEENKUlvE_clEvENKUlvE0_clEvEUlffE_EESt5arrayIPcLm3EE23TrivialOffsetCalculatorILi2EjESD_ILi1EjENS0_6memory12LoadWithCastILi2EEENSG_13StoreWithCastILi1EEEN3c104HalfEJSM_fEEEviT0_T1_T2_T3_T4_T5_ ; -- Begin function _ZN2at6native39vectorized_templated_elementwise_kernelILi2ENS0_13BinaryFunctorIfffZZZNS0_12_GLOBAL__N_132hermite_polynomial_h_kernel_cudaERNS_18TensorIteratorBaseEENKUlvE_clEvENKUlvE0_clEvEUlffE_EESt5arrayIPcLm3EE23TrivialOffsetCalculatorILi2EjESD_ILi1EjENS0_6memory12LoadWithCastILi2EEENSG_13StoreWithCastILi1EEEN3c104HalfEJSM_fEEEviT0_T1_T2_T3_T4_T5_
	.p2align	8
	.type	_ZN2at6native39vectorized_templated_elementwise_kernelILi2ENS0_13BinaryFunctorIfffZZZNS0_12_GLOBAL__N_132hermite_polynomial_h_kernel_cudaERNS_18TensorIteratorBaseEENKUlvE_clEvENKUlvE0_clEvEUlffE_EESt5arrayIPcLm3EE23TrivialOffsetCalculatorILi2EjESD_ILi1EjENS0_6memory12LoadWithCastILi2EEENSG_13StoreWithCastILi1EEEN3c104HalfEJSM_fEEEviT0_T1_T2_T3_T4_T5_,@function
_ZN2at6native39vectorized_templated_elementwise_kernelILi2ENS0_13BinaryFunctorIfffZZZNS0_12_GLOBAL__N_132hermite_polynomial_h_kernel_cudaERNS_18TensorIteratorBaseEENKUlvE_clEvENKUlvE0_clEvEUlffE_EESt5arrayIPcLm3EE23TrivialOffsetCalculatorILi2EjESD_ILi1EjENS0_6memory12LoadWithCastILi2EEENSG_13StoreWithCastILi1EEEN3c104HalfEJSM_fEEEviT0_T1_T2_T3_T4_T5_: ; @_ZN2at6native39vectorized_templated_elementwise_kernelILi2ENS0_13BinaryFunctorIfffZZZNS0_12_GLOBAL__N_132hermite_polynomial_h_kernel_cudaERNS_18TensorIteratorBaseEENKUlvE_clEvENKUlvE0_clEvEUlffE_EESt5arrayIPcLm3EE23TrivialOffsetCalculatorILi2EjESD_ILi1EjENS0_6memory12LoadWithCastILi2EEENSG_13StoreWithCastILi1EEEN3c104HalfEJSM_fEEEviT0_T1_T2_T3_T4_T5_
; %bb.0:
	s_clause 0x3
	s_load_b32 s8, s[0:1], 0x38
	s_load_b32 s9, s[0:1], 0x0
	s_load_b64 s[2:3], s[0:1], 0x18
	s_load_b128 s[4:7], s[0:1], 0x8
	s_not_b32 s10, s15
	s_mov_b32 s11, -1
	s_mov_b32 s32, 0
	s_waitcnt lgkmcnt(0)
	s_add_i32 s8, s8, s10
	s_delay_alu instid0(SALU_CYCLE_1) | instskip(NEXT) | instid1(SALU_CYCLE_1)
	s_lshl_b32 s10, s8, 14
	s_sub_i32 s12, s9, s10
	s_delay_alu instid0(SALU_CYCLE_1)
	s_cmpk_gt_i32 s12, 0x3fff
	s_cbranch_scc1 .LBB65_3
; %bb.1:
	s_and_b32 vcc_lo, exec_lo, s11
	s_cbranch_vccnz .LBB65_388
.LBB65_2:
	s_nop 0
	s_sendmsg sendmsg(MSG_DEALLOC_VGPRS)
	s_endpgm
.LBB65_3:
	s_ashr_i32 s11, s10, 31
	v_lshlrev_b32_e32 v35, 2, v0
	s_lshl_b64 s[8:9], s[10:11], 1
	v_or_b32_e32 v9, 0x400, v0
	s_add_u32 s16, s6, s8
	s_addc_u32 s17, s7, s9
	v_add_co_u32 v7, s13, s16, v35
	s_delay_alu instid0(VALU_DEP_1) | instskip(SKIP_1) | instid1(VALU_DEP_3)
	v_add_co_ci_u32_e64 v8, null, s17, 0, s13
	v_or_b32_e32 v10, 0x800, v0
	v_add_co_u32 v1, vcc_lo, 0x1000, v7
	s_delay_alu instid0(VALU_DEP_3)
	v_add_co_ci_u32_e32 v2, vcc_lo, 0, v8, vcc_lo
	v_add_co_u32 v3, vcc_lo, 0x2000, v7
	v_or_b32_e32 v11, 0xc00, v0
	v_add_co_ci_u32_e32 v4, vcc_lo, 0, v8, vcc_lo
	v_lshlrev_b32_e32 v36, 2, v9
	v_add_co_u32 v5, vcc_lo, 0x3000, v7
	v_lshlrev_b32_e32 v37, 2, v10
	v_add_co_ci_u32_e32 v6, vcc_lo, 0, v8, vcc_lo
	v_lshlrev_b32_e32 v38, 2, v11
	s_clause 0x7
	global_load_b32 v59, v35, s[16:17]
	global_load_b32 v58, v35, s[16:17] offset:2048
	global_load_b32 v57, v36, s[16:17]
	global_load_b32 v56, v[1:2], off offset:2048
	global_load_b32 v55, v37, s[16:17]
	global_load_b32 v54, v[3:4], off offset:2048
	;; [unrolled: 2-line block ×3, first 2 shown]
	v_add_co_u32 v1, vcc_lo, 0x4000, v7
	v_or_b32_e32 v12, 0x1000, v0
	v_add_co_ci_u32_e32 v2, vcc_lo, 0, v8, vcc_lo
	v_lshlrev_b32_e32 v16, 3, v0
	v_add_co_u32 v3, vcc_lo, 0x5000, v7
	s_lshl_b64 s[10:11], s[10:11], 2
	v_or_b32_e32 v13, 0x1400, v0
	v_add_co_ci_u32_e32 v4, vcc_lo, 0, v8, vcc_lo
	s_add_u32 s10, s2, s10
	v_or_b32_e32 v14, 0x1800, v0
	v_add_co_u32 v5, vcc_lo, 0x6000, v7
	v_lshlrev_b32_e32 v39, 2, v12
	v_or_b32_e32 v15, 0x1c00, v0
	s_addc_u32 s11, s3, s11
	v_add_co_u32 v33, s13, s10, v16
	v_add_co_ci_u32_e32 v6, vcc_lo, 0, v8, vcc_lo
	v_lshlrev_b32_e32 v40, 2, v13
	v_add_co_u32 v7, vcc_lo, 0x7000, v7
	v_add_co_ci_u32_e64 v34, null, s11, 0, s13
	v_lshlrev_b32_e32 v41, 2, v14
	v_add_co_ci_u32_e32 v8, vcc_lo, 0, v8, vcc_lo
	v_lshlrev_b32_e32 v42, 2, v15
	s_clause 0x7
	global_load_b32 v51, v39, s[16:17]
	global_load_b32 v50, v[1:2], off offset:2048
	global_load_b32 v49, v40, s[16:17]
	global_load_b32 v48, v[3:4], off offset:2048
	;; [unrolled: 2-line block ×4, first 2 shown]
	v_add_co_u32 v1, vcc_lo, 0x1000, v33
	v_add_co_ci_u32_e32 v2, vcc_lo, 0, v34, vcc_lo
	v_add_co_u32 v3, vcc_lo, 0x3000, v33
	v_add_co_ci_u32_e32 v4, vcc_lo, 0, v34, vcc_lo
	v_add_co_u32 v5, vcc_lo, 0x5000, v33
	v_lshlrev_b32_e32 v9, 3, v9
	v_add_co_ci_u32_e32 v6, vcc_lo, 0, v34, vcc_lo
	v_add_co_u32 v7, vcc_lo, 0x7000, v33
	v_lshlrev_b32_e32 v10, 3, v10
	v_lshlrev_b32_e32 v11, 3, v11
	v_add_co_ci_u32_e32 v8, vcc_lo, 0, v34, vcc_lo
	s_clause 0x7
	global_load_b64 v[31:32], v16, s[10:11]
	global_load_b64 v[29:30], v[1:2], off
	global_load_b64 v[27:28], v9, s[10:11]
	global_load_b64 v[25:26], v[3:4], off
	global_load_b64 v[23:24], v10, s[10:11]
	global_load_b64 v[21:22], v[5:6], off
	global_load_b64 v[19:20], v11, s[10:11]
	global_load_b64 v[17:18], v[7:8], off
	v_add_co_u32 v1, vcc_lo, 0x9000, v33
	v_add_co_ci_u32_e32 v2, vcc_lo, 0, v34, vcc_lo
	v_add_co_u32 v3, vcc_lo, 0xb000, v33
	v_add_co_ci_u32_e32 v4, vcc_lo, 0, v34, vcc_lo
	v_lshlrev_b32_e32 v7, 3, v12
	v_add_co_u32 v5, vcc_lo, 0xd000, v33
	v_lshlrev_b32_e32 v8, 3, v13
	v_add_co_ci_u32_e32 v6, vcc_lo, 0, v34, vcc_lo
	v_add_co_u32 v33, vcc_lo, 0xf000, v33
	v_lshlrev_b32_e32 v44, 3, v14
	v_lshlrev_b32_e32 v60, 3, v15
	v_add_co_ci_u32_e32 v34, vcc_lo, 0, v34, vcc_lo
	s_clause 0x7
	global_load_b64 v[15:16], v7, s[10:11]
	global_load_b64 v[13:14], v[1:2], off
	global_load_b64 v[11:12], v8, s[10:11]
	global_load_b64 v[9:10], v[3:4], off
	;; [unrolled: 2-line block ×4, first 2 shown]
	v_mov_b32_e32 v44, 0
	s_mov_b32 s13, exec_lo
	s_waitcnt vmcnt(15)
	v_cvt_f16_f32_e32 v31, v31
	s_delay_alu instid0(VALU_DEP_1) | instskip(SKIP_1) | instid1(VALU_DEP_2)
	v_cvt_f32_f16_e32 v33, v31
	v_cmp_class_f16_e64 vcc_lo, v31, 0x1f8
	v_cvt_i32_f32_e32 v33, v33
	s_delay_alu instid0(VALU_DEP_1) | instskip(NEXT) | instid1(VALU_DEP_1)
	v_ashrrev_i32_e32 v34, 31, v33
	v_dual_cndmask_b32 v33, -1, v33 :: v_dual_cndmask_b32 v34, -1, v34
	s_delay_alu instid0(VALU_DEP_1)
	v_cmpx_lt_i64_e32 -1, v[33:34]
	s_cbranch_execz .LBB65_15
; %bb.4:
	v_mov_b32_e32 v44, 1.0
	s_mov_b32 s14, exec_lo
	v_cmpx_lt_i64_e32 0, v[33:34]
	s_cbranch_execz .LBB65_14
; %bb.5:
	v_cvt_f32_f16_e32 v31, v59
                                        ; implicit-def: $vgpr44
	s_mov_b32 s10, exec_lo
	v_cmpx_ne_u64_e32 1, v[33:34]
	s_xor_b32 s16, exec_lo, s10
	s_cbranch_execz .LBB65_11
; %bb.6:
	v_mov_b32_e32 v44, 0x7fc00000
	s_mov_b32 s17, exec_lo
	v_cmpx_gt_u64_e32 0x81, v[33:34]
	s_cbranch_execz .LBB65_10
; %bb.7:
	v_dual_add_f32 v31, v31, v31 :: v_dual_mov_b32 v60, 1.0
	v_lshlrev_b64 v[33:34], 1, v[33:34]
	s_mov_b64 s[10:11], 2
	s_mov_b32 s18, 0
	s_delay_alu instid0(VALU_DEP_2)
	v_mov_b32_e32 v44, v31
	.p2align	6
.LBB65_8:                               ; =>This Inner Loop Header: Depth=1
	s_clz_i32_u32 s19, s11
	s_delay_alu instid0(SALU_CYCLE_1) | instskip(NEXT) | instid1(SALU_CYCLE_1)
	s_min_u32 s19, s19, 32
	s_lshl_b64 s[20:21], s[10:11], s19
	s_sub_i32 s19, 32, s19
	s_min_u32 s20, s20, 1
	s_delay_alu instid0(SALU_CYCLE_1) | instskip(SKIP_3) | instid1(SALU_CYCLE_1)
	s_or_b32 s20, s21, s20
	s_add_u32 s10, s10, 2
	v_cvt_f32_u32_e32 v61, s20
	s_addc_u32 s11, s11, 0
	v_cmp_ge_u64_e32 vcc_lo, s[10:11], v[33:34]
	s_delay_alu instid0(VALU_DEP_2) | instskip(SKIP_1) | instid1(VALU_DEP_1)
	v_ldexp_f32 v61, v61, s19
	s_or_b32 s18, vcc_lo, s18
	v_mul_f32_e32 v61, v60, v61
	v_mov_b32_e32 v60, v44
	s_delay_alu instid0(VALU_DEP_2)
	v_fma_f32 v44, v31, v44, -v61
	s_and_not1_b32 exec_lo, exec_lo, s18
	s_cbranch_execnz .LBB65_8
; %bb.9:
	s_or_b32 exec_lo, exec_lo, s18
.LBB65_10:
	s_delay_alu instid0(SALU_CYCLE_1)
	s_or_b32 exec_lo, exec_lo, s17
                                        ; implicit-def: $vgpr31
.LBB65_11:
	s_and_not1_saveexec_b32 s10, s16
; %bb.12:
	v_add_f32_e32 v44, v31, v31
; %bb.13:
	s_or_b32 exec_lo, exec_lo, s10
.LBB65_14:
	s_delay_alu instid0(SALU_CYCLE_1)
	s_or_b32 exec_lo, exec_lo, s14
.LBB65_15:
	s_delay_alu instid0(SALU_CYCLE_1) | instskip(SKIP_2) | instid1(VALU_DEP_1)
	s_or_b32 exec_lo, exec_lo, s13
	v_cvt_f16_f32_e32 v31, v32
	s_mov_b32 s13, exec_lo
	v_cvt_f32_f16_e32 v32, v31
	v_cmp_class_f16_e64 vcc_lo, v31, 0x1f8
	s_delay_alu instid0(VALU_DEP_2) | instskip(NEXT) | instid1(VALU_DEP_1)
	v_cvt_i32_f32_e32 v33, v32
	v_ashrrev_i32_e32 v32, 31, v33
	v_cndmask_b32_e32 v31, -1, v33, vcc_lo
	s_delay_alu instid0(VALU_DEP_2) | instskip(NEXT) | instid1(VALU_DEP_1)
	v_dual_mov_b32 v33, 0 :: v_dual_cndmask_b32 v32, -1, v32
	v_cmpx_lt_i64_e32 -1, v[31:32]
	s_cbranch_execz .LBB65_27
; %bb.16:
	v_mov_b32_e32 v33, 1.0
	s_mov_b32 s14, exec_lo
	v_cmpx_lt_i64_e32 0, v[31:32]
	s_cbranch_execz .LBB65_26
; %bb.17:
	v_lshrrev_b32_e32 v33, 16, v59
	s_mov_b32 s10, exec_lo
	s_delay_alu instid0(VALU_DEP_1)
	v_cvt_f32_f16_e32 v34, v33
                                        ; implicit-def: $vgpr33
	v_cmpx_ne_u64_e32 1, v[31:32]
	s_xor_b32 s16, exec_lo, s10
	s_cbranch_execz .LBB65_23
; %bb.18:
	v_mov_b32_e32 v33, 0x7fc00000
	s_mov_b32 s17, exec_lo
	v_cmpx_gt_u64_e32 0x81, v[31:32]
	s_cbranch_execz .LBB65_22
; %bb.19:
	v_dual_add_f32 v34, v34, v34 :: v_dual_mov_b32 v59, 1.0
	v_lshlrev_b64 v[31:32], 1, v[31:32]
	s_mov_b64 s[10:11], 2
	s_mov_b32 s18, 0
	s_delay_alu instid0(VALU_DEP_2)
	v_mov_b32_e32 v33, v34
	.p2align	6
.LBB65_20:                              ; =>This Inner Loop Header: Depth=1
	s_clz_i32_u32 s19, s11
	s_delay_alu instid0(SALU_CYCLE_1) | instskip(NEXT) | instid1(SALU_CYCLE_1)
	s_min_u32 s19, s19, 32
	s_lshl_b64 s[20:21], s[10:11], s19
	s_sub_i32 s19, 32, s19
	s_min_u32 s20, s20, 1
	s_delay_alu instid0(SALU_CYCLE_1) | instskip(SKIP_3) | instid1(SALU_CYCLE_1)
	s_or_b32 s20, s21, s20
	s_add_u32 s10, s10, 2
	v_cvt_f32_u32_e32 v60, s20
	s_addc_u32 s11, s11, 0
	v_cmp_ge_u64_e32 vcc_lo, s[10:11], v[31:32]
	s_delay_alu instid0(VALU_DEP_2) | instskip(SKIP_1) | instid1(VALU_DEP_1)
	v_ldexp_f32 v60, v60, s19
	s_or_b32 s18, vcc_lo, s18
	v_dual_mul_f32 v60, v59, v60 :: v_dual_mov_b32 v59, v33
	s_delay_alu instid0(VALU_DEP_1)
	v_fma_f32 v33, v34, v33, -v60
	s_and_not1_b32 exec_lo, exec_lo, s18
	s_cbranch_execnz .LBB65_20
; %bb.21:
	s_or_b32 exec_lo, exec_lo, s18
.LBB65_22:
	s_delay_alu instid0(SALU_CYCLE_1)
	s_or_b32 exec_lo, exec_lo, s17
                                        ; implicit-def: $vgpr34
.LBB65_23:
	s_and_not1_saveexec_b32 s10, s16
; %bb.24:
	v_add_f32_e32 v33, v34, v34
; %bb.25:
	s_or_b32 exec_lo, exec_lo, s10
.LBB65_26:
	s_delay_alu instid0(SALU_CYCLE_1)
	s_or_b32 exec_lo, exec_lo, s14
.LBB65_27:
	s_delay_alu instid0(SALU_CYCLE_1) | instskip(SKIP_4) | instid1(VALU_DEP_2)
	s_or_b32 exec_lo, exec_lo, s13
	s_waitcnt vmcnt(14)
	v_cvt_f16_f32_e32 v29, v29
	v_mov_b32_e32 v34, 0
	s_mov_b32 s13, exec_lo
	v_cvt_f32_f16_e32 v31, v29
	v_cmp_class_f16_e64 vcc_lo, v29, 0x1f8
	s_delay_alu instid0(VALU_DEP_2) | instskip(NEXT) | instid1(VALU_DEP_1)
	v_cvt_i32_f32_e32 v31, v31
	v_ashrrev_i32_e32 v32, 31, v31
	s_delay_alu instid0(VALU_DEP_1) | instskip(NEXT) | instid1(VALU_DEP_1)
	v_dual_cndmask_b32 v31, -1, v31 :: v_dual_cndmask_b32 v32, -1, v32
	v_cmpx_lt_i64_e32 -1, v[31:32]
	s_cbranch_execz .LBB65_39
; %bb.28:
	v_mov_b32_e32 v34, 1.0
	s_mov_b32 s14, exec_lo
	v_cmpx_lt_i64_e32 0, v[31:32]
	s_cbranch_execz .LBB65_38
; %bb.29:
	v_cvt_f32_f16_e32 v29, v58
                                        ; implicit-def: $vgpr34
	s_mov_b32 s10, exec_lo
	v_cmpx_ne_u64_e32 1, v[31:32]
	s_xor_b32 s16, exec_lo, s10
	s_cbranch_execz .LBB65_35
; %bb.30:
	v_mov_b32_e32 v34, 0x7fc00000
	s_mov_b32 s17, exec_lo
	v_cmpx_gt_u64_e32 0x81, v[31:32]
	s_cbranch_execz .LBB65_34
; %bb.31:
	v_add_f32_e32 v29, v29, v29
	v_lshlrev_b64 v[31:32], 1, v[31:32]
	v_mov_b32_e32 v59, 1.0
	s_mov_b64 s[10:11], 2
	s_mov_b32 s18, 0
	v_mov_b32_e32 v34, v29
	.p2align	6
.LBB65_32:                              ; =>This Inner Loop Header: Depth=1
	s_clz_i32_u32 s19, s11
	s_delay_alu instid0(SALU_CYCLE_1) | instskip(NEXT) | instid1(SALU_CYCLE_1)
	s_min_u32 s19, s19, 32
	s_lshl_b64 s[20:21], s[10:11], s19
	s_sub_i32 s19, 32, s19
	s_min_u32 s20, s20, 1
	s_delay_alu instid0(SALU_CYCLE_1) | instskip(SKIP_3) | instid1(SALU_CYCLE_1)
	s_or_b32 s20, s21, s20
	s_add_u32 s10, s10, 2
	v_cvt_f32_u32_e32 v60, s20
	s_addc_u32 s11, s11, 0
	v_cmp_ge_u64_e32 vcc_lo, s[10:11], v[31:32]
	s_delay_alu instid0(VALU_DEP_2) | instskip(SKIP_1) | instid1(VALU_DEP_1)
	v_ldexp_f32 v60, v60, s19
	s_or_b32 s18, vcc_lo, s18
	v_dual_mul_f32 v60, v59, v60 :: v_dual_mov_b32 v59, v34
	s_delay_alu instid0(VALU_DEP_1)
	v_fma_f32 v34, v29, v34, -v60
	s_and_not1_b32 exec_lo, exec_lo, s18
	s_cbranch_execnz .LBB65_32
; %bb.33:
	s_or_b32 exec_lo, exec_lo, s18
.LBB65_34:
	s_delay_alu instid0(SALU_CYCLE_1)
	s_or_b32 exec_lo, exec_lo, s17
                                        ; implicit-def: $vgpr29
.LBB65_35:
	s_and_not1_saveexec_b32 s10, s16
; %bb.36:
	v_add_f32_e32 v34, v29, v29
; %bb.37:
	s_or_b32 exec_lo, exec_lo, s10
.LBB65_38:
	s_delay_alu instid0(SALU_CYCLE_1)
	s_or_b32 exec_lo, exec_lo, s14
.LBB65_39:
	s_delay_alu instid0(SALU_CYCLE_1) | instskip(SKIP_2) | instid1(VALU_DEP_1)
	s_or_b32 exec_lo, exec_lo, s13
	v_cvt_f16_f32_e32 v29, v30
	s_mov_b32 s13, exec_lo
	v_cvt_f32_f16_e32 v30, v29
	v_cmp_class_f16_e64 vcc_lo, v29, 0x1f8
	s_delay_alu instid0(VALU_DEP_2) | instskip(NEXT) | instid1(VALU_DEP_1)
	v_cvt_i32_f32_e32 v31, v30
	v_ashrrev_i32_e32 v30, 31, v31
	v_cndmask_b32_e32 v29, -1, v31, vcc_lo
	s_delay_alu instid0(VALU_DEP_2) | instskip(NEXT) | instid1(VALU_DEP_1)
	v_dual_mov_b32 v31, 0 :: v_dual_cndmask_b32 v30, -1, v30
	v_cmpx_lt_i64_e32 -1, v[29:30]
	s_cbranch_execz .LBB65_51
; %bb.40:
	v_mov_b32_e32 v31, 1.0
	s_mov_b32 s14, exec_lo
	v_cmpx_lt_i64_e32 0, v[29:30]
	s_cbranch_execz .LBB65_50
; %bb.41:
	v_lshrrev_b32_e32 v31, 16, v58
	s_mov_b32 s10, exec_lo
	s_delay_alu instid0(VALU_DEP_1)
	v_cvt_f32_f16_e32 v32, v31
                                        ; implicit-def: $vgpr31
	v_cmpx_ne_u64_e32 1, v[29:30]
	s_xor_b32 s16, exec_lo, s10
	s_cbranch_execz .LBB65_47
; %bb.42:
	v_mov_b32_e32 v31, 0x7fc00000
	s_mov_b32 s17, exec_lo
	v_cmpx_gt_u64_e32 0x81, v[29:30]
	s_cbranch_execz .LBB65_46
; %bb.43:
	v_add_f32_e32 v32, v32, v32
	v_lshlrev_b64 v[29:30], 1, v[29:30]
	v_mov_b32_e32 v58, 1.0
	s_mov_b64 s[10:11], 2
	s_mov_b32 s18, 0
	v_mov_b32_e32 v31, v32
	.p2align	6
.LBB65_44:                              ; =>This Inner Loop Header: Depth=1
	s_clz_i32_u32 s19, s11
	s_delay_alu instid0(SALU_CYCLE_1) | instskip(NEXT) | instid1(SALU_CYCLE_1)
	s_min_u32 s19, s19, 32
	s_lshl_b64 s[20:21], s[10:11], s19
	s_sub_i32 s19, 32, s19
	s_min_u32 s20, s20, 1
	s_delay_alu instid0(SALU_CYCLE_1) | instskip(SKIP_3) | instid1(SALU_CYCLE_1)
	s_or_b32 s20, s21, s20
	s_add_u32 s10, s10, 2
	v_cvt_f32_u32_e32 v59, s20
	s_addc_u32 s11, s11, 0
	v_cmp_ge_u64_e32 vcc_lo, s[10:11], v[29:30]
	s_delay_alu instid0(VALU_DEP_2) | instskip(SKIP_1) | instid1(VALU_DEP_1)
	v_ldexp_f32 v59, v59, s19
	s_or_b32 s18, vcc_lo, s18
	v_dual_mul_f32 v59, v58, v59 :: v_dual_mov_b32 v58, v31
	s_delay_alu instid0(VALU_DEP_1)
	v_fma_f32 v31, v32, v31, -v59
	s_and_not1_b32 exec_lo, exec_lo, s18
	s_cbranch_execnz .LBB65_44
; %bb.45:
	s_or_b32 exec_lo, exec_lo, s18
.LBB65_46:
	s_delay_alu instid0(SALU_CYCLE_1)
	s_or_b32 exec_lo, exec_lo, s17
                                        ; implicit-def: $vgpr32
.LBB65_47:
	s_and_not1_saveexec_b32 s10, s16
; %bb.48:
	v_add_f32_e32 v31, v32, v32
; %bb.49:
	s_or_b32 exec_lo, exec_lo, s10
.LBB65_50:
	s_delay_alu instid0(SALU_CYCLE_1)
	s_or_b32 exec_lo, exec_lo, s14
.LBB65_51:
	s_delay_alu instid0(SALU_CYCLE_1) | instskip(SKIP_4) | instid1(VALU_DEP_2)
	s_or_b32 exec_lo, exec_lo, s13
	s_waitcnt vmcnt(13)
	v_cvt_f16_f32_e32 v27, v27
	v_mov_b32_e32 v32, 0
	s_mov_b32 s13, exec_lo
	v_cvt_f32_f16_e32 v29, v27
	v_cmp_class_f16_e64 vcc_lo, v27, 0x1f8
	s_delay_alu instid0(VALU_DEP_2) | instskip(NEXT) | instid1(VALU_DEP_1)
	v_cvt_i32_f32_e32 v29, v29
	v_ashrrev_i32_e32 v30, 31, v29
	s_delay_alu instid0(VALU_DEP_1) | instskip(NEXT) | instid1(VALU_DEP_1)
	v_dual_cndmask_b32 v29, -1, v29 :: v_dual_cndmask_b32 v30, -1, v30
	v_cmpx_lt_i64_e32 -1, v[29:30]
	s_cbranch_execz .LBB65_63
; %bb.52:
	v_mov_b32_e32 v32, 1.0
	s_mov_b32 s14, exec_lo
	v_cmpx_lt_i64_e32 0, v[29:30]
	s_cbranch_execz .LBB65_62
; %bb.53:
	v_cvt_f32_f16_e32 v27, v57
                                        ; implicit-def: $vgpr32
	s_mov_b32 s10, exec_lo
	v_cmpx_ne_u64_e32 1, v[29:30]
	s_xor_b32 s16, exec_lo, s10
	s_cbranch_execz .LBB65_59
; %bb.54:
	v_mov_b32_e32 v32, 0x7fc00000
	s_mov_b32 s17, exec_lo
	v_cmpx_gt_u64_e32 0x81, v[29:30]
	s_cbranch_execz .LBB65_58
; %bb.55:
	v_dual_add_f32 v27, v27, v27 :: v_dual_mov_b32 v58, 1.0
	v_lshlrev_b64 v[29:30], 1, v[29:30]
	s_mov_b64 s[10:11], 2
	s_mov_b32 s18, 0
	s_delay_alu instid0(VALU_DEP_2)
	v_mov_b32_e32 v32, v27
	.p2align	6
.LBB65_56:                              ; =>This Inner Loop Header: Depth=1
	s_clz_i32_u32 s19, s11
	s_delay_alu instid0(SALU_CYCLE_1) | instskip(NEXT) | instid1(SALU_CYCLE_1)
	s_min_u32 s19, s19, 32
	s_lshl_b64 s[20:21], s[10:11], s19
	s_sub_i32 s19, 32, s19
	s_min_u32 s20, s20, 1
	s_delay_alu instid0(SALU_CYCLE_1) | instskip(SKIP_3) | instid1(SALU_CYCLE_1)
	s_or_b32 s20, s21, s20
	s_add_u32 s10, s10, 2
	v_cvt_f32_u32_e32 v59, s20
	s_addc_u32 s11, s11, 0
	v_cmp_ge_u64_e32 vcc_lo, s[10:11], v[29:30]
	s_delay_alu instid0(VALU_DEP_2) | instskip(SKIP_1) | instid1(VALU_DEP_1)
	v_ldexp_f32 v59, v59, s19
	s_or_b32 s18, vcc_lo, s18
	v_dual_mul_f32 v59, v58, v59 :: v_dual_mov_b32 v58, v32
	s_delay_alu instid0(VALU_DEP_1)
	v_fma_f32 v32, v27, v32, -v59
	s_and_not1_b32 exec_lo, exec_lo, s18
	s_cbranch_execnz .LBB65_56
; %bb.57:
	s_or_b32 exec_lo, exec_lo, s18
.LBB65_58:
	s_delay_alu instid0(SALU_CYCLE_1)
	s_or_b32 exec_lo, exec_lo, s17
                                        ; implicit-def: $vgpr27
.LBB65_59:
	s_and_not1_saveexec_b32 s10, s16
; %bb.60:
	v_add_f32_e32 v32, v27, v27
; %bb.61:
	s_or_b32 exec_lo, exec_lo, s10
.LBB65_62:
	s_delay_alu instid0(SALU_CYCLE_1)
	s_or_b32 exec_lo, exec_lo, s14
.LBB65_63:
	s_delay_alu instid0(SALU_CYCLE_1) | instskip(SKIP_2) | instid1(VALU_DEP_1)
	s_or_b32 exec_lo, exec_lo, s13
	v_cvt_f16_f32_e32 v27, v28
	s_mov_b32 s13, exec_lo
	v_cvt_f32_f16_e32 v28, v27
	v_cmp_class_f16_e64 vcc_lo, v27, 0x1f8
	s_delay_alu instid0(VALU_DEP_2) | instskip(NEXT) | instid1(VALU_DEP_1)
	v_cvt_i32_f32_e32 v29, v28
	v_ashrrev_i32_e32 v28, 31, v29
	v_cndmask_b32_e32 v27, -1, v29, vcc_lo
	s_delay_alu instid0(VALU_DEP_2) | instskip(NEXT) | instid1(VALU_DEP_1)
	v_dual_mov_b32 v29, 0 :: v_dual_cndmask_b32 v28, -1, v28
	v_cmpx_lt_i64_e32 -1, v[27:28]
	s_cbranch_execz .LBB65_75
; %bb.64:
	v_mov_b32_e32 v29, 1.0
	s_mov_b32 s14, exec_lo
	v_cmpx_lt_i64_e32 0, v[27:28]
	s_cbranch_execz .LBB65_74
; %bb.65:
	v_lshrrev_b32_e32 v29, 16, v57
	s_mov_b32 s10, exec_lo
	s_delay_alu instid0(VALU_DEP_1)
	v_cvt_f32_f16_e32 v30, v29
                                        ; implicit-def: $vgpr29
	v_cmpx_ne_u64_e32 1, v[27:28]
	s_xor_b32 s16, exec_lo, s10
	s_cbranch_execz .LBB65_71
; %bb.66:
	v_mov_b32_e32 v29, 0x7fc00000
	s_mov_b32 s17, exec_lo
	v_cmpx_gt_u64_e32 0x81, v[27:28]
	s_cbranch_execz .LBB65_70
; %bb.67:
	v_dual_add_f32 v30, v30, v30 :: v_dual_mov_b32 v57, 1.0
	v_lshlrev_b64 v[27:28], 1, v[27:28]
	s_mov_b64 s[10:11], 2
	s_mov_b32 s18, 0
	s_delay_alu instid0(VALU_DEP_2)
	v_mov_b32_e32 v29, v30
	.p2align	6
.LBB65_68:                              ; =>This Inner Loop Header: Depth=1
	s_clz_i32_u32 s19, s11
	s_delay_alu instid0(SALU_CYCLE_1) | instskip(NEXT) | instid1(SALU_CYCLE_1)
	s_min_u32 s19, s19, 32
	s_lshl_b64 s[20:21], s[10:11], s19
	s_sub_i32 s19, 32, s19
	s_min_u32 s20, s20, 1
	s_delay_alu instid0(SALU_CYCLE_1) | instskip(SKIP_3) | instid1(SALU_CYCLE_1)
	s_or_b32 s20, s21, s20
	s_add_u32 s10, s10, 2
	v_cvt_f32_u32_e32 v58, s20
	s_addc_u32 s11, s11, 0
	v_cmp_ge_u64_e32 vcc_lo, s[10:11], v[27:28]
	s_delay_alu instid0(VALU_DEP_2) | instskip(SKIP_1) | instid1(VALU_DEP_1)
	v_ldexp_f32 v58, v58, s19
	s_or_b32 s18, vcc_lo, s18
	v_mul_f32_e32 v58, v57, v58
	v_mov_b32_e32 v57, v29
	s_delay_alu instid0(VALU_DEP_2)
	v_fma_f32 v29, v30, v29, -v58
	s_and_not1_b32 exec_lo, exec_lo, s18
	s_cbranch_execnz .LBB65_68
; %bb.69:
	s_or_b32 exec_lo, exec_lo, s18
.LBB65_70:
	s_delay_alu instid0(SALU_CYCLE_1)
	s_or_b32 exec_lo, exec_lo, s17
                                        ; implicit-def: $vgpr30
.LBB65_71:
	s_and_not1_saveexec_b32 s10, s16
; %bb.72:
	v_add_f32_e32 v29, v30, v30
; %bb.73:
	s_or_b32 exec_lo, exec_lo, s10
.LBB65_74:
	s_delay_alu instid0(SALU_CYCLE_1)
	s_or_b32 exec_lo, exec_lo, s14
.LBB65_75:
	s_delay_alu instid0(SALU_CYCLE_1) | instskip(SKIP_4) | instid1(VALU_DEP_2)
	s_or_b32 exec_lo, exec_lo, s13
	s_waitcnt vmcnt(12)
	v_cvt_f16_f32_e32 v25, v25
	v_mov_b32_e32 v30, 0
	s_mov_b32 s13, exec_lo
	v_cvt_f32_f16_e32 v27, v25
	v_cmp_class_f16_e64 vcc_lo, v25, 0x1f8
	s_delay_alu instid0(VALU_DEP_2) | instskip(NEXT) | instid1(VALU_DEP_1)
	v_cvt_i32_f32_e32 v27, v27
	v_ashrrev_i32_e32 v28, 31, v27
	s_delay_alu instid0(VALU_DEP_1) | instskip(NEXT) | instid1(VALU_DEP_1)
	v_dual_cndmask_b32 v27, -1, v27 :: v_dual_cndmask_b32 v28, -1, v28
	v_cmpx_lt_i64_e32 -1, v[27:28]
	s_cbranch_execz .LBB65_87
; %bb.76:
	v_mov_b32_e32 v30, 1.0
	s_mov_b32 s14, exec_lo
	v_cmpx_lt_i64_e32 0, v[27:28]
	s_cbranch_execz .LBB65_86
; %bb.77:
	v_cvt_f32_f16_e32 v25, v56
                                        ; implicit-def: $vgpr30
	s_mov_b32 s10, exec_lo
	v_cmpx_ne_u64_e32 1, v[27:28]
	s_xor_b32 s16, exec_lo, s10
	s_cbranch_execz .LBB65_83
; %bb.78:
	v_mov_b32_e32 v30, 0x7fc00000
	s_mov_b32 s17, exec_lo
	v_cmpx_gt_u64_e32 0x81, v[27:28]
	s_cbranch_execz .LBB65_82
; %bb.79:
	v_add_f32_e32 v25, v25, v25
	v_lshlrev_b64 v[27:28], 1, v[27:28]
	v_mov_b32_e32 v57, 1.0
	s_mov_b64 s[10:11], 2
	s_mov_b32 s18, 0
	v_mov_b32_e32 v30, v25
	.p2align	6
.LBB65_80:                              ; =>This Inner Loop Header: Depth=1
	s_clz_i32_u32 s19, s11
	s_delay_alu instid0(SALU_CYCLE_1) | instskip(NEXT) | instid1(SALU_CYCLE_1)
	s_min_u32 s19, s19, 32
	s_lshl_b64 s[20:21], s[10:11], s19
	s_sub_i32 s19, 32, s19
	s_min_u32 s20, s20, 1
	s_delay_alu instid0(SALU_CYCLE_1) | instskip(SKIP_3) | instid1(SALU_CYCLE_1)
	s_or_b32 s20, s21, s20
	s_add_u32 s10, s10, 2
	v_cvt_f32_u32_e32 v58, s20
	s_addc_u32 s11, s11, 0
	v_cmp_ge_u64_e32 vcc_lo, s[10:11], v[27:28]
	s_delay_alu instid0(VALU_DEP_2) | instskip(SKIP_1) | instid1(VALU_DEP_1)
	v_ldexp_f32 v58, v58, s19
	s_or_b32 s18, vcc_lo, s18
	v_dual_mul_f32 v58, v57, v58 :: v_dual_mov_b32 v57, v30
	s_delay_alu instid0(VALU_DEP_1)
	v_fma_f32 v30, v25, v30, -v58
	s_and_not1_b32 exec_lo, exec_lo, s18
	s_cbranch_execnz .LBB65_80
; %bb.81:
	s_or_b32 exec_lo, exec_lo, s18
.LBB65_82:
	s_delay_alu instid0(SALU_CYCLE_1)
	s_or_b32 exec_lo, exec_lo, s17
                                        ; implicit-def: $vgpr25
.LBB65_83:
	s_and_not1_saveexec_b32 s10, s16
; %bb.84:
	v_add_f32_e32 v30, v25, v25
; %bb.85:
	s_or_b32 exec_lo, exec_lo, s10
.LBB65_86:
	s_delay_alu instid0(SALU_CYCLE_1)
	s_or_b32 exec_lo, exec_lo, s14
.LBB65_87:
	s_delay_alu instid0(SALU_CYCLE_1) | instskip(SKIP_2) | instid1(VALU_DEP_1)
	s_or_b32 exec_lo, exec_lo, s13
	v_cvt_f16_f32_e32 v25, v26
	s_mov_b32 s13, exec_lo
	v_cvt_f32_f16_e32 v26, v25
	v_cmp_class_f16_e64 vcc_lo, v25, 0x1f8
	s_delay_alu instid0(VALU_DEP_2) | instskip(NEXT) | instid1(VALU_DEP_1)
	v_cvt_i32_f32_e32 v27, v26
	v_ashrrev_i32_e32 v26, 31, v27
	v_cndmask_b32_e32 v25, -1, v27, vcc_lo
	s_delay_alu instid0(VALU_DEP_2) | instskip(NEXT) | instid1(VALU_DEP_1)
	v_dual_mov_b32 v27, 0 :: v_dual_cndmask_b32 v26, -1, v26
	v_cmpx_lt_i64_e32 -1, v[25:26]
	s_cbranch_execz .LBB65_99
; %bb.88:
	v_mov_b32_e32 v27, 1.0
	s_mov_b32 s14, exec_lo
	v_cmpx_lt_i64_e32 0, v[25:26]
	s_cbranch_execz .LBB65_98
; %bb.89:
	v_lshrrev_b32_e32 v27, 16, v56
	s_mov_b32 s10, exec_lo
	s_delay_alu instid0(VALU_DEP_1)
	v_cvt_f32_f16_e32 v28, v27
                                        ; implicit-def: $vgpr27
	v_cmpx_ne_u64_e32 1, v[25:26]
	s_xor_b32 s16, exec_lo, s10
	s_cbranch_execz .LBB65_95
; %bb.90:
	v_mov_b32_e32 v27, 0x7fc00000
	s_mov_b32 s17, exec_lo
	v_cmpx_gt_u64_e32 0x81, v[25:26]
	s_cbranch_execz .LBB65_94
; %bb.91:
	v_add_f32_e32 v28, v28, v28
	v_lshlrev_b64 v[25:26], 1, v[25:26]
	v_mov_b32_e32 v56, 1.0
	s_mov_b64 s[10:11], 2
	s_mov_b32 s18, 0
	v_mov_b32_e32 v27, v28
	.p2align	6
.LBB65_92:                              ; =>This Inner Loop Header: Depth=1
	s_clz_i32_u32 s19, s11
	s_delay_alu instid0(SALU_CYCLE_1) | instskip(NEXT) | instid1(SALU_CYCLE_1)
	s_min_u32 s19, s19, 32
	s_lshl_b64 s[20:21], s[10:11], s19
	s_sub_i32 s19, 32, s19
	s_min_u32 s20, s20, 1
	s_delay_alu instid0(SALU_CYCLE_1) | instskip(SKIP_3) | instid1(SALU_CYCLE_1)
	s_or_b32 s20, s21, s20
	s_add_u32 s10, s10, 2
	v_cvt_f32_u32_e32 v57, s20
	s_addc_u32 s11, s11, 0
	v_cmp_ge_u64_e32 vcc_lo, s[10:11], v[25:26]
	s_delay_alu instid0(VALU_DEP_2) | instskip(SKIP_1) | instid1(VALU_DEP_1)
	v_ldexp_f32 v57, v57, s19
	s_or_b32 s18, vcc_lo, s18
	v_dual_mul_f32 v57, v56, v57 :: v_dual_mov_b32 v56, v27
	s_delay_alu instid0(VALU_DEP_1)
	v_fma_f32 v27, v28, v27, -v57
	s_and_not1_b32 exec_lo, exec_lo, s18
	s_cbranch_execnz .LBB65_92
; %bb.93:
	s_or_b32 exec_lo, exec_lo, s18
.LBB65_94:
	s_delay_alu instid0(SALU_CYCLE_1)
	s_or_b32 exec_lo, exec_lo, s17
                                        ; implicit-def: $vgpr28
.LBB65_95:
	s_and_not1_saveexec_b32 s10, s16
; %bb.96:
	v_add_f32_e32 v27, v28, v28
; %bb.97:
	s_or_b32 exec_lo, exec_lo, s10
.LBB65_98:
	s_delay_alu instid0(SALU_CYCLE_1)
	s_or_b32 exec_lo, exec_lo, s14
.LBB65_99:
	s_delay_alu instid0(SALU_CYCLE_1) | instskip(SKIP_4) | instid1(VALU_DEP_2)
	s_or_b32 exec_lo, exec_lo, s13
	s_waitcnt vmcnt(11)
	v_cvt_f16_f32_e32 v23, v23
	v_mov_b32_e32 v28, 0
	s_mov_b32 s13, exec_lo
	v_cvt_f32_f16_e32 v25, v23
	v_cmp_class_f16_e64 vcc_lo, v23, 0x1f8
	s_delay_alu instid0(VALU_DEP_2) | instskip(NEXT) | instid1(VALU_DEP_1)
	v_cvt_i32_f32_e32 v25, v25
	v_ashrrev_i32_e32 v26, 31, v25
	s_delay_alu instid0(VALU_DEP_1) | instskip(NEXT) | instid1(VALU_DEP_1)
	v_dual_cndmask_b32 v25, -1, v25 :: v_dual_cndmask_b32 v26, -1, v26
	v_cmpx_lt_i64_e32 -1, v[25:26]
	s_cbranch_execz .LBB65_111
; %bb.100:
	v_mov_b32_e32 v28, 1.0
	s_mov_b32 s14, exec_lo
	v_cmpx_lt_i64_e32 0, v[25:26]
	s_cbranch_execz .LBB65_110
; %bb.101:
	v_cvt_f32_f16_e32 v23, v55
                                        ; implicit-def: $vgpr28
	s_mov_b32 s10, exec_lo
	v_cmpx_ne_u64_e32 1, v[25:26]
	s_xor_b32 s16, exec_lo, s10
	s_cbranch_execz .LBB65_107
; %bb.102:
	v_mov_b32_e32 v28, 0x7fc00000
	s_mov_b32 s17, exec_lo
	v_cmpx_gt_u64_e32 0x81, v[25:26]
	s_cbranch_execz .LBB65_106
; %bb.103:
	v_dual_add_f32 v23, v23, v23 :: v_dual_mov_b32 v56, 1.0
	v_lshlrev_b64 v[25:26], 1, v[25:26]
	s_mov_b64 s[10:11], 2
	s_mov_b32 s18, 0
	s_delay_alu instid0(VALU_DEP_2)
	v_mov_b32_e32 v28, v23
	.p2align	6
.LBB65_104:                             ; =>This Inner Loop Header: Depth=1
	s_clz_i32_u32 s19, s11
	s_delay_alu instid0(SALU_CYCLE_1) | instskip(NEXT) | instid1(SALU_CYCLE_1)
	s_min_u32 s19, s19, 32
	s_lshl_b64 s[20:21], s[10:11], s19
	s_sub_i32 s19, 32, s19
	s_min_u32 s20, s20, 1
	s_delay_alu instid0(SALU_CYCLE_1) | instskip(SKIP_3) | instid1(SALU_CYCLE_1)
	s_or_b32 s20, s21, s20
	s_add_u32 s10, s10, 2
	v_cvt_f32_u32_e32 v57, s20
	s_addc_u32 s11, s11, 0
	v_cmp_ge_u64_e32 vcc_lo, s[10:11], v[25:26]
	s_delay_alu instid0(VALU_DEP_2) | instskip(SKIP_1) | instid1(VALU_DEP_1)
	v_ldexp_f32 v57, v57, s19
	s_or_b32 s18, vcc_lo, s18
	v_mul_f32_e32 v57, v56, v57
	v_mov_b32_e32 v56, v28
	s_delay_alu instid0(VALU_DEP_2)
	v_fma_f32 v28, v23, v28, -v57
	s_and_not1_b32 exec_lo, exec_lo, s18
	s_cbranch_execnz .LBB65_104
; %bb.105:
	s_or_b32 exec_lo, exec_lo, s18
.LBB65_106:
	s_delay_alu instid0(SALU_CYCLE_1)
	s_or_b32 exec_lo, exec_lo, s17
                                        ; implicit-def: $vgpr23
.LBB65_107:
	s_and_not1_saveexec_b32 s10, s16
; %bb.108:
	v_add_f32_e32 v28, v23, v23
; %bb.109:
	s_or_b32 exec_lo, exec_lo, s10
.LBB65_110:
	s_delay_alu instid0(SALU_CYCLE_1)
	s_or_b32 exec_lo, exec_lo, s14
.LBB65_111:
	s_delay_alu instid0(SALU_CYCLE_1) | instskip(SKIP_2) | instid1(VALU_DEP_1)
	s_or_b32 exec_lo, exec_lo, s13
	v_cvt_f16_f32_e32 v23, v24
	s_mov_b32 s13, exec_lo
	v_cvt_f32_f16_e32 v24, v23
	v_cmp_class_f16_e64 vcc_lo, v23, 0x1f8
	s_delay_alu instid0(VALU_DEP_2) | instskip(NEXT) | instid1(VALU_DEP_1)
	v_cvt_i32_f32_e32 v25, v24
	v_ashrrev_i32_e32 v24, 31, v25
	v_cndmask_b32_e32 v23, -1, v25, vcc_lo
	s_delay_alu instid0(VALU_DEP_2) | instskip(NEXT) | instid1(VALU_DEP_1)
	v_dual_mov_b32 v25, 0 :: v_dual_cndmask_b32 v24, -1, v24
	v_cmpx_lt_i64_e32 -1, v[23:24]
	s_cbranch_execz .LBB65_123
; %bb.112:
	v_mov_b32_e32 v25, 1.0
	s_mov_b32 s14, exec_lo
	v_cmpx_lt_i64_e32 0, v[23:24]
	s_cbranch_execz .LBB65_122
; %bb.113:
	v_lshrrev_b32_e32 v25, 16, v55
	s_mov_b32 s10, exec_lo
	s_delay_alu instid0(VALU_DEP_1)
	v_cvt_f32_f16_e32 v26, v25
                                        ; implicit-def: $vgpr25
	v_cmpx_ne_u64_e32 1, v[23:24]
	s_xor_b32 s16, exec_lo, s10
	s_cbranch_execz .LBB65_119
; %bb.114:
	v_mov_b32_e32 v25, 0x7fc00000
	s_mov_b32 s17, exec_lo
	v_cmpx_gt_u64_e32 0x81, v[23:24]
	s_cbranch_execz .LBB65_118
; %bb.115:
	v_dual_add_f32 v26, v26, v26 :: v_dual_mov_b32 v55, 1.0
	v_lshlrev_b64 v[23:24], 1, v[23:24]
	s_mov_b64 s[10:11], 2
	s_mov_b32 s18, 0
	s_delay_alu instid0(VALU_DEP_2)
	v_mov_b32_e32 v25, v26
	.p2align	6
.LBB65_116:                             ; =>This Inner Loop Header: Depth=1
	s_clz_i32_u32 s19, s11
	s_delay_alu instid0(SALU_CYCLE_1) | instskip(NEXT) | instid1(SALU_CYCLE_1)
	s_min_u32 s19, s19, 32
	s_lshl_b64 s[20:21], s[10:11], s19
	s_sub_i32 s19, 32, s19
	s_min_u32 s20, s20, 1
	s_delay_alu instid0(SALU_CYCLE_1) | instskip(SKIP_3) | instid1(SALU_CYCLE_1)
	s_or_b32 s20, s21, s20
	s_add_u32 s10, s10, 2
	v_cvt_f32_u32_e32 v56, s20
	s_addc_u32 s11, s11, 0
	v_cmp_ge_u64_e32 vcc_lo, s[10:11], v[23:24]
	s_delay_alu instid0(VALU_DEP_2) | instskip(SKIP_1) | instid1(VALU_DEP_1)
	v_ldexp_f32 v56, v56, s19
	s_or_b32 s18, vcc_lo, s18
	v_dual_mul_f32 v56, v55, v56 :: v_dual_mov_b32 v55, v25
	s_delay_alu instid0(VALU_DEP_1)
	v_fma_f32 v25, v26, v25, -v56
	s_and_not1_b32 exec_lo, exec_lo, s18
	s_cbranch_execnz .LBB65_116
; %bb.117:
	s_or_b32 exec_lo, exec_lo, s18
.LBB65_118:
	s_delay_alu instid0(SALU_CYCLE_1)
	s_or_b32 exec_lo, exec_lo, s17
                                        ; implicit-def: $vgpr26
.LBB65_119:
	s_and_not1_saveexec_b32 s10, s16
; %bb.120:
	v_add_f32_e32 v25, v26, v26
; %bb.121:
	s_or_b32 exec_lo, exec_lo, s10
.LBB65_122:
	s_delay_alu instid0(SALU_CYCLE_1)
	s_or_b32 exec_lo, exec_lo, s14
.LBB65_123:
	s_delay_alu instid0(SALU_CYCLE_1) | instskip(SKIP_4) | instid1(VALU_DEP_2)
	s_or_b32 exec_lo, exec_lo, s13
	s_waitcnt vmcnt(10)
	v_cvt_f16_f32_e32 v21, v21
	v_mov_b32_e32 v26, 0
	s_mov_b32 s13, exec_lo
	v_cvt_f32_f16_e32 v23, v21
	v_cmp_class_f16_e64 vcc_lo, v21, 0x1f8
	s_delay_alu instid0(VALU_DEP_2) | instskip(NEXT) | instid1(VALU_DEP_1)
	v_cvt_i32_f32_e32 v23, v23
	v_ashrrev_i32_e32 v24, 31, v23
	s_delay_alu instid0(VALU_DEP_1) | instskip(NEXT) | instid1(VALU_DEP_1)
	v_dual_cndmask_b32 v23, -1, v23 :: v_dual_cndmask_b32 v24, -1, v24
	v_cmpx_lt_i64_e32 -1, v[23:24]
	s_cbranch_execz .LBB65_135
; %bb.124:
	v_mov_b32_e32 v26, 1.0
	s_mov_b32 s14, exec_lo
	v_cmpx_lt_i64_e32 0, v[23:24]
	s_cbranch_execz .LBB65_134
; %bb.125:
	v_cvt_f32_f16_e32 v21, v54
                                        ; implicit-def: $vgpr26
	s_mov_b32 s10, exec_lo
	v_cmpx_ne_u64_e32 1, v[23:24]
	s_xor_b32 s16, exec_lo, s10
	s_cbranch_execz .LBB65_131
; %bb.126:
	v_mov_b32_e32 v26, 0x7fc00000
	s_mov_b32 s17, exec_lo
	v_cmpx_gt_u64_e32 0x81, v[23:24]
	s_cbranch_execz .LBB65_130
; %bb.127:
	v_add_f32_e32 v21, v21, v21
	v_lshlrev_b64 v[23:24], 1, v[23:24]
	v_mov_b32_e32 v55, 1.0
	s_mov_b64 s[10:11], 2
	s_mov_b32 s18, 0
	v_mov_b32_e32 v26, v21
	.p2align	6
.LBB65_128:                             ; =>This Inner Loop Header: Depth=1
	s_clz_i32_u32 s19, s11
	s_delay_alu instid0(SALU_CYCLE_1) | instskip(NEXT) | instid1(SALU_CYCLE_1)
	s_min_u32 s19, s19, 32
	s_lshl_b64 s[20:21], s[10:11], s19
	s_sub_i32 s19, 32, s19
	s_min_u32 s20, s20, 1
	s_delay_alu instid0(SALU_CYCLE_1) | instskip(SKIP_3) | instid1(SALU_CYCLE_1)
	s_or_b32 s20, s21, s20
	s_add_u32 s10, s10, 2
	v_cvt_f32_u32_e32 v56, s20
	s_addc_u32 s11, s11, 0
	v_cmp_ge_u64_e32 vcc_lo, s[10:11], v[23:24]
	s_delay_alu instid0(VALU_DEP_2) | instskip(SKIP_1) | instid1(VALU_DEP_1)
	v_ldexp_f32 v56, v56, s19
	s_or_b32 s18, vcc_lo, s18
	v_dual_mul_f32 v56, v55, v56 :: v_dual_mov_b32 v55, v26
	s_delay_alu instid0(VALU_DEP_1)
	v_fma_f32 v26, v21, v26, -v56
	s_and_not1_b32 exec_lo, exec_lo, s18
	s_cbranch_execnz .LBB65_128
; %bb.129:
	s_or_b32 exec_lo, exec_lo, s18
.LBB65_130:
	s_delay_alu instid0(SALU_CYCLE_1)
	s_or_b32 exec_lo, exec_lo, s17
                                        ; implicit-def: $vgpr21
.LBB65_131:
	s_and_not1_saveexec_b32 s10, s16
; %bb.132:
	v_add_f32_e32 v26, v21, v21
; %bb.133:
	s_or_b32 exec_lo, exec_lo, s10
.LBB65_134:
	s_delay_alu instid0(SALU_CYCLE_1)
	s_or_b32 exec_lo, exec_lo, s14
.LBB65_135:
	s_delay_alu instid0(SALU_CYCLE_1) | instskip(SKIP_2) | instid1(VALU_DEP_1)
	s_or_b32 exec_lo, exec_lo, s13
	v_cvt_f16_f32_e32 v21, v22
	s_mov_b32 s13, exec_lo
	v_cvt_f32_f16_e32 v22, v21
	v_cmp_class_f16_e64 vcc_lo, v21, 0x1f8
	s_delay_alu instid0(VALU_DEP_2) | instskip(NEXT) | instid1(VALU_DEP_1)
	v_cvt_i32_f32_e32 v23, v22
	v_ashrrev_i32_e32 v22, 31, v23
	v_cndmask_b32_e32 v21, -1, v23, vcc_lo
	s_delay_alu instid0(VALU_DEP_2) | instskip(NEXT) | instid1(VALU_DEP_1)
	v_dual_mov_b32 v23, 0 :: v_dual_cndmask_b32 v22, -1, v22
	v_cmpx_lt_i64_e32 -1, v[21:22]
	s_cbranch_execz .LBB65_147
; %bb.136:
	v_mov_b32_e32 v23, 1.0
	s_mov_b32 s14, exec_lo
	v_cmpx_lt_i64_e32 0, v[21:22]
	s_cbranch_execz .LBB65_146
; %bb.137:
	v_lshrrev_b32_e32 v23, 16, v54
	s_mov_b32 s10, exec_lo
	s_delay_alu instid0(VALU_DEP_1)
	v_cvt_f32_f16_e32 v24, v23
                                        ; implicit-def: $vgpr23
	v_cmpx_ne_u64_e32 1, v[21:22]
	s_xor_b32 s16, exec_lo, s10
	s_cbranch_execz .LBB65_143
; %bb.138:
	v_mov_b32_e32 v23, 0x7fc00000
	s_mov_b32 s17, exec_lo
	v_cmpx_gt_u64_e32 0x81, v[21:22]
	s_cbranch_execz .LBB65_142
; %bb.139:
	v_add_f32_e32 v24, v24, v24
	v_lshlrev_b64 v[21:22], 1, v[21:22]
	v_mov_b32_e32 v54, 1.0
	s_mov_b64 s[10:11], 2
	s_mov_b32 s18, 0
	v_mov_b32_e32 v23, v24
	.p2align	6
.LBB65_140:                             ; =>This Inner Loop Header: Depth=1
	s_clz_i32_u32 s19, s11
	s_delay_alu instid0(SALU_CYCLE_1) | instskip(NEXT) | instid1(SALU_CYCLE_1)
	s_min_u32 s19, s19, 32
	s_lshl_b64 s[20:21], s[10:11], s19
	s_sub_i32 s19, 32, s19
	s_min_u32 s20, s20, 1
	s_delay_alu instid0(SALU_CYCLE_1) | instskip(SKIP_3) | instid1(SALU_CYCLE_1)
	s_or_b32 s20, s21, s20
	s_add_u32 s10, s10, 2
	v_cvt_f32_u32_e32 v55, s20
	s_addc_u32 s11, s11, 0
	v_cmp_ge_u64_e32 vcc_lo, s[10:11], v[21:22]
	s_delay_alu instid0(VALU_DEP_2) | instskip(SKIP_1) | instid1(VALU_DEP_1)
	v_ldexp_f32 v55, v55, s19
	s_or_b32 s18, vcc_lo, s18
	v_dual_mul_f32 v55, v54, v55 :: v_dual_mov_b32 v54, v23
	s_delay_alu instid0(VALU_DEP_1)
	v_fma_f32 v23, v24, v23, -v55
	s_and_not1_b32 exec_lo, exec_lo, s18
	s_cbranch_execnz .LBB65_140
; %bb.141:
	s_or_b32 exec_lo, exec_lo, s18
.LBB65_142:
	s_delay_alu instid0(SALU_CYCLE_1)
	s_or_b32 exec_lo, exec_lo, s17
                                        ; implicit-def: $vgpr24
.LBB65_143:
	s_and_not1_saveexec_b32 s10, s16
; %bb.144:
	v_add_f32_e32 v23, v24, v24
; %bb.145:
	s_or_b32 exec_lo, exec_lo, s10
.LBB65_146:
	s_delay_alu instid0(SALU_CYCLE_1)
	s_or_b32 exec_lo, exec_lo, s14
.LBB65_147:
	s_delay_alu instid0(SALU_CYCLE_1) | instskip(SKIP_4) | instid1(VALU_DEP_2)
	s_or_b32 exec_lo, exec_lo, s13
	s_waitcnt vmcnt(9)
	v_cvt_f16_f32_e32 v19, v19
	v_mov_b32_e32 v24, 0
	s_mov_b32 s13, exec_lo
	v_cvt_f32_f16_e32 v21, v19
	v_cmp_class_f16_e64 vcc_lo, v19, 0x1f8
	s_delay_alu instid0(VALU_DEP_2) | instskip(NEXT) | instid1(VALU_DEP_1)
	v_cvt_i32_f32_e32 v21, v21
	v_ashrrev_i32_e32 v22, 31, v21
	s_delay_alu instid0(VALU_DEP_1) | instskip(NEXT) | instid1(VALU_DEP_1)
	v_dual_cndmask_b32 v21, -1, v21 :: v_dual_cndmask_b32 v22, -1, v22
	v_cmpx_lt_i64_e32 -1, v[21:22]
	s_cbranch_execz .LBB65_159
; %bb.148:
	v_mov_b32_e32 v24, 1.0
	s_mov_b32 s14, exec_lo
	v_cmpx_lt_i64_e32 0, v[21:22]
	s_cbranch_execz .LBB65_158
; %bb.149:
	v_cvt_f32_f16_e32 v19, v53
                                        ; implicit-def: $vgpr24
	s_mov_b32 s10, exec_lo
	v_cmpx_ne_u64_e32 1, v[21:22]
	s_xor_b32 s16, exec_lo, s10
	s_cbranch_execz .LBB65_155
; %bb.150:
	v_mov_b32_e32 v24, 0x7fc00000
	s_mov_b32 s17, exec_lo
	v_cmpx_gt_u64_e32 0x81, v[21:22]
	s_cbranch_execz .LBB65_154
; %bb.151:
	v_dual_add_f32 v19, v19, v19 :: v_dual_mov_b32 v54, 1.0
	v_lshlrev_b64 v[21:22], 1, v[21:22]
	s_mov_b64 s[10:11], 2
	s_mov_b32 s18, 0
	s_delay_alu instid0(VALU_DEP_2)
	v_mov_b32_e32 v24, v19
	.p2align	6
.LBB65_152:                             ; =>This Inner Loop Header: Depth=1
	s_clz_i32_u32 s19, s11
	s_delay_alu instid0(SALU_CYCLE_1) | instskip(NEXT) | instid1(SALU_CYCLE_1)
	s_min_u32 s19, s19, 32
	s_lshl_b64 s[20:21], s[10:11], s19
	s_sub_i32 s19, 32, s19
	s_min_u32 s20, s20, 1
	s_delay_alu instid0(SALU_CYCLE_1) | instskip(SKIP_3) | instid1(SALU_CYCLE_1)
	s_or_b32 s20, s21, s20
	s_add_u32 s10, s10, 2
	v_cvt_f32_u32_e32 v55, s20
	s_addc_u32 s11, s11, 0
	v_cmp_ge_u64_e32 vcc_lo, s[10:11], v[21:22]
	s_delay_alu instid0(VALU_DEP_2) | instskip(SKIP_1) | instid1(VALU_DEP_1)
	v_ldexp_f32 v55, v55, s19
	s_or_b32 s18, vcc_lo, s18
	v_dual_mul_f32 v55, v54, v55 :: v_dual_mov_b32 v54, v24
	s_delay_alu instid0(VALU_DEP_1)
	v_fma_f32 v24, v19, v24, -v55
	s_and_not1_b32 exec_lo, exec_lo, s18
	s_cbranch_execnz .LBB65_152
; %bb.153:
	s_or_b32 exec_lo, exec_lo, s18
.LBB65_154:
	s_delay_alu instid0(SALU_CYCLE_1)
	s_or_b32 exec_lo, exec_lo, s17
                                        ; implicit-def: $vgpr19
.LBB65_155:
	s_and_not1_saveexec_b32 s10, s16
; %bb.156:
	v_add_f32_e32 v24, v19, v19
; %bb.157:
	s_or_b32 exec_lo, exec_lo, s10
.LBB65_158:
	s_delay_alu instid0(SALU_CYCLE_1)
	s_or_b32 exec_lo, exec_lo, s14
.LBB65_159:
	s_delay_alu instid0(SALU_CYCLE_1) | instskip(SKIP_2) | instid1(VALU_DEP_1)
	s_or_b32 exec_lo, exec_lo, s13
	v_cvt_f16_f32_e32 v19, v20
	s_mov_b32 s13, exec_lo
	v_cvt_f32_f16_e32 v20, v19
	v_cmp_class_f16_e64 vcc_lo, v19, 0x1f8
	s_delay_alu instid0(VALU_DEP_2) | instskip(NEXT) | instid1(VALU_DEP_1)
	v_cvt_i32_f32_e32 v21, v20
	v_ashrrev_i32_e32 v20, 31, v21
	v_cndmask_b32_e32 v19, -1, v21, vcc_lo
	s_delay_alu instid0(VALU_DEP_2) | instskip(NEXT) | instid1(VALU_DEP_1)
	v_dual_mov_b32 v21, 0 :: v_dual_cndmask_b32 v20, -1, v20
	v_cmpx_lt_i64_e32 -1, v[19:20]
	s_cbranch_execz .LBB65_171
; %bb.160:
	v_mov_b32_e32 v21, 1.0
	s_mov_b32 s14, exec_lo
	v_cmpx_lt_i64_e32 0, v[19:20]
	s_cbranch_execz .LBB65_170
; %bb.161:
	v_lshrrev_b32_e32 v21, 16, v53
	s_mov_b32 s10, exec_lo
	s_delay_alu instid0(VALU_DEP_1)
	v_cvt_f32_f16_e32 v22, v21
                                        ; implicit-def: $vgpr21
	v_cmpx_ne_u64_e32 1, v[19:20]
	s_xor_b32 s16, exec_lo, s10
	s_cbranch_execz .LBB65_167
; %bb.162:
	v_mov_b32_e32 v21, 0x7fc00000
	s_mov_b32 s17, exec_lo
	v_cmpx_gt_u64_e32 0x81, v[19:20]
	s_cbranch_execz .LBB65_166
; %bb.163:
	v_dual_add_f32 v22, v22, v22 :: v_dual_mov_b32 v53, 1.0
	v_lshlrev_b64 v[19:20], 1, v[19:20]
	s_mov_b64 s[10:11], 2
	s_mov_b32 s18, 0
	s_delay_alu instid0(VALU_DEP_2)
	v_mov_b32_e32 v21, v22
	.p2align	6
.LBB65_164:                             ; =>This Inner Loop Header: Depth=1
	s_clz_i32_u32 s19, s11
	s_delay_alu instid0(SALU_CYCLE_1) | instskip(NEXT) | instid1(SALU_CYCLE_1)
	s_min_u32 s19, s19, 32
	s_lshl_b64 s[20:21], s[10:11], s19
	s_sub_i32 s19, 32, s19
	s_min_u32 s20, s20, 1
	s_delay_alu instid0(SALU_CYCLE_1) | instskip(SKIP_3) | instid1(SALU_CYCLE_1)
	s_or_b32 s20, s21, s20
	s_add_u32 s10, s10, 2
	v_cvt_f32_u32_e32 v54, s20
	s_addc_u32 s11, s11, 0
	v_cmp_ge_u64_e32 vcc_lo, s[10:11], v[19:20]
	s_delay_alu instid0(VALU_DEP_2) | instskip(SKIP_1) | instid1(VALU_DEP_1)
	v_ldexp_f32 v54, v54, s19
	s_or_b32 s18, vcc_lo, s18
	v_mul_f32_e32 v54, v53, v54
	v_mov_b32_e32 v53, v21
	s_delay_alu instid0(VALU_DEP_2)
	v_fma_f32 v21, v22, v21, -v54
	s_and_not1_b32 exec_lo, exec_lo, s18
	s_cbranch_execnz .LBB65_164
; %bb.165:
	s_or_b32 exec_lo, exec_lo, s18
.LBB65_166:
	s_delay_alu instid0(SALU_CYCLE_1)
	s_or_b32 exec_lo, exec_lo, s17
                                        ; implicit-def: $vgpr22
.LBB65_167:
	s_and_not1_saveexec_b32 s10, s16
; %bb.168:
	v_add_f32_e32 v21, v22, v22
; %bb.169:
	s_or_b32 exec_lo, exec_lo, s10
.LBB65_170:
	s_delay_alu instid0(SALU_CYCLE_1)
	s_or_b32 exec_lo, exec_lo, s14
.LBB65_171:
	s_delay_alu instid0(SALU_CYCLE_1) | instskip(SKIP_4) | instid1(VALU_DEP_2)
	s_or_b32 exec_lo, exec_lo, s13
	s_waitcnt vmcnt(8)
	v_cvt_f16_f32_e32 v17, v17
	v_mov_b32_e32 v22, 0
	s_mov_b32 s13, exec_lo
	v_cvt_f32_f16_e32 v19, v17
	v_cmp_class_f16_e64 vcc_lo, v17, 0x1f8
	s_delay_alu instid0(VALU_DEP_2) | instskip(NEXT) | instid1(VALU_DEP_1)
	v_cvt_i32_f32_e32 v19, v19
	v_ashrrev_i32_e32 v20, 31, v19
	s_delay_alu instid0(VALU_DEP_1) | instskip(NEXT) | instid1(VALU_DEP_1)
	v_dual_cndmask_b32 v19, -1, v19 :: v_dual_cndmask_b32 v20, -1, v20
	v_cmpx_lt_i64_e32 -1, v[19:20]
	s_cbranch_execz .LBB65_183
; %bb.172:
	v_mov_b32_e32 v22, 1.0
	s_mov_b32 s14, exec_lo
	v_cmpx_lt_i64_e32 0, v[19:20]
	s_cbranch_execz .LBB65_182
; %bb.173:
	v_cvt_f32_f16_e32 v17, v52
                                        ; implicit-def: $vgpr22
	s_mov_b32 s10, exec_lo
	v_cmpx_ne_u64_e32 1, v[19:20]
	s_xor_b32 s16, exec_lo, s10
	s_cbranch_execz .LBB65_179
; %bb.174:
	v_mov_b32_e32 v22, 0x7fc00000
	s_mov_b32 s17, exec_lo
	v_cmpx_gt_u64_e32 0x81, v[19:20]
	s_cbranch_execz .LBB65_178
; %bb.175:
	v_add_f32_e32 v17, v17, v17
	v_lshlrev_b64 v[19:20], 1, v[19:20]
	v_mov_b32_e32 v53, 1.0
	s_mov_b64 s[10:11], 2
	s_mov_b32 s18, 0
	v_mov_b32_e32 v22, v17
	.p2align	6
.LBB65_176:                             ; =>This Inner Loop Header: Depth=1
	s_clz_i32_u32 s19, s11
	s_delay_alu instid0(SALU_CYCLE_1) | instskip(NEXT) | instid1(SALU_CYCLE_1)
	s_min_u32 s19, s19, 32
	s_lshl_b64 s[20:21], s[10:11], s19
	s_sub_i32 s19, 32, s19
	s_min_u32 s20, s20, 1
	s_delay_alu instid0(SALU_CYCLE_1) | instskip(SKIP_3) | instid1(SALU_CYCLE_1)
	s_or_b32 s20, s21, s20
	s_add_u32 s10, s10, 2
	v_cvt_f32_u32_e32 v54, s20
	s_addc_u32 s11, s11, 0
	v_cmp_ge_u64_e32 vcc_lo, s[10:11], v[19:20]
	s_delay_alu instid0(VALU_DEP_2) | instskip(SKIP_1) | instid1(VALU_DEP_1)
	v_ldexp_f32 v54, v54, s19
	s_or_b32 s18, vcc_lo, s18
	v_dual_mul_f32 v54, v53, v54 :: v_dual_mov_b32 v53, v22
	s_delay_alu instid0(VALU_DEP_1)
	v_fma_f32 v22, v17, v22, -v54
	s_and_not1_b32 exec_lo, exec_lo, s18
	s_cbranch_execnz .LBB65_176
; %bb.177:
	s_or_b32 exec_lo, exec_lo, s18
.LBB65_178:
	s_delay_alu instid0(SALU_CYCLE_1)
	s_or_b32 exec_lo, exec_lo, s17
                                        ; implicit-def: $vgpr17
.LBB65_179:
	s_and_not1_saveexec_b32 s10, s16
; %bb.180:
	v_add_f32_e32 v22, v17, v17
; %bb.181:
	s_or_b32 exec_lo, exec_lo, s10
.LBB65_182:
	s_delay_alu instid0(SALU_CYCLE_1)
	s_or_b32 exec_lo, exec_lo, s14
.LBB65_183:
	s_delay_alu instid0(SALU_CYCLE_1) | instskip(SKIP_2) | instid1(VALU_DEP_1)
	s_or_b32 exec_lo, exec_lo, s13
	v_cvt_f16_f32_e32 v17, v18
	s_mov_b32 s13, exec_lo
	v_cvt_f32_f16_e32 v18, v17
	v_cmp_class_f16_e64 vcc_lo, v17, 0x1f8
	s_delay_alu instid0(VALU_DEP_2) | instskip(NEXT) | instid1(VALU_DEP_1)
	v_cvt_i32_f32_e32 v19, v18
	v_ashrrev_i32_e32 v18, 31, v19
	v_cndmask_b32_e32 v17, -1, v19, vcc_lo
	s_delay_alu instid0(VALU_DEP_2) | instskip(NEXT) | instid1(VALU_DEP_1)
	v_dual_mov_b32 v19, 0 :: v_dual_cndmask_b32 v18, -1, v18
	v_cmpx_lt_i64_e32 -1, v[17:18]
	s_cbranch_execz .LBB65_195
; %bb.184:
	v_mov_b32_e32 v19, 1.0
	s_mov_b32 s14, exec_lo
	v_cmpx_lt_i64_e32 0, v[17:18]
	s_cbranch_execz .LBB65_194
; %bb.185:
	v_lshrrev_b32_e32 v19, 16, v52
	s_mov_b32 s10, exec_lo
	s_delay_alu instid0(VALU_DEP_1)
	v_cvt_f32_f16_e32 v20, v19
                                        ; implicit-def: $vgpr19
	v_cmpx_ne_u64_e32 1, v[17:18]
	s_xor_b32 s16, exec_lo, s10
	s_cbranch_execz .LBB65_191
; %bb.186:
	v_mov_b32_e32 v19, 0x7fc00000
	s_mov_b32 s17, exec_lo
	v_cmpx_gt_u64_e32 0x81, v[17:18]
	s_cbranch_execz .LBB65_190
; %bb.187:
	v_add_f32_e32 v20, v20, v20
	v_lshlrev_b64 v[17:18], 1, v[17:18]
	v_mov_b32_e32 v52, 1.0
	s_mov_b64 s[10:11], 2
	s_mov_b32 s18, 0
	v_mov_b32_e32 v19, v20
	.p2align	6
.LBB65_188:                             ; =>This Inner Loop Header: Depth=1
	s_clz_i32_u32 s19, s11
	s_delay_alu instid0(SALU_CYCLE_1) | instskip(NEXT) | instid1(SALU_CYCLE_1)
	s_min_u32 s19, s19, 32
	s_lshl_b64 s[20:21], s[10:11], s19
	s_sub_i32 s19, 32, s19
	s_min_u32 s20, s20, 1
	s_delay_alu instid0(SALU_CYCLE_1) | instskip(SKIP_3) | instid1(SALU_CYCLE_1)
	s_or_b32 s20, s21, s20
	s_add_u32 s10, s10, 2
	v_cvt_f32_u32_e32 v53, s20
	s_addc_u32 s11, s11, 0
	v_cmp_ge_u64_e32 vcc_lo, s[10:11], v[17:18]
	s_delay_alu instid0(VALU_DEP_2) | instskip(SKIP_1) | instid1(VALU_DEP_1)
	v_ldexp_f32 v53, v53, s19
	s_or_b32 s18, vcc_lo, s18
	v_dual_mul_f32 v53, v52, v53 :: v_dual_mov_b32 v52, v19
	s_delay_alu instid0(VALU_DEP_1)
	v_fma_f32 v19, v20, v19, -v53
	s_and_not1_b32 exec_lo, exec_lo, s18
	s_cbranch_execnz .LBB65_188
; %bb.189:
	s_or_b32 exec_lo, exec_lo, s18
.LBB65_190:
	s_delay_alu instid0(SALU_CYCLE_1)
	s_or_b32 exec_lo, exec_lo, s17
                                        ; implicit-def: $vgpr20
.LBB65_191:
	s_and_not1_saveexec_b32 s10, s16
; %bb.192:
	v_add_f32_e32 v19, v20, v20
; %bb.193:
	s_or_b32 exec_lo, exec_lo, s10
.LBB65_194:
	s_delay_alu instid0(SALU_CYCLE_1)
	s_or_b32 exec_lo, exec_lo, s14
.LBB65_195:
	s_delay_alu instid0(SALU_CYCLE_1) | instskip(SKIP_4) | instid1(VALU_DEP_2)
	s_or_b32 exec_lo, exec_lo, s13
	s_waitcnt vmcnt(7)
	v_cvt_f16_f32_e32 v15, v15
	v_mov_b32_e32 v20, 0
	s_mov_b32 s13, exec_lo
	v_cvt_f32_f16_e32 v17, v15
	v_cmp_class_f16_e64 vcc_lo, v15, 0x1f8
	s_delay_alu instid0(VALU_DEP_2) | instskip(NEXT) | instid1(VALU_DEP_1)
	v_cvt_i32_f32_e32 v17, v17
	v_ashrrev_i32_e32 v18, 31, v17
	s_delay_alu instid0(VALU_DEP_1) | instskip(NEXT) | instid1(VALU_DEP_1)
	v_dual_cndmask_b32 v17, -1, v17 :: v_dual_cndmask_b32 v18, -1, v18
	v_cmpx_lt_i64_e32 -1, v[17:18]
	s_cbranch_execz .LBB65_207
; %bb.196:
	v_mov_b32_e32 v20, 1.0
	s_mov_b32 s14, exec_lo
	v_cmpx_lt_i64_e32 0, v[17:18]
	s_cbranch_execz .LBB65_206
; %bb.197:
	v_cvt_f32_f16_e32 v15, v51
                                        ; implicit-def: $vgpr20
	s_mov_b32 s10, exec_lo
	v_cmpx_ne_u64_e32 1, v[17:18]
	s_xor_b32 s16, exec_lo, s10
	s_cbranch_execz .LBB65_203
; %bb.198:
	v_mov_b32_e32 v20, 0x7fc00000
	s_mov_b32 s17, exec_lo
	v_cmpx_gt_u64_e32 0x81, v[17:18]
	s_cbranch_execz .LBB65_202
; %bb.199:
	v_dual_add_f32 v15, v15, v15 :: v_dual_mov_b32 v52, 1.0
	v_lshlrev_b64 v[17:18], 1, v[17:18]
	s_mov_b64 s[10:11], 2
	s_mov_b32 s18, 0
	s_delay_alu instid0(VALU_DEP_2)
	v_mov_b32_e32 v20, v15
	.p2align	6
.LBB65_200:                             ; =>This Inner Loop Header: Depth=1
	s_clz_i32_u32 s19, s11
	s_delay_alu instid0(SALU_CYCLE_1) | instskip(NEXT) | instid1(SALU_CYCLE_1)
	s_min_u32 s19, s19, 32
	s_lshl_b64 s[20:21], s[10:11], s19
	s_sub_i32 s19, 32, s19
	s_min_u32 s20, s20, 1
	s_delay_alu instid0(SALU_CYCLE_1) | instskip(SKIP_3) | instid1(SALU_CYCLE_1)
	s_or_b32 s20, s21, s20
	s_add_u32 s10, s10, 2
	v_cvt_f32_u32_e32 v53, s20
	s_addc_u32 s11, s11, 0
	v_cmp_ge_u64_e32 vcc_lo, s[10:11], v[17:18]
	s_delay_alu instid0(VALU_DEP_2) | instskip(SKIP_1) | instid1(VALU_DEP_1)
	v_ldexp_f32 v53, v53, s19
	s_or_b32 s18, vcc_lo, s18
	v_mul_f32_e32 v53, v52, v53
	v_mov_b32_e32 v52, v20
	s_delay_alu instid0(VALU_DEP_2)
	v_fma_f32 v20, v15, v20, -v53
	s_and_not1_b32 exec_lo, exec_lo, s18
	s_cbranch_execnz .LBB65_200
; %bb.201:
	s_or_b32 exec_lo, exec_lo, s18
.LBB65_202:
	s_delay_alu instid0(SALU_CYCLE_1)
	s_or_b32 exec_lo, exec_lo, s17
                                        ; implicit-def: $vgpr15
.LBB65_203:
	s_and_not1_saveexec_b32 s10, s16
; %bb.204:
	v_add_f32_e32 v20, v15, v15
; %bb.205:
	s_or_b32 exec_lo, exec_lo, s10
.LBB65_206:
	s_delay_alu instid0(SALU_CYCLE_1)
	s_or_b32 exec_lo, exec_lo, s14
.LBB65_207:
	s_delay_alu instid0(SALU_CYCLE_1) | instskip(SKIP_2) | instid1(VALU_DEP_1)
	s_or_b32 exec_lo, exec_lo, s13
	v_cvt_f16_f32_e32 v15, v16
	s_mov_b32 s13, exec_lo
	v_cvt_f32_f16_e32 v16, v15
	v_cmp_class_f16_e64 vcc_lo, v15, 0x1f8
	s_delay_alu instid0(VALU_DEP_2) | instskip(NEXT) | instid1(VALU_DEP_1)
	v_cvt_i32_f32_e32 v17, v16
	v_ashrrev_i32_e32 v16, 31, v17
	v_cndmask_b32_e32 v15, -1, v17, vcc_lo
	s_delay_alu instid0(VALU_DEP_2) | instskip(NEXT) | instid1(VALU_DEP_1)
	v_dual_mov_b32 v17, 0 :: v_dual_cndmask_b32 v16, -1, v16
	v_cmpx_lt_i64_e32 -1, v[15:16]
	s_cbranch_execz .LBB65_219
; %bb.208:
	v_mov_b32_e32 v17, 1.0
	s_mov_b32 s14, exec_lo
	v_cmpx_lt_i64_e32 0, v[15:16]
	s_cbranch_execz .LBB65_218
; %bb.209:
	v_lshrrev_b32_e32 v17, 16, v51
	s_mov_b32 s10, exec_lo
	s_delay_alu instid0(VALU_DEP_1)
	v_cvt_f32_f16_e32 v18, v17
                                        ; implicit-def: $vgpr17
	v_cmpx_ne_u64_e32 1, v[15:16]
	s_xor_b32 s16, exec_lo, s10
	s_cbranch_execz .LBB65_215
; %bb.210:
	v_mov_b32_e32 v17, 0x7fc00000
	s_mov_b32 s17, exec_lo
	v_cmpx_gt_u64_e32 0x81, v[15:16]
	s_cbranch_execz .LBB65_214
; %bb.211:
	v_dual_add_f32 v18, v18, v18 :: v_dual_mov_b32 v51, 1.0
	v_lshlrev_b64 v[15:16], 1, v[15:16]
	s_mov_b64 s[10:11], 2
	s_mov_b32 s18, 0
	s_delay_alu instid0(VALU_DEP_2)
	v_mov_b32_e32 v17, v18
	.p2align	6
.LBB65_212:                             ; =>This Inner Loop Header: Depth=1
	s_clz_i32_u32 s19, s11
	s_delay_alu instid0(SALU_CYCLE_1) | instskip(NEXT) | instid1(SALU_CYCLE_1)
	s_min_u32 s19, s19, 32
	s_lshl_b64 s[20:21], s[10:11], s19
	s_sub_i32 s19, 32, s19
	s_min_u32 s20, s20, 1
	s_delay_alu instid0(SALU_CYCLE_1) | instskip(SKIP_3) | instid1(SALU_CYCLE_1)
	s_or_b32 s20, s21, s20
	s_add_u32 s10, s10, 2
	v_cvt_f32_u32_e32 v52, s20
	s_addc_u32 s11, s11, 0
	v_cmp_ge_u64_e32 vcc_lo, s[10:11], v[15:16]
	s_delay_alu instid0(VALU_DEP_2) | instskip(SKIP_1) | instid1(VALU_DEP_1)
	v_ldexp_f32 v52, v52, s19
	s_or_b32 s18, vcc_lo, s18
	v_dual_mul_f32 v52, v51, v52 :: v_dual_mov_b32 v51, v17
	s_delay_alu instid0(VALU_DEP_1)
	v_fma_f32 v17, v18, v17, -v52
	s_and_not1_b32 exec_lo, exec_lo, s18
	s_cbranch_execnz .LBB65_212
; %bb.213:
	s_or_b32 exec_lo, exec_lo, s18
.LBB65_214:
	s_delay_alu instid0(SALU_CYCLE_1)
	s_or_b32 exec_lo, exec_lo, s17
                                        ; implicit-def: $vgpr18
.LBB65_215:
	s_and_not1_saveexec_b32 s10, s16
; %bb.216:
	v_add_f32_e32 v17, v18, v18
; %bb.217:
	s_or_b32 exec_lo, exec_lo, s10
.LBB65_218:
	s_delay_alu instid0(SALU_CYCLE_1)
	s_or_b32 exec_lo, exec_lo, s14
.LBB65_219:
	s_delay_alu instid0(SALU_CYCLE_1) | instskip(SKIP_4) | instid1(VALU_DEP_2)
	s_or_b32 exec_lo, exec_lo, s13
	s_waitcnt vmcnt(6)
	v_cvt_f16_f32_e32 v13, v13
	v_mov_b32_e32 v18, 0
	s_mov_b32 s13, exec_lo
	v_cvt_f32_f16_e32 v15, v13
	v_cmp_class_f16_e64 vcc_lo, v13, 0x1f8
	s_delay_alu instid0(VALU_DEP_2) | instskip(NEXT) | instid1(VALU_DEP_1)
	v_cvt_i32_f32_e32 v15, v15
	v_ashrrev_i32_e32 v16, 31, v15
	s_delay_alu instid0(VALU_DEP_1) | instskip(NEXT) | instid1(VALU_DEP_1)
	v_dual_cndmask_b32 v15, -1, v15 :: v_dual_cndmask_b32 v16, -1, v16
	v_cmpx_lt_i64_e32 -1, v[15:16]
	s_cbranch_execz .LBB65_231
; %bb.220:
	v_mov_b32_e32 v18, 1.0
	s_mov_b32 s14, exec_lo
	v_cmpx_lt_i64_e32 0, v[15:16]
	s_cbranch_execz .LBB65_230
; %bb.221:
	v_cvt_f32_f16_e32 v13, v50
                                        ; implicit-def: $vgpr18
	s_mov_b32 s10, exec_lo
	v_cmpx_ne_u64_e32 1, v[15:16]
	s_xor_b32 s16, exec_lo, s10
	s_cbranch_execz .LBB65_227
; %bb.222:
	v_mov_b32_e32 v18, 0x7fc00000
	s_mov_b32 s17, exec_lo
	v_cmpx_gt_u64_e32 0x81, v[15:16]
	s_cbranch_execz .LBB65_226
; %bb.223:
	v_add_f32_e32 v13, v13, v13
	v_lshlrev_b64 v[15:16], 1, v[15:16]
	v_mov_b32_e32 v51, 1.0
	s_mov_b64 s[10:11], 2
	s_mov_b32 s18, 0
	v_mov_b32_e32 v18, v13
	.p2align	6
.LBB65_224:                             ; =>This Inner Loop Header: Depth=1
	s_clz_i32_u32 s19, s11
	s_delay_alu instid0(SALU_CYCLE_1) | instskip(NEXT) | instid1(SALU_CYCLE_1)
	s_min_u32 s19, s19, 32
	s_lshl_b64 s[20:21], s[10:11], s19
	s_sub_i32 s19, 32, s19
	s_min_u32 s20, s20, 1
	s_delay_alu instid0(SALU_CYCLE_1) | instskip(SKIP_3) | instid1(SALU_CYCLE_1)
	s_or_b32 s20, s21, s20
	s_add_u32 s10, s10, 2
	v_cvt_f32_u32_e32 v52, s20
	s_addc_u32 s11, s11, 0
	v_cmp_ge_u64_e32 vcc_lo, s[10:11], v[15:16]
	s_delay_alu instid0(VALU_DEP_2) | instskip(SKIP_1) | instid1(VALU_DEP_1)
	v_ldexp_f32 v52, v52, s19
	s_or_b32 s18, vcc_lo, s18
	v_dual_mul_f32 v52, v51, v52 :: v_dual_mov_b32 v51, v18
	s_delay_alu instid0(VALU_DEP_1)
	v_fma_f32 v18, v13, v18, -v52
	s_and_not1_b32 exec_lo, exec_lo, s18
	s_cbranch_execnz .LBB65_224
; %bb.225:
	s_or_b32 exec_lo, exec_lo, s18
.LBB65_226:
	s_delay_alu instid0(SALU_CYCLE_1)
	s_or_b32 exec_lo, exec_lo, s17
                                        ; implicit-def: $vgpr13
.LBB65_227:
	s_and_not1_saveexec_b32 s10, s16
; %bb.228:
	v_add_f32_e32 v18, v13, v13
; %bb.229:
	s_or_b32 exec_lo, exec_lo, s10
.LBB65_230:
	s_delay_alu instid0(SALU_CYCLE_1)
	s_or_b32 exec_lo, exec_lo, s14
.LBB65_231:
	s_delay_alu instid0(SALU_CYCLE_1) | instskip(SKIP_2) | instid1(VALU_DEP_1)
	s_or_b32 exec_lo, exec_lo, s13
	v_cvt_f16_f32_e32 v13, v14
	s_mov_b32 s13, exec_lo
	v_cvt_f32_f16_e32 v14, v13
	v_cmp_class_f16_e64 vcc_lo, v13, 0x1f8
	s_delay_alu instid0(VALU_DEP_2) | instskip(NEXT) | instid1(VALU_DEP_1)
	v_cvt_i32_f32_e32 v15, v14
	v_ashrrev_i32_e32 v14, 31, v15
	v_cndmask_b32_e32 v13, -1, v15, vcc_lo
	s_delay_alu instid0(VALU_DEP_2) | instskip(NEXT) | instid1(VALU_DEP_1)
	v_dual_mov_b32 v15, 0 :: v_dual_cndmask_b32 v14, -1, v14
	v_cmpx_lt_i64_e32 -1, v[13:14]
	s_cbranch_execz .LBB65_243
; %bb.232:
	v_mov_b32_e32 v15, 1.0
	s_mov_b32 s14, exec_lo
	v_cmpx_lt_i64_e32 0, v[13:14]
	s_cbranch_execz .LBB65_242
; %bb.233:
	v_lshrrev_b32_e32 v15, 16, v50
	s_mov_b32 s10, exec_lo
	s_delay_alu instid0(VALU_DEP_1)
	v_cvt_f32_f16_e32 v16, v15
                                        ; implicit-def: $vgpr15
	v_cmpx_ne_u64_e32 1, v[13:14]
	s_xor_b32 s16, exec_lo, s10
	s_cbranch_execz .LBB65_239
; %bb.234:
	v_mov_b32_e32 v15, 0x7fc00000
	s_mov_b32 s17, exec_lo
	v_cmpx_gt_u64_e32 0x81, v[13:14]
	s_cbranch_execz .LBB65_238
; %bb.235:
	v_add_f32_e32 v16, v16, v16
	v_lshlrev_b64 v[13:14], 1, v[13:14]
	v_mov_b32_e32 v50, 1.0
	s_mov_b64 s[10:11], 2
	s_mov_b32 s18, 0
	v_mov_b32_e32 v15, v16
	.p2align	6
.LBB65_236:                             ; =>This Inner Loop Header: Depth=1
	s_clz_i32_u32 s19, s11
	s_delay_alu instid0(SALU_CYCLE_1) | instskip(NEXT) | instid1(SALU_CYCLE_1)
	s_min_u32 s19, s19, 32
	s_lshl_b64 s[20:21], s[10:11], s19
	s_sub_i32 s19, 32, s19
	s_min_u32 s20, s20, 1
	s_delay_alu instid0(SALU_CYCLE_1) | instskip(SKIP_3) | instid1(SALU_CYCLE_1)
	s_or_b32 s20, s21, s20
	s_add_u32 s10, s10, 2
	v_cvt_f32_u32_e32 v51, s20
	s_addc_u32 s11, s11, 0
	v_cmp_ge_u64_e32 vcc_lo, s[10:11], v[13:14]
	s_delay_alu instid0(VALU_DEP_2) | instskip(SKIP_1) | instid1(VALU_DEP_1)
	v_ldexp_f32 v51, v51, s19
	s_or_b32 s18, vcc_lo, s18
	v_dual_mul_f32 v51, v50, v51 :: v_dual_mov_b32 v50, v15
	s_delay_alu instid0(VALU_DEP_1)
	v_fma_f32 v15, v16, v15, -v51
	s_and_not1_b32 exec_lo, exec_lo, s18
	s_cbranch_execnz .LBB65_236
; %bb.237:
	s_or_b32 exec_lo, exec_lo, s18
.LBB65_238:
	s_delay_alu instid0(SALU_CYCLE_1)
	s_or_b32 exec_lo, exec_lo, s17
                                        ; implicit-def: $vgpr16
.LBB65_239:
	s_and_not1_saveexec_b32 s10, s16
; %bb.240:
	v_add_f32_e32 v15, v16, v16
; %bb.241:
	s_or_b32 exec_lo, exec_lo, s10
.LBB65_242:
	s_delay_alu instid0(SALU_CYCLE_1)
	s_or_b32 exec_lo, exec_lo, s14
.LBB65_243:
	s_delay_alu instid0(SALU_CYCLE_1) | instskip(SKIP_4) | instid1(VALU_DEP_2)
	s_or_b32 exec_lo, exec_lo, s13
	s_waitcnt vmcnt(5)
	v_cvt_f16_f32_e32 v11, v11
	v_mov_b32_e32 v16, 0
	s_mov_b32 s13, exec_lo
	v_cvt_f32_f16_e32 v13, v11
	v_cmp_class_f16_e64 vcc_lo, v11, 0x1f8
	s_delay_alu instid0(VALU_DEP_2) | instskip(NEXT) | instid1(VALU_DEP_1)
	v_cvt_i32_f32_e32 v13, v13
	v_ashrrev_i32_e32 v14, 31, v13
	s_delay_alu instid0(VALU_DEP_1) | instskip(NEXT) | instid1(VALU_DEP_1)
	v_dual_cndmask_b32 v13, -1, v13 :: v_dual_cndmask_b32 v14, -1, v14
	v_cmpx_lt_i64_e32 -1, v[13:14]
	s_cbranch_execz .LBB65_255
; %bb.244:
	v_mov_b32_e32 v16, 1.0
	s_mov_b32 s14, exec_lo
	v_cmpx_lt_i64_e32 0, v[13:14]
	s_cbranch_execz .LBB65_254
; %bb.245:
	v_cvt_f32_f16_e32 v11, v49
                                        ; implicit-def: $vgpr16
	s_mov_b32 s10, exec_lo
	v_cmpx_ne_u64_e32 1, v[13:14]
	s_xor_b32 s16, exec_lo, s10
	s_cbranch_execz .LBB65_251
; %bb.246:
	v_mov_b32_e32 v16, 0x7fc00000
	s_mov_b32 s17, exec_lo
	v_cmpx_gt_u64_e32 0x81, v[13:14]
	s_cbranch_execz .LBB65_250
; %bb.247:
	v_dual_add_f32 v11, v11, v11 :: v_dual_mov_b32 v50, 1.0
	v_lshlrev_b64 v[13:14], 1, v[13:14]
	s_mov_b64 s[10:11], 2
	s_mov_b32 s18, 0
	s_delay_alu instid0(VALU_DEP_2)
	v_mov_b32_e32 v16, v11
	.p2align	6
.LBB65_248:                             ; =>This Inner Loop Header: Depth=1
	s_clz_i32_u32 s19, s11
	s_delay_alu instid0(SALU_CYCLE_1) | instskip(NEXT) | instid1(SALU_CYCLE_1)
	s_min_u32 s19, s19, 32
	s_lshl_b64 s[20:21], s[10:11], s19
	s_sub_i32 s19, 32, s19
	s_min_u32 s20, s20, 1
	s_delay_alu instid0(SALU_CYCLE_1) | instskip(SKIP_3) | instid1(SALU_CYCLE_1)
	s_or_b32 s20, s21, s20
	s_add_u32 s10, s10, 2
	v_cvt_f32_u32_e32 v51, s20
	s_addc_u32 s11, s11, 0
	v_cmp_ge_u64_e32 vcc_lo, s[10:11], v[13:14]
	s_delay_alu instid0(VALU_DEP_2) | instskip(SKIP_1) | instid1(VALU_DEP_1)
	v_ldexp_f32 v51, v51, s19
	s_or_b32 s18, vcc_lo, s18
	v_dual_mul_f32 v51, v50, v51 :: v_dual_mov_b32 v50, v16
	s_delay_alu instid0(VALU_DEP_1)
	v_fma_f32 v16, v11, v16, -v51
	s_and_not1_b32 exec_lo, exec_lo, s18
	s_cbranch_execnz .LBB65_248
; %bb.249:
	s_or_b32 exec_lo, exec_lo, s18
.LBB65_250:
	s_delay_alu instid0(SALU_CYCLE_1)
	s_or_b32 exec_lo, exec_lo, s17
                                        ; implicit-def: $vgpr11
.LBB65_251:
	s_and_not1_saveexec_b32 s10, s16
; %bb.252:
	v_add_f32_e32 v16, v11, v11
; %bb.253:
	s_or_b32 exec_lo, exec_lo, s10
.LBB65_254:
	s_delay_alu instid0(SALU_CYCLE_1)
	s_or_b32 exec_lo, exec_lo, s14
.LBB65_255:
	s_delay_alu instid0(SALU_CYCLE_1) | instskip(SKIP_2) | instid1(VALU_DEP_1)
	s_or_b32 exec_lo, exec_lo, s13
	v_cvt_f16_f32_e32 v11, v12
	s_mov_b32 s13, exec_lo
	v_cvt_f32_f16_e32 v12, v11
	v_cmp_class_f16_e64 vcc_lo, v11, 0x1f8
	s_delay_alu instid0(VALU_DEP_2) | instskip(NEXT) | instid1(VALU_DEP_1)
	v_cvt_i32_f32_e32 v13, v12
	v_ashrrev_i32_e32 v12, 31, v13
	v_cndmask_b32_e32 v11, -1, v13, vcc_lo
	s_delay_alu instid0(VALU_DEP_2) | instskip(NEXT) | instid1(VALU_DEP_1)
	v_dual_mov_b32 v13, 0 :: v_dual_cndmask_b32 v12, -1, v12
	v_cmpx_lt_i64_e32 -1, v[11:12]
	s_cbranch_execz .LBB65_267
; %bb.256:
	v_mov_b32_e32 v13, 1.0
	s_mov_b32 s14, exec_lo
	v_cmpx_lt_i64_e32 0, v[11:12]
	s_cbranch_execz .LBB65_266
; %bb.257:
	v_lshrrev_b32_e32 v13, 16, v49
	s_mov_b32 s10, exec_lo
	s_delay_alu instid0(VALU_DEP_1)
	v_cvt_f32_f16_e32 v14, v13
                                        ; implicit-def: $vgpr13
	v_cmpx_ne_u64_e32 1, v[11:12]
	s_xor_b32 s16, exec_lo, s10
	s_cbranch_execz .LBB65_263
; %bb.258:
	v_mov_b32_e32 v13, 0x7fc00000
	s_mov_b32 s17, exec_lo
	v_cmpx_gt_u64_e32 0x81, v[11:12]
	s_cbranch_execz .LBB65_262
; %bb.259:
	v_dual_add_f32 v14, v14, v14 :: v_dual_mov_b32 v49, 1.0
	v_lshlrev_b64 v[11:12], 1, v[11:12]
	s_mov_b64 s[10:11], 2
	s_mov_b32 s18, 0
	s_delay_alu instid0(VALU_DEP_2)
	v_mov_b32_e32 v13, v14
	.p2align	6
.LBB65_260:                             ; =>This Inner Loop Header: Depth=1
	s_clz_i32_u32 s19, s11
	s_delay_alu instid0(SALU_CYCLE_1) | instskip(NEXT) | instid1(SALU_CYCLE_1)
	s_min_u32 s19, s19, 32
	s_lshl_b64 s[20:21], s[10:11], s19
	s_sub_i32 s19, 32, s19
	s_min_u32 s20, s20, 1
	s_delay_alu instid0(SALU_CYCLE_1) | instskip(SKIP_3) | instid1(SALU_CYCLE_1)
	s_or_b32 s20, s21, s20
	s_add_u32 s10, s10, 2
	v_cvt_f32_u32_e32 v50, s20
	s_addc_u32 s11, s11, 0
	v_cmp_ge_u64_e32 vcc_lo, s[10:11], v[11:12]
	s_delay_alu instid0(VALU_DEP_2) | instskip(SKIP_1) | instid1(VALU_DEP_1)
	v_ldexp_f32 v50, v50, s19
	s_or_b32 s18, vcc_lo, s18
	v_mul_f32_e32 v50, v49, v50
	v_mov_b32_e32 v49, v13
	s_delay_alu instid0(VALU_DEP_2)
	v_fma_f32 v13, v14, v13, -v50
	s_and_not1_b32 exec_lo, exec_lo, s18
	s_cbranch_execnz .LBB65_260
; %bb.261:
	s_or_b32 exec_lo, exec_lo, s18
.LBB65_262:
	s_delay_alu instid0(SALU_CYCLE_1)
	s_or_b32 exec_lo, exec_lo, s17
                                        ; implicit-def: $vgpr14
.LBB65_263:
	s_and_not1_saveexec_b32 s10, s16
; %bb.264:
	v_add_f32_e32 v13, v14, v14
; %bb.265:
	s_or_b32 exec_lo, exec_lo, s10
.LBB65_266:
	s_delay_alu instid0(SALU_CYCLE_1)
	s_or_b32 exec_lo, exec_lo, s14
.LBB65_267:
	s_delay_alu instid0(SALU_CYCLE_1) | instskip(SKIP_4) | instid1(VALU_DEP_2)
	s_or_b32 exec_lo, exec_lo, s13
	s_waitcnt vmcnt(4)
	v_cvt_f16_f32_e32 v9, v9
	v_mov_b32_e32 v14, 0
	s_mov_b32 s13, exec_lo
	v_cvt_f32_f16_e32 v11, v9
	v_cmp_class_f16_e64 vcc_lo, v9, 0x1f8
	s_delay_alu instid0(VALU_DEP_2) | instskip(NEXT) | instid1(VALU_DEP_1)
	v_cvt_i32_f32_e32 v11, v11
	v_ashrrev_i32_e32 v12, 31, v11
	s_delay_alu instid0(VALU_DEP_1) | instskip(NEXT) | instid1(VALU_DEP_1)
	v_dual_cndmask_b32 v11, -1, v11 :: v_dual_cndmask_b32 v12, -1, v12
	v_cmpx_lt_i64_e32 -1, v[11:12]
	s_cbranch_execz .LBB65_279
; %bb.268:
	v_mov_b32_e32 v14, 1.0
	s_mov_b32 s14, exec_lo
	v_cmpx_lt_i64_e32 0, v[11:12]
	s_cbranch_execz .LBB65_278
; %bb.269:
	v_cvt_f32_f16_e32 v9, v48
                                        ; implicit-def: $vgpr14
	s_mov_b32 s10, exec_lo
	v_cmpx_ne_u64_e32 1, v[11:12]
	s_xor_b32 s16, exec_lo, s10
	s_cbranch_execz .LBB65_275
; %bb.270:
	v_mov_b32_e32 v14, 0x7fc00000
	s_mov_b32 s17, exec_lo
	v_cmpx_gt_u64_e32 0x81, v[11:12]
	s_cbranch_execz .LBB65_274
; %bb.271:
	v_add_f32_e32 v9, v9, v9
	v_lshlrev_b64 v[11:12], 1, v[11:12]
	v_mov_b32_e32 v49, 1.0
	s_mov_b64 s[10:11], 2
	s_mov_b32 s18, 0
	v_mov_b32_e32 v14, v9
	.p2align	6
.LBB65_272:                             ; =>This Inner Loop Header: Depth=1
	s_clz_i32_u32 s19, s11
	s_delay_alu instid0(SALU_CYCLE_1) | instskip(NEXT) | instid1(SALU_CYCLE_1)
	s_min_u32 s19, s19, 32
	s_lshl_b64 s[20:21], s[10:11], s19
	s_sub_i32 s19, 32, s19
	s_min_u32 s20, s20, 1
	s_delay_alu instid0(SALU_CYCLE_1) | instskip(SKIP_3) | instid1(SALU_CYCLE_1)
	s_or_b32 s20, s21, s20
	s_add_u32 s10, s10, 2
	v_cvt_f32_u32_e32 v50, s20
	s_addc_u32 s11, s11, 0
	v_cmp_ge_u64_e32 vcc_lo, s[10:11], v[11:12]
	s_delay_alu instid0(VALU_DEP_2) | instskip(SKIP_1) | instid1(VALU_DEP_1)
	v_ldexp_f32 v50, v50, s19
	s_or_b32 s18, vcc_lo, s18
	v_dual_mul_f32 v50, v49, v50 :: v_dual_mov_b32 v49, v14
	s_delay_alu instid0(VALU_DEP_1)
	v_fma_f32 v14, v9, v14, -v50
	s_and_not1_b32 exec_lo, exec_lo, s18
	s_cbranch_execnz .LBB65_272
; %bb.273:
	s_or_b32 exec_lo, exec_lo, s18
.LBB65_274:
	s_delay_alu instid0(SALU_CYCLE_1)
	s_or_b32 exec_lo, exec_lo, s17
                                        ; implicit-def: $vgpr9
.LBB65_275:
	s_and_not1_saveexec_b32 s10, s16
; %bb.276:
	v_add_f32_e32 v14, v9, v9
; %bb.277:
	s_or_b32 exec_lo, exec_lo, s10
.LBB65_278:
	s_delay_alu instid0(SALU_CYCLE_1)
	s_or_b32 exec_lo, exec_lo, s14
.LBB65_279:
	s_delay_alu instid0(SALU_CYCLE_1) | instskip(SKIP_2) | instid1(VALU_DEP_1)
	s_or_b32 exec_lo, exec_lo, s13
	v_cvt_f16_f32_e32 v9, v10
	s_mov_b32 s13, exec_lo
	v_cvt_f32_f16_e32 v10, v9
	v_cmp_class_f16_e64 vcc_lo, v9, 0x1f8
	s_delay_alu instid0(VALU_DEP_2) | instskip(NEXT) | instid1(VALU_DEP_1)
	v_cvt_i32_f32_e32 v11, v10
	v_ashrrev_i32_e32 v10, 31, v11
	v_cndmask_b32_e32 v9, -1, v11, vcc_lo
	s_delay_alu instid0(VALU_DEP_2) | instskip(NEXT) | instid1(VALU_DEP_1)
	v_dual_mov_b32 v11, 0 :: v_dual_cndmask_b32 v10, -1, v10
	v_cmpx_lt_i64_e32 -1, v[9:10]
	s_cbranch_execz .LBB65_291
; %bb.280:
	v_mov_b32_e32 v11, 1.0
	s_mov_b32 s14, exec_lo
	v_cmpx_lt_i64_e32 0, v[9:10]
	s_cbranch_execz .LBB65_290
; %bb.281:
	v_lshrrev_b32_e32 v11, 16, v48
	s_mov_b32 s10, exec_lo
	s_delay_alu instid0(VALU_DEP_1)
	v_cvt_f32_f16_e32 v12, v11
                                        ; implicit-def: $vgpr11
	v_cmpx_ne_u64_e32 1, v[9:10]
	s_xor_b32 s16, exec_lo, s10
	s_cbranch_execz .LBB65_287
; %bb.282:
	v_mov_b32_e32 v11, 0x7fc00000
	s_mov_b32 s17, exec_lo
	v_cmpx_gt_u64_e32 0x81, v[9:10]
	s_cbranch_execz .LBB65_286
; %bb.283:
	v_add_f32_e32 v12, v12, v12
	v_lshlrev_b64 v[9:10], 1, v[9:10]
	v_mov_b32_e32 v48, 1.0
	s_mov_b64 s[10:11], 2
	s_mov_b32 s18, 0
	v_mov_b32_e32 v11, v12
	.p2align	6
.LBB65_284:                             ; =>This Inner Loop Header: Depth=1
	s_clz_i32_u32 s19, s11
	s_delay_alu instid0(SALU_CYCLE_1) | instskip(NEXT) | instid1(SALU_CYCLE_1)
	s_min_u32 s19, s19, 32
	s_lshl_b64 s[20:21], s[10:11], s19
	s_sub_i32 s19, 32, s19
	s_min_u32 s20, s20, 1
	s_delay_alu instid0(SALU_CYCLE_1) | instskip(SKIP_3) | instid1(SALU_CYCLE_1)
	s_or_b32 s20, s21, s20
	s_add_u32 s10, s10, 2
	v_cvt_f32_u32_e32 v49, s20
	s_addc_u32 s11, s11, 0
	v_cmp_ge_u64_e32 vcc_lo, s[10:11], v[9:10]
	s_delay_alu instid0(VALU_DEP_2) | instskip(SKIP_1) | instid1(VALU_DEP_1)
	v_ldexp_f32 v49, v49, s19
	s_or_b32 s18, vcc_lo, s18
	v_dual_mul_f32 v49, v48, v49 :: v_dual_mov_b32 v48, v11
	s_delay_alu instid0(VALU_DEP_1)
	v_fma_f32 v11, v12, v11, -v49
	s_and_not1_b32 exec_lo, exec_lo, s18
	s_cbranch_execnz .LBB65_284
; %bb.285:
	s_or_b32 exec_lo, exec_lo, s18
.LBB65_286:
	s_delay_alu instid0(SALU_CYCLE_1)
	s_or_b32 exec_lo, exec_lo, s17
                                        ; implicit-def: $vgpr12
.LBB65_287:
	s_and_not1_saveexec_b32 s10, s16
; %bb.288:
	v_add_f32_e32 v11, v12, v12
; %bb.289:
	s_or_b32 exec_lo, exec_lo, s10
.LBB65_290:
	s_delay_alu instid0(SALU_CYCLE_1)
	s_or_b32 exec_lo, exec_lo, s14
.LBB65_291:
	s_delay_alu instid0(SALU_CYCLE_1) | instskip(SKIP_4) | instid1(VALU_DEP_2)
	s_or_b32 exec_lo, exec_lo, s13
	s_waitcnt vmcnt(3)
	v_cvt_f16_f32_e32 v7, v7
	v_mov_b32_e32 v12, 0
	s_mov_b32 s13, exec_lo
	v_cvt_f32_f16_e32 v9, v7
	v_cmp_class_f16_e64 vcc_lo, v7, 0x1f8
	s_delay_alu instid0(VALU_DEP_2) | instskip(NEXT) | instid1(VALU_DEP_1)
	v_cvt_i32_f32_e32 v9, v9
	v_ashrrev_i32_e32 v10, 31, v9
	s_delay_alu instid0(VALU_DEP_1) | instskip(NEXT) | instid1(VALU_DEP_1)
	v_dual_cndmask_b32 v9, -1, v9 :: v_dual_cndmask_b32 v10, -1, v10
	v_cmpx_lt_i64_e32 -1, v[9:10]
	s_cbranch_execz .LBB65_303
; %bb.292:
	v_mov_b32_e32 v12, 1.0
	s_mov_b32 s14, exec_lo
	v_cmpx_lt_i64_e32 0, v[9:10]
	s_cbranch_execz .LBB65_302
; %bb.293:
	v_cvt_f32_f16_e32 v7, v47
                                        ; implicit-def: $vgpr12
	s_mov_b32 s10, exec_lo
	v_cmpx_ne_u64_e32 1, v[9:10]
	s_xor_b32 s16, exec_lo, s10
	s_cbranch_execz .LBB65_299
; %bb.294:
	v_mov_b32_e32 v12, 0x7fc00000
	s_mov_b32 s17, exec_lo
	v_cmpx_gt_u64_e32 0x81, v[9:10]
	s_cbranch_execz .LBB65_298
; %bb.295:
	v_dual_add_f32 v7, v7, v7 :: v_dual_mov_b32 v48, 1.0
	v_lshlrev_b64 v[9:10], 1, v[9:10]
	s_mov_b64 s[10:11], 2
	s_mov_b32 s18, 0
	s_delay_alu instid0(VALU_DEP_2)
	v_mov_b32_e32 v12, v7
	.p2align	6
.LBB65_296:                             ; =>This Inner Loop Header: Depth=1
	s_clz_i32_u32 s19, s11
	s_delay_alu instid0(SALU_CYCLE_1) | instskip(NEXT) | instid1(SALU_CYCLE_1)
	s_min_u32 s19, s19, 32
	s_lshl_b64 s[20:21], s[10:11], s19
	s_sub_i32 s19, 32, s19
	s_min_u32 s20, s20, 1
	s_delay_alu instid0(SALU_CYCLE_1) | instskip(SKIP_3) | instid1(SALU_CYCLE_1)
	s_or_b32 s20, s21, s20
	s_add_u32 s10, s10, 2
	v_cvt_f32_u32_e32 v49, s20
	s_addc_u32 s11, s11, 0
	v_cmp_ge_u64_e32 vcc_lo, s[10:11], v[9:10]
	s_delay_alu instid0(VALU_DEP_2) | instskip(SKIP_1) | instid1(VALU_DEP_1)
	v_ldexp_f32 v49, v49, s19
	s_or_b32 s18, vcc_lo, s18
	v_mul_f32_e32 v49, v48, v49
	v_mov_b32_e32 v48, v12
	s_delay_alu instid0(VALU_DEP_2)
	v_fma_f32 v12, v7, v12, -v49
	s_and_not1_b32 exec_lo, exec_lo, s18
	s_cbranch_execnz .LBB65_296
; %bb.297:
	s_or_b32 exec_lo, exec_lo, s18
.LBB65_298:
	s_delay_alu instid0(SALU_CYCLE_1)
	s_or_b32 exec_lo, exec_lo, s17
                                        ; implicit-def: $vgpr7
.LBB65_299:
	s_and_not1_saveexec_b32 s10, s16
; %bb.300:
	v_add_f32_e32 v12, v7, v7
; %bb.301:
	s_or_b32 exec_lo, exec_lo, s10
.LBB65_302:
	s_delay_alu instid0(SALU_CYCLE_1)
	s_or_b32 exec_lo, exec_lo, s14
.LBB65_303:
	s_delay_alu instid0(SALU_CYCLE_1) | instskip(SKIP_2) | instid1(VALU_DEP_1)
	s_or_b32 exec_lo, exec_lo, s13
	v_cvt_f16_f32_e32 v7, v8
	s_mov_b32 s13, exec_lo
	v_cvt_f32_f16_e32 v8, v7
	v_cmp_class_f16_e64 vcc_lo, v7, 0x1f8
	s_delay_alu instid0(VALU_DEP_2) | instskip(NEXT) | instid1(VALU_DEP_1)
	v_cvt_i32_f32_e32 v9, v8
	v_ashrrev_i32_e32 v8, 31, v9
	v_cndmask_b32_e32 v7, -1, v9, vcc_lo
	s_delay_alu instid0(VALU_DEP_2) | instskip(NEXT) | instid1(VALU_DEP_1)
	v_dual_mov_b32 v9, 0 :: v_dual_cndmask_b32 v8, -1, v8
	v_cmpx_lt_i64_e32 -1, v[7:8]
	s_cbranch_execz .LBB65_315
; %bb.304:
	v_mov_b32_e32 v9, 1.0
	s_mov_b32 s14, exec_lo
	v_cmpx_lt_i64_e32 0, v[7:8]
	s_cbranch_execz .LBB65_314
; %bb.305:
	v_lshrrev_b32_e32 v9, 16, v47
	s_mov_b32 s10, exec_lo
	s_delay_alu instid0(VALU_DEP_1)
	v_cvt_f32_f16_e32 v10, v9
                                        ; implicit-def: $vgpr9
	v_cmpx_ne_u64_e32 1, v[7:8]
	s_xor_b32 s16, exec_lo, s10
	s_cbranch_execz .LBB65_311
; %bb.306:
	v_mov_b32_e32 v9, 0x7fc00000
	s_mov_b32 s17, exec_lo
	v_cmpx_gt_u64_e32 0x81, v[7:8]
	s_cbranch_execz .LBB65_310
; %bb.307:
	v_dual_add_f32 v10, v10, v10 :: v_dual_mov_b32 v47, 1.0
	v_lshlrev_b64 v[7:8], 1, v[7:8]
	s_mov_b64 s[10:11], 2
	s_mov_b32 s18, 0
	s_delay_alu instid0(VALU_DEP_2)
	v_mov_b32_e32 v9, v10
	.p2align	6
.LBB65_308:                             ; =>This Inner Loop Header: Depth=1
	s_clz_i32_u32 s19, s11
	s_delay_alu instid0(SALU_CYCLE_1) | instskip(NEXT) | instid1(SALU_CYCLE_1)
	s_min_u32 s19, s19, 32
	s_lshl_b64 s[20:21], s[10:11], s19
	s_sub_i32 s19, 32, s19
	s_min_u32 s20, s20, 1
	s_delay_alu instid0(SALU_CYCLE_1) | instskip(SKIP_3) | instid1(SALU_CYCLE_1)
	s_or_b32 s20, s21, s20
	s_add_u32 s10, s10, 2
	v_cvt_f32_u32_e32 v48, s20
	s_addc_u32 s11, s11, 0
	v_cmp_ge_u64_e32 vcc_lo, s[10:11], v[7:8]
	s_delay_alu instid0(VALU_DEP_2) | instskip(SKIP_1) | instid1(VALU_DEP_1)
	v_ldexp_f32 v48, v48, s19
	s_or_b32 s18, vcc_lo, s18
	v_dual_mul_f32 v48, v47, v48 :: v_dual_mov_b32 v47, v9
	s_delay_alu instid0(VALU_DEP_1)
	v_fma_f32 v9, v10, v9, -v48
	s_and_not1_b32 exec_lo, exec_lo, s18
	s_cbranch_execnz .LBB65_308
; %bb.309:
	s_or_b32 exec_lo, exec_lo, s18
.LBB65_310:
	s_delay_alu instid0(SALU_CYCLE_1)
	s_or_b32 exec_lo, exec_lo, s17
                                        ; implicit-def: $vgpr10
.LBB65_311:
	s_and_not1_saveexec_b32 s10, s16
; %bb.312:
	v_add_f32_e32 v9, v10, v10
; %bb.313:
	s_or_b32 exec_lo, exec_lo, s10
.LBB65_314:
	s_delay_alu instid0(SALU_CYCLE_1)
	s_or_b32 exec_lo, exec_lo, s14
.LBB65_315:
	s_delay_alu instid0(SALU_CYCLE_1) | instskip(SKIP_4) | instid1(VALU_DEP_2)
	s_or_b32 exec_lo, exec_lo, s13
	s_waitcnt vmcnt(2)
	v_cvt_f16_f32_e32 v5, v5
	v_mov_b32_e32 v10, 0
	s_mov_b32 s13, exec_lo
	v_cvt_f32_f16_e32 v7, v5
	v_cmp_class_f16_e64 vcc_lo, v5, 0x1f8
	s_delay_alu instid0(VALU_DEP_2) | instskip(NEXT) | instid1(VALU_DEP_1)
	v_cvt_i32_f32_e32 v7, v7
	v_ashrrev_i32_e32 v8, 31, v7
	s_delay_alu instid0(VALU_DEP_1) | instskip(NEXT) | instid1(VALU_DEP_1)
	v_dual_cndmask_b32 v7, -1, v7 :: v_dual_cndmask_b32 v8, -1, v8
	v_cmpx_lt_i64_e32 -1, v[7:8]
	s_cbranch_execz .LBB65_327
; %bb.316:
	v_mov_b32_e32 v10, 1.0
	s_mov_b32 s14, exec_lo
	v_cmpx_lt_i64_e32 0, v[7:8]
	s_cbranch_execz .LBB65_326
; %bb.317:
	v_cvt_f32_f16_e32 v5, v46
                                        ; implicit-def: $vgpr10
	s_mov_b32 s10, exec_lo
	v_cmpx_ne_u64_e32 1, v[7:8]
	s_xor_b32 s16, exec_lo, s10
	s_cbranch_execz .LBB65_323
; %bb.318:
	v_mov_b32_e32 v10, 0x7fc00000
	s_mov_b32 s17, exec_lo
	v_cmpx_gt_u64_e32 0x81, v[7:8]
	s_cbranch_execz .LBB65_322
; %bb.319:
	v_add_f32_e32 v5, v5, v5
	v_lshlrev_b64 v[7:8], 1, v[7:8]
	v_mov_b32_e32 v47, 1.0
	s_mov_b64 s[10:11], 2
	s_mov_b32 s18, 0
	v_mov_b32_e32 v10, v5
	.p2align	6
.LBB65_320:                             ; =>This Inner Loop Header: Depth=1
	s_clz_i32_u32 s19, s11
	s_delay_alu instid0(SALU_CYCLE_1) | instskip(NEXT) | instid1(SALU_CYCLE_1)
	s_min_u32 s19, s19, 32
	s_lshl_b64 s[20:21], s[10:11], s19
	s_sub_i32 s19, 32, s19
	s_min_u32 s20, s20, 1
	s_delay_alu instid0(SALU_CYCLE_1) | instskip(SKIP_3) | instid1(SALU_CYCLE_1)
	s_or_b32 s20, s21, s20
	s_add_u32 s10, s10, 2
	v_cvt_f32_u32_e32 v48, s20
	s_addc_u32 s11, s11, 0
	v_cmp_ge_u64_e32 vcc_lo, s[10:11], v[7:8]
	s_delay_alu instid0(VALU_DEP_2) | instskip(SKIP_1) | instid1(VALU_DEP_1)
	v_ldexp_f32 v48, v48, s19
	s_or_b32 s18, vcc_lo, s18
	v_dual_mul_f32 v48, v47, v48 :: v_dual_mov_b32 v47, v10
	s_delay_alu instid0(VALU_DEP_1)
	v_fma_f32 v10, v5, v10, -v48
	s_and_not1_b32 exec_lo, exec_lo, s18
	s_cbranch_execnz .LBB65_320
; %bb.321:
	s_or_b32 exec_lo, exec_lo, s18
.LBB65_322:
	s_delay_alu instid0(SALU_CYCLE_1)
	s_or_b32 exec_lo, exec_lo, s17
                                        ; implicit-def: $vgpr5
.LBB65_323:
	s_and_not1_saveexec_b32 s10, s16
; %bb.324:
	v_add_f32_e32 v10, v5, v5
; %bb.325:
	s_or_b32 exec_lo, exec_lo, s10
.LBB65_326:
	s_delay_alu instid0(SALU_CYCLE_1)
	s_or_b32 exec_lo, exec_lo, s14
.LBB65_327:
	s_delay_alu instid0(SALU_CYCLE_1) | instskip(SKIP_2) | instid1(VALU_DEP_1)
	s_or_b32 exec_lo, exec_lo, s13
	v_cvt_f16_f32_e32 v5, v6
	s_mov_b32 s13, exec_lo
	v_cvt_f32_f16_e32 v6, v5
	v_cmp_class_f16_e64 vcc_lo, v5, 0x1f8
	s_delay_alu instid0(VALU_DEP_2) | instskip(NEXT) | instid1(VALU_DEP_1)
	v_cvt_i32_f32_e32 v7, v6
	v_ashrrev_i32_e32 v6, 31, v7
	v_cndmask_b32_e32 v5, -1, v7, vcc_lo
	s_delay_alu instid0(VALU_DEP_2) | instskip(NEXT) | instid1(VALU_DEP_1)
	v_dual_mov_b32 v7, 0 :: v_dual_cndmask_b32 v6, -1, v6
	v_cmpx_lt_i64_e32 -1, v[5:6]
	s_cbranch_execz .LBB65_339
; %bb.328:
	v_mov_b32_e32 v7, 1.0
	s_mov_b32 s14, exec_lo
	v_cmpx_lt_i64_e32 0, v[5:6]
	s_cbranch_execz .LBB65_338
; %bb.329:
	v_lshrrev_b32_e32 v7, 16, v46
	s_mov_b32 s10, exec_lo
	s_delay_alu instid0(VALU_DEP_1)
	v_cvt_f32_f16_e32 v8, v7
                                        ; implicit-def: $vgpr7
	v_cmpx_ne_u64_e32 1, v[5:6]
	s_xor_b32 s16, exec_lo, s10
	s_cbranch_execz .LBB65_335
; %bb.330:
	v_mov_b32_e32 v7, 0x7fc00000
	s_mov_b32 s17, exec_lo
	v_cmpx_gt_u64_e32 0x81, v[5:6]
	s_cbranch_execz .LBB65_334
; %bb.331:
	v_add_f32_e32 v8, v8, v8
	v_lshlrev_b64 v[5:6], 1, v[5:6]
	v_mov_b32_e32 v46, 1.0
	s_mov_b64 s[10:11], 2
	s_mov_b32 s18, 0
	v_mov_b32_e32 v7, v8
	.p2align	6
.LBB65_332:                             ; =>This Inner Loop Header: Depth=1
	s_clz_i32_u32 s19, s11
	s_delay_alu instid0(SALU_CYCLE_1) | instskip(NEXT) | instid1(SALU_CYCLE_1)
	s_min_u32 s19, s19, 32
	s_lshl_b64 s[20:21], s[10:11], s19
	s_sub_i32 s19, 32, s19
	s_min_u32 s20, s20, 1
	s_delay_alu instid0(SALU_CYCLE_1) | instskip(SKIP_3) | instid1(SALU_CYCLE_1)
	s_or_b32 s20, s21, s20
	s_add_u32 s10, s10, 2
	v_cvt_f32_u32_e32 v47, s20
	s_addc_u32 s11, s11, 0
	v_cmp_ge_u64_e32 vcc_lo, s[10:11], v[5:6]
	s_delay_alu instid0(VALU_DEP_2) | instskip(SKIP_1) | instid1(VALU_DEP_1)
	v_ldexp_f32 v47, v47, s19
	s_or_b32 s18, vcc_lo, s18
	v_dual_mul_f32 v47, v46, v47 :: v_dual_mov_b32 v46, v7
	s_delay_alu instid0(VALU_DEP_1)
	v_fma_f32 v7, v8, v7, -v47
	s_and_not1_b32 exec_lo, exec_lo, s18
	s_cbranch_execnz .LBB65_332
; %bb.333:
	s_or_b32 exec_lo, exec_lo, s18
.LBB65_334:
	s_delay_alu instid0(SALU_CYCLE_1)
	s_or_b32 exec_lo, exec_lo, s17
                                        ; implicit-def: $vgpr8
.LBB65_335:
	s_and_not1_saveexec_b32 s10, s16
; %bb.336:
	v_add_f32_e32 v7, v8, v8
; %bb.337:
	s_or_b32 exec_lo, exec_lo, s10
.LBB65_338:
	s_delay_alu instid0(SALU_CYCLE_1)
	s_or_b32 exec_lo, exec_lo, s14
.LBB65_339:
	s_delay_alu instid0(SALU_CYCLE_1) | instskip(SKIP_4) | instid1(VALU_DEP_2)
	s_or_b32 exec_lo, exec_lo, s13
	s_waitcnt vmcnt(1)
	v_cvt_f16_f32_e32 v3, v3
	v_mov_b32_e32 v8, 0
	s_mov_b32 s13, exec_lo
	v_cvt_f32_f16_e32 v5, v3
	v_cmp_class_f16_e64 vcc_lo, v3, 0x1f8
	s_delay_alu instid0(VALU_DEP_2) | instskip(NEXT) | instid1(VALU_DEP_1)
	v_cvt_i32_f32_e32 v5, v5
	v_ashrrev_i32_e32 v6, 31, v5
	s_delay_alu instid0(VALU_DEP_1) | instskip(NEXT) | instid1(VALU_DEP_1)
	v_dual_cndmask_b32 v5, -1, v5 :: v_dual_cndmask_b32 v6, -1, v6
	v_cmpx_lt_i64_e32 -1, v[5:6]
	s_cbranch_execz .LBB65_351
; %bb.340:
	v_mov_b32_e32 v8, 1.0
	s_mov_b32 s14, exec_lo
	v_cmpx_lt_i64_e32 0, v[5:6]
	s_cbranch_execz .LBB65_350
; %bb.341:
	v_cvt_f32_f16_e32 v3, v45
                                        ; implicit-def: $vgpr8
	s_mov_b32 s10, exec_lo
	v_cmpx_ne_u64_e32 1, v[5:6]
	s_xor_b32 s16, exec_lo, s10
	s_cbranch_execz .LBB65_347
; %bb.342:
	v_mov_b32_e32 v8, 0x7fc00000
	s_mov_b32 s17, exec_lo
	v_cmpx_gt_u64_e32 0x81, v[5:6]
	s_cbranch_execz .LBB65_346
; %bb.343:
	v_dual_add_f32 v3, v3, v3 :: v_dual_mov_b32 v46, 1.0
	v_lshlrev_b64 v[5:6], 1, v[5:6]
	s_mov_b64 s[10:11], 2
	s_mov_b32 s18, 0
	s_delay_alu instid0(VALU_DEP_2)
	v_mov_b32_e32 v8, v3
	.p2align	6
.LBB65_344:                             ; =>This Inner Loop Header: Depth=1
	s_clz_i32_u32 s19, s11
	s_delay_alu instid0(SALU_CYCLE_1) | instskip(NEXT) | instid1(SALU_CYCLE_1)
	s_min_u32 s19, s19, 32
	s_lshl_b64 s[20:21], s[10:11], s19
	s_sub_i32 s19, 32, s19
	s_min_u32 s20, s20, 1
	s_delay_alu instid0(SALU_CYCLE_1) | instskip(SKIP_3) | instid1(SALU_CYCLE_1)
	s_or_b32 s20, s21, s20
	s_add_u32 s10, s10, 2
	v_cvt_f32_u32_e32 v47, s20
	s_addc_u32 s11, s11, 0
	v_cmp_ge_u64_e32 vcc_lo, s[10:11], v[5:6]
	s_delay_alu instid0(VALU_DEP_2) | instskip(SKIP_1) | instid1(VALU_DEP_1)
	v_ldexp_f32 v47, v47, s19
	s_or_b32 s18, vcc_lo, s18
	v_dual_mul_f32 v47, v46, v47 :: v_dual_mov_b32 v46, v8
	s_delay_alu instid0(VALU_DEP_1)
	v_fma_f32 v8, v3, v8, -v47
	s_and_not1_b32 exec_lo, exec_lo, s18
	s_cbranch_execnz .LBB65_344
; %bb.345:
	s_or_b32 exec_lo, exec_lo, s18
.LBB65_346:
	s_delay_alu instid0(SALU_CYCLE_1)
	s_or_b32 exec_lo, exec_lo, s17
                                        ; implicit-def: $vgpr3
.LBB65_347:
	s_and_not1_saveexec_b32 s10, s16
; %bb.348:
	v_add_f32_e32 v8, v3, v3
; %bb.349:
	s_or_b32 exec_lo, exec_lo, s10
.LBB65_350:
	s_delay_alu instid0(SALU_CYCLE_1)
	s_or_b32 exec_lo, exec_lo, s14
.LBB65_351:
	s_delay_alu instid0(SALU_CYCLE_1) | instskip(SKIP_2) | instid1(VALU_DEP_1)
	s_or_b32 exec_lo, exec_lo, s13
	v_cvt_f16_f32_e32 v3, v4
	s_mov_b32 s13, exec_lo
	v_cvt_f32_f16_e32 v4, v3
	v_cmp_class_f16_e64 vcc_lo, v3, 0x1f8
	s_delay_alu instid0(VALU_DEP_2) | instskip(NEXT) | instid1(VALU_DEP_1)
	v_cvt_i32_f32_e32 v5, v4
	v_ashrrev_i32_e32 v4, 31, v5
	v_cndmask_b32_e32 v3, -1, v5, vcc_lo
	s_delay_alu instid0(VALU_DEP_2) | instskip(NEXT) | instid1(VALU_DEP_1)
	v_dual_mov_b32 v5, 0 :: v_dual_cndmask_b32 v4, -1, v4
	v_cmpx_lt_i64_e32 -1, v[3:4]
	s_cbranch_execz .LBB65_363
; %bb.352:
	v_mov_b32_e32 v5, 1.0
	s_mov_b32 s14, exec_lo
	v_cmpx_lt_i64_e32 0, v[3:4]
	s_cbranch_execz .LBB65_362
; %bb.353:
	v_lshrrev_b32_e32 v5, 16, v45
	s_mov_b32 s10, exec_lo
	s_delay_alu instid0(VALU_DEP_1)
	v_cvt_f32_f16_e32 v6, v5
                                        ; implicit-def: $vgpr5
	v_cmpx_ne_u64_e32 1, v[3:4]
	s_xor_b32 s16, exec_lo, s10
	s_cbranch_execz .LBB65_359
; %bb.354:
	v_mov_b32_e32 v5, 0x7fc00000
	s_mov_b32 s17, exec_lo
	v_cmpx_gt_u64_e32 0x81, v[3:4]
	s_cbranch_execz .LBB65_358
; %bb.355:
	v_dual_add_f32 v6, v6, v6 :: v_dual_mov_b32 v45, 1.0
	v_lshlrev_b64 v[3:4], 1, v[3:4]
	s_mov_b64 s[10:11], 2
	s_mov_b32 s18, 0
	s_delay_alu instid0(VALU_DEP_2)
	v_mov_b32_e32 v5, v6
	.p2align	6
.LBB65_356:                             ; =>This Inner Loop Header: Depth=1
	s_clz_i32_u32 s19, s11
	s_delay_alu instid0(SALU_CYCLE_1) | instskip(NEXT) | instid1(SALU_CYCLE_1)
	s_min_u32 s19, s19, 32
	s_lshl_b64 s[20:21], s[10:11], s19
	s_sub_i32 s19, 32, s19
	s_min_u32 s20, s20, 1
	s_delay_alu instid0(SALU_CYCLE_1) | instskip(SKIP_3) | instid1(SALU_CYCLE_1)
	s_or_b32 s20, s21, s20
	s_add_u32 s10, s10, 2
	v_cvt_f32_u32_e32 v46, s20
	s_addc_u32 s11, s11, 0
	v_cmp_ge_u64_e32 vcc_lo, s[10:11], v[3:4]
	s_delay_alu instid0(VALU_DEP_2) | instskip(SKIP_1) | instid1(VALU_DEP_1)
	v_ldexp_f32 v46, v46, s19
	s_or_b32 s18, vcc_lo, s18
	v_mul_f32_e32 v46, v45, v46
	v_mov_b32_e32 v45, v5
	s_delay_alu instid0(VALU_DEP_2)
	v_fma_f32 v5, v6, v5, -v46
	s_and_not1_b32 exec_lo, exec_lo, s18
	s_cbranch_execnz .LBB65_356
; %bb.357:
	s_or_b32 exec_lo, exec_lo, s18
.LBB65_358:
	s_delay_alu instid0(SALU_CYCLE_1)
	s_or_b32 exec_lo, exec_lo, s17
                                        ; implicit-def: $vgpr6
.LBB65_359:
	s_and_not1_saveexec_b32 s10, s16
; %bb.360:
	v_add_f32_e32 v5, v6, v6
; %bb.361:
	s_or_b32 exec_lo, exec_lo, s10
.LBB65_362:
	s_delay_alu instid0(SALU_CYCLE_1)
	s_or_b32 exec_lo, exec_lo, s14
.LBB65_363:
	s_delay_alu instid0(SALU_CYCLE_1) | instskip(SKIP_4) | instid1(VALU_DEP_2)
	s_or_b32 exec_lo, exec_lo, s13
	s_waitcnt vmcnt(0)
	v_cvt_f16_f32_e32 v1, v1
	v_mov_b32_e32 v6, 0
	s_mov_b32 s13, exec_lo
	v_cvt_f32_f16_e32 v3, v1
	v_cmp_class_f16_e64 vcc_lo, v1, 0x1f8
	s_delay_alu instid0(VALU_DEP_2) | instskip(NEXT) | instid1(VALU_DEP_1)
	v_cvt_i32_f32_e32 v3, v3
	v_ashrrev_i32_e32 v4, 31, v3
	s_delay_alu instid0(VALU_DEP_1) | instskip(NEXT) | instid1(VALU_DEP_1)
	v_dual_cndmask_b32 v3, -1, v3 :: v_dual_cndmask_b32 v4, -1, v4
	v_cmpx_lt_i64_e32 -1, v[3:4]
	s_cbranch_execz .LBB65_375
; %bb.364:
	v_mov_b32_e32 v6, 1.0
	s_mov_b32 s14, exec_lo
	v_cmpx_lt_i64_e32 0, v[3:4]
	s_cbranch_execz .LBB65_374
; %bb.365:
	v_cvt_f32_f16_e32 v1, v43
                                        ; implicit-def: $vgpr6
	s_mov_b32 s10, exec_lo
	v_cmpx_ne_u64_e32 1, v[3:4]
	s_xor_b32 s16, exec_lo, s10
	s_cbranch_execz .LBB65_371
; %bb.366:
	v_mov_b32_e32 v6, 0x7fc00000
	s_mov_b32 s17, exec_lo
	v_cmpx_gt_u64_e32 0x81, v[3:4]
	s_cbranch_execz .LBB65_370
; %bb.367:
	v_add_f32_e32 v1, v1, v1
	v_lshlrev_b64 v[3:4], 1, v[3:4]
	v_mov_b32_e32 v45, 1.0
	s_mov_b64 s[10:11], 2
	s_mov_b32 s18, 0
	v_mov_b32_e32 v6, v1
	.p2align	6
.LBB65_368:                             ; =>This Inner Loop Header: Depth=1
	s_clz_i32_u32 s19, s11
	s_delay_alu instid0(SALU_CYCLE_1) | instskip(NEXT) | instid1(SALU_CYCLE_1)
	s_min_u32 s19, s19, 32
	s_lshl_b64 s[20:21], s[10:11], s19
	s_sub_i32 s19, 32, s19
	s_min_u32 s20, s20, 1
	s_delay_alu instid0(SALU_CYCLE_1) | instskip(SKIP_3) | instid1(SALU_CYCLE_1)
	s_or_b32 s20, s21, s20
	s_add_u32 s10, s10, 2
	v_cvt_f32_u32_e32 v46, s20
	s_addc_u32 s11, s11, 0
	v_cmp_ge_u64_e32 vcc_lo, s[10:11], v[3:4]
	s_delay_alu instid0(VALU_DEP_2) | instskip(SKIP_1) | instid1(VALU_DEP_1)
	v_ldexp_f32 v46, v46, s19
	s_or_b32 s18, vcc_lo, s18
	v_dual_mul_f32 v46, v45, v46 :: v_dual_mov_b32 v45, v6
	s_delay_alu instid0(VALU_DEP_1)
	v_fma_f32 v6, v1, v6, -v46
	s_and_not1_b32 exec_lo, exec_lo, s18
	s_cbranch_execnz .LBB65_368
; %bb.369:
	s_or_b32 exec_lo, exec_lo, s18
.LBB65_370:
	s_delay_alu instid0(SALU_CYCLE_1)
	s_or_b32 exec_lo, exec_lo, s17
                                        ; implicit-def: $vgpr1
.LBB65_371:
	s_and_not1_saveexec_b32 s10, s16
; %bb.372:
	v_add_f32_e32 v6, v1, v1
; %bb.373:
	s_or_b32 exec_lo, exec_lo, s10
.LBB65_374:
	s_delay_alu instid0(SALU_CYCLE_1)
	s_or_b32 exec_lo, exec_lo, s14
.LBB65_375:
	s_delay_alu instid0(SALU_CYCLE_1) | instskip(SKIP_2) | instid1(VALU_DEP_1)
	s_or_b32 exec_lo, exec_lo, s13
	v_cvt_f16_f32_e32 v1, v2
	s_mov_b32 s13, exec_lo
	v_cvt_f32_f16_e32 v2, v1
	v_cmp_class_f16_e64 vcc_lo, v1, 0x1f8
	s_delay_alu instid0(VALU_DEP_2) | instskip(NEXT) | instid1(VALU_DEP_1)
	v_cvt_i32_f32_e32 v3, v2
	v_ashrrev_i32_e32 v2, 31, v3
	v_cndmask_b32_e32 v1, -1, v3, vcc_lo
	s_delay_alu instid0(VALU_DEP_2) | instskip(NEXT) | instid1(VALU_DEP_1)
	v_dual_mov_b32 v3, 0 :: v_dual_cndmask_b32 v2, -1, v2
	v_cmpx_lt_i64_e32 -1, v[1:2]
	s_cbranch_execz .LBB65_387
; %bb.376:
	v_mov_b32_e32 v3, 1.0
	s_mov_b32 s14, exec_lo
	v_cmpx_lt_i64_e32 0, v[1:2]
	s_cbranch_execz .LBB65_386
; %bb.377:
	v_lshrrev_b32_e32 v3, 16, v43
	s_mov_b32 s10, exec_lo
	s_delay_alu instid0(VALU_DEP_1)
	v_cvt_f32_f16_e32 v4, v3
                                        ; implicit-def: $vgpr3
	v_cmpx_ne_u64_e32 1, v[1:2]
	s_xor_b32 s16, exec_lo, s10
	s_cbranch_execz .LBB65_383
; %bb.378:
	v_mov_b32_e32 v3, 0x7fc00000
	s_mov_b32 s17, exec_lo
	v_cmpx_gt_u64_e32 0x81, v[1:2]
	s_cbranch_execz .LBB65_382
; %bb.379:
	v_dual_add_f32 v4, v4, v4 :: v_dual_mov_b32 v43, 1.0
	v_lshlrev_b64 v[1:2], 1, v[1:2]
	s_mov_b64 s[10:11], 2
	s_mov_b32 s18, 0
	s_delay_alu instid0(VALU_DEP_2)
	v_mov_b32_e32 v3, v4
	.p2align	6
.LBB65_380:                             ; =>This Inner Loop Header: Depth=1
	s_clz_i32_u32 s19, s11
	s_delay_alu instid0(SALU_CYCLE_1) | instskip(NEXT) | instid1(SALU_CYCLE_1)
	s_min_u32 s19, s19, 32
	s_lshl_b64 s[20:21], s[10:11], s19
	s_sub_i32 s19, 32, s19
	s_min_u32 s20, s20, 1
	s_delay_alu instid0(SALU_CYCLE_1) | instskip(SKIP_3) | instid1(SALU_CYCLE_1)
	s_or_b32 s20, s21, s20
	s_add_u32 s10, s10, 2
	v_cvt_f32_u32_e32 v45, s20
	s_addc_u32 s11, s11, 0
	v_cmp_ge_u64_e32 vcc_lo, s[10:11], v[1:2]
	s_delay_alu instid0(VALU_DEP_2) | instskip(SKIP_1) | instid1(VALU_DEP_1)
	v_ldexp_f32 v45, v45, s19
	s_or_b32 s18, vcc_lo, s18
	v_mul_f32_e32 v45, v43, v45
	v_mov_b32_e32 v43, v3
	s_delay_alu instid0(VALU_DEP_2)
	v_fma_f32 v3, v4, v3, -v45
	s_and_not1_b32 exec_lo, exec_lo, s18
	s_cbranch_execnz .LBB65_380
; %bb.381:
	s_or_b32 exec_lo, exec_lo, s18
.LBB65_382:
	s_delay_alu instid0(SALU_CYCLE_1)
	s_or_b32 exec_lo, exec_lo, s17
                                        ; implicit-def: $vgpr4
.LBB65_383:
	s_and_not1_saveexec_b32 s10, s16
; %bb.384:
	v_add_f32_e32 v3, v4, v4
; %bb.385:
	s_or_b32 exec_lo, exec_lo, s10
.LBB65_386:
	s_delay_alu instid0(SALU_CYCLE_1)
	s_or_b32 exec_lo, exec_lo, s14
.LBB65_387:
	s_delay_alu instid0(SALU_CYCLE_1)
	s_or_b32 exec_lo, exec_lo, s13
	v_cvt_f16_f32_e32 v28, v28
	v_cvt_f16_f32_e32 v25, v25
	;; [unrolled: 1-line block ×4, first 2 shown]
	s_add_u32 s8, s4, s8
	s_addc_u32 s9, s5, s9
	v_cvt_f16_f32_e32 v1, v44
	v_cvt_f16_f32_e32 v2, v33
	v_add_co_u32 v33, s10, s8, v35
	v_cvt_f16_f32_e32 v4, v34
	v_add_co_ci_u32_e64 v34, null, s9, 0, s10
	v_pack_b32_f16 v25, v28, v25
	v_pack_b32_f16 v23, v26, v23
	v_cvt_f16_f32_e32 v24, v24
	v_cvt_f16_f32_e32 v26, v21
	;; [unrolled: 1-line block ×4, first 2 shown]
	v_pack_b32_f16 v43, v1, v2
	v_add_co_u32 v1, vcc_lo, 0x1000, v33
	v_add_co_ci_u32_e32 v2, vcc_lo, 0, v34, vcc_lo
	v_pack_b32_f16 v24, v24, v26
	v_pack_b32_f16 v19, v28, v19
	v_cvt_f16_f32_e32 v20, v20
	v_cvt_f16_f32_e32 v26, v17
	;; [unrolled: 1-line block ×4, first 2 shown]
	v_add_co_u32 v21, vcc_lo, 0x2000, v33
	v_add_co_ci_u32_e32 v22, vcc_lo, 0, v34, vcc_lo
	v_add_co_u32 v17, vcc_lo, 0x3000, v33
	v_pack_b32_f16 v20, v20, v26
	v_pack_b32_f16 v15, v28, v15
	v_cvt_f16_f32_e32 v16, v16
	v_cvt_f16_f32_e32 v26, v13
	;; [unrolled: 1-line block ×5, first 2 shown]
	v_add_co_ci_u32_e32 v18, vcc_lo, 0, v34, vcc_lo
	v_cvt_f16_f32_e32 v8, v8
	v_cvt_f16_f32_e32 v5, v5
	;; [unrolled: 1-line block ×4, first 2 shown]
	v_add_co_u32 v13, vcc_lo, 0x4000, v33
	v_cvt_f16_f32_e32 v30, v30
	v_cvt_f16_f32_e32 v27, v27
	v_add_co_ci_u32_e32 v14, vcc_lo, 0, v34, vcc_lo
	v_pack_b32_f16 v16, v16, v26
	v_pack_b32_f16 v26, v28, v11
	v_cvt_f16_f32_e32 v28, v12
	v_cvt_f16_f32_e32 v9, v9
	v_add_co_u32 v11, vcc_lo, 0x5000, v33
	v_pack_b32_f16 v4, v4, v31
	v_pack_b32_f16 v5, v8, v5
	;; [unrolled: 1-line block ×3, first 2 shown]
	v_add_co_ci_u32_e32 v12, vcc_lo, 0, v34, vcc_lo
	v_pack_b32_f16 v27, v30, v27
	v_cvt_f16_f32_e32 v10, v10
	v_cvt_f16_f32_e32 v7, v7
	;; [unrolled: 1-line block ×4, first 2 shown]
	v_add_co_u32 v3, vcc_lo, 0x6000, v33
	v_pack_b32_f16 v9, v28, v9
	s_clause 0x7
	global_store_b32 v35, v43, s[8:9]
	global_store_b32 v35, v4, s[8:9] offset:2048
	global_store_b32 v36, v29, s[8:9]
	global_store_b32 v37, v25, s[8:9]
	;; [unrolled: 1-line block ×6, first 2 shown]
	v_add_co_ci_u32_e32 v4, vcc_lo, 0, v34, vcc_lo
	global_store_b32 v42, v5, s[8:9]
	v_add_co_u32 v5, vcc_lo, 0x7000, v33
	v_pack_b32_f16 v7, v10, v7
	v_pack_b32_f16 v8, v6, v8
	v_add_co_ci_u32_e32 v6, vcc_lo, 0, v34, vcc_lo
	s_clause 0x6
	global_store_b32 v[1:2], v27, off offset:2048
	global_store_b32 v[21:22], v23, off offset:2048
	;; [unrolled: 1-line block ×7, first 2 shown]
	s_branch .LBB65_2
.LBB65_388:
	s_clause 0x1
	s_load_b32 s10, s[0:1], 0x24
	s_load_b128 s[16:19], s[0:1], 0x28
	v_dual_mov_b32 v31, v0 :: v_dual_mov_b32 v0, s4
	v_dual_mov_b32 v1, s5 :: v_dual_mov_b32 v2, s6
	v_dual_mov_b32 v3, s7 :: v_dual_mov_b32 v4, s2
	v_dual_mov_b32 v5, s3 :: v_dual_mov_b32 v6, s12
	s_add_u32 s8, s0, 56
	s_addc_u32 s9, s1, 0
	s_mov_b32 s12, s15
	s_getpc_b64 s[0:1]
	s_add_u32 s0, s0, _ZN2at6native25elementwise_kernel_helperILb1ENS0_13BinaryFunctorIfffZZZNS0_12_GLOBAL__N_132hermite_polynomial_h_kernel_cudaERNS_18TensorIteratorBaseEENKUlvE_clEvENKUlvE0_clEvEUlffE_EENS0_6memory8policies11unroll_baseILi512ESt5arrayIPcLm3EE23TrivialOffsetCalculatorILi2EjESG_ILi1EjENSA_12LoadWithCastILi2EEENSA_13StoreWithCastILi1EEELi32ELi1EEEEEvT0_T1_@rel32@lo+4
	s_addc_u32 s1, s1, _ZN2at6native25elementwise_kernel_helperILb1ENS0_13BinaryFunctorIfffZZZNS0_12_GLOBAL__N_132hermite_polynomial_h_kernel_cudaERNS_18TensorIteratorBaseEENKUlvE_clEvENKUlvE0_clEvEUlffE_EENS0_6memory8policies11unroll_baseILi512ESt5arrayIPcLm3EE23TrivialOffsetCalculatorILi2EjESG_ILi1EjENSA_12LoadWithCastILi2EEENSA_13StoreWithCastILi1EEELi32ELi1EEEEEvT0_T1_@rel32@hi+12
	s_waitcnt lgkmcnt(0)
	v_lshrrev_b16 v8, 8, s10
	v_dual_mov_b32 v7, s10 :: v_dual_mov_b32 v10, s17
	v_dual_mov_b32 v9, s16 :: v_dual_mov_b32 v12, s19
	v_mov_b32_e32 v11, s18
	s_swappc_b64 s[30:31], s[0:1]
	s_endpgm
	.section	.rodata,"a",@progbits
	.p2align	6, 0x0
	.amdhsa_kernel _ZN2at6native39vectorized_templated_elementwise_kernelILi2ENS0_13BinaryFunctorIfffZZZNS0_12_GLOBAL__N_132hermite_polynomial_h_kernel_cudaERNS_18TensorIteratorBaseEENKUlvE_clEvENKUlvE0_clEvEUlffE_EESt5arrayIPcLm3EE23TrivialOffsetCalculatorILi2EjESD_ILi1EjENS0_6memory12LoadWithCastILi2EEENSG_13StoreWithCastILi1EEEN3c104HalfEJSM_fEEEviT0_T1_T2_T3_T4_T5_
		.amdhsa_group_segment_fixed_size 0
		.amdhsa_private_segment_fixed_size 272
		.amdhsa_kernarg_size 312
		.amdhsa_user_sgpr_count 15
		.amdhsa_user_sgpr_dispatch_ptr 0
		.amdhsa_user_sgpr_queue_ptr 0
		.amdhsa_user_sgpr_kernarg_segment_ptr 1
		.amdhsa_user_sgpr_dispatch_id 0
		.amdhsa_user_sgpr_private_segment_size 0
		.amdhsa_wavefront_size32 1
		.amdhsa_uses_dynamic_stack 0
		.amdhsa_enable_private_segment 1
		.amdhsa_system_sgpr_workgroup_id_x 1
		.amdhsa_system_sgpr_workgroup_id_y 0
		.amdhsa_system_sgpr_workgroup_id_z 0
		.amdhsa_system_sgpr_workgroup_info 0
		.amdhsa_system_vgpr_workitem_id 0
		.amdhsa_next_free_vgpr 68
		.amdhsa_next_free_sgpr 77
		.amdhsa_reserve_vcc 1
		.amdhsa_float_round_mode_32 0
		.amdhsa_float_round_mode_16_64 0
		.amdhsa_float_denorm_mode_32 3
		.amdhsa_float_denorm_mode_16_64 3
		.amdhsa_dx10_clamp 1
		.amdhsa_ieee_mode 1
		.amdhsa_fp16_overflow 0
		.amdhsa_workgroup_processor_mode 1
		.amdhsa_memory_ordered 1
		.amdhsa_forward_progress 0
		.amdhsa_shared_vgpr_count 0
		.amdhsa_exception_fp_ieee_invalid_op 0
		.amdhsa_exception_fp_denorm_src 0
		.amdhsa_exception_fp_ieee_div_zero 0
		.amdhsa_exception_fp_ieee_overflow 0
		.amdhsa_exception_fp_ieee_underflow 0
		.amdhsa_exception_fp_ieee_inexact 0
		.amdhsa_exception_int_div_zero 0
	.end_amdhsa_kernel
	.section	.text._ZN2at6native39vectorized_templated_elementwise_kernelILi2ENS0_13BinaryFunctorIfffZZZNS0_12_GLOBAL__N_132hermite_polynomial_h_kernel_cudaERNS_18TensorIteratorBaseEENKUlvE_clEvENKUlvE0_clEvEUlffE_EESt5arrayIPcLm3EE23TrivialOffsetCalculatorILi2EjESD_ILi1EjENS0_6memory12LoadWithCastILi2EEENSG_13StoreWithCastILi1EEEN3c104HalfEJSM_fEEEviT0_T1_T2_T3_T4_T5_,"axG",@progbits,_ZN2at6native39vectorized_templated_elementwise_kernelILi2ENS0_13BinaryFunctorIfffZZZNS0_12_GLOBAL__N_132hermite_polynomial_h_kernel_cudaERNS_18TensorIteratorBaseEENKUlvE_clEvENKUlvE0_clEvEUlffE_EESt5arrayIPcLm3EE23TrivialOffsetCalculatorILi2EjESD_ILi1EjENS0_6memory12LoadWithCastILi2EEENSG_13StoreWithCastILi1EEEN3c104HalfEJSM_fEEEviT0_T1_T2_T3_T4_T5_,comdat
.Lfunc_end65:
	.size	_ZN2at6native39vectorized_templated_elementwise_kernelILi2ENS0_13BinaryFunctorIfffZZZNS0_12_GLOBAL__N_132hermite_polynomial_h_kernel_cudaERNS_18TensorIteratorBaseEENKUlvE_clEvENKUlvE0_clEvEUlffE_EESt5arrayIPcLm3EE23TrivialOffsetCalculatorILi2EjESD_ILi1EjENS0_6memory12LoadWithCastILi2EEENSG_13StoreWithCastILi1EEEN3c104HalfEJSM_fEEEviT0_T1_T2_T3_T4_T5_, .Lfunc_end65-_ZN2at6native39vectorized_templated_elementwise_kernelILi2ENS0_13BinaryFunctorIfffZZZNS0_12_GLOBAL__N_132hermite_polynomial_h_kernel_cudaERNS_18TensorIteratorBaseEENKUlvE_clEvENKUlvE0_clEvEUlffE_EESt5arrayIPcLm3EE23TrivialOffsetCalculatorILi2EjESD_ILi1EjENS0_6memory12LoadWithCastILi2EEENSG_13StoreWithCastILi1EEEN3c104HalfEJSM_fEEEviT0_T1_T2_T3_T4_T5_
                                        ; -- End function
	.section	.AMDGPU.csdata,"",@progbits
; Kernel info:
; codeLenInByte = 10680
; NumSgprs: 79
; NumVgprs: 68
; ScratchSize: 272
; MemoryBound: 0
; FloatMode: 240
; IeeeMode: 1
; LDSByteSize: 0 bytes/workgroup (compile time only)
; SGPRBlocks: 9
; VGPRBlocks: 8
; NumSGPRsForWavesPerEU: 79
; NumVGPRsForWavesPerEU: 68
; Occupancy: 16
; WaveLimiterHint : 0
; COMPUTE_PGM_RSRC2:SCRATCH_EN: 1
; COMPUTE_PGM_RSRC2:USER_SGPR: 15
; COMPUTE_PGM_RSRC2:TRAP_HANDLER: 0
; COMPUTE_PGM_RSRC2:TGID_X_EN: 1
; COMPUTE_PGM_RSRC2:TGID_Y_EN: 0
; COMPUTE_PGM_RSRC2:TGID_Z_EN: 0
; COMPUTE_PGM_RSRC2:TIDIG_COMP_CNT: 0
	.section	.text._ZN2at6native32elementwise_kernel_manual_unrollILi128ELi4EZNS0_15gpu_kernel_implINS0_13BinaryFunctorIfffZZZNS0_12_GLOBAL__N_132hermite_polynomial_h_kernel_cudaERNS_18TensorIteratorBaseEENKUlvE_clEvENKUlvE0_clEvEUlffE_EEEEvS6_RKT_EUlibE_EEviT1_,"axG",@progbits,_ZN2at6native32elementwise_kernel_manual_unrollILi128ELi4EZNS0_15gpu_kernel_implINS0_13BinaryFunctorIfffZZZNS0_12_GLOBAL__N_132hermite_polynomial_h_kernel_cudaERNS_18TensorIteratorBaseEENKUlvE_clEvENKUlvE0_clEvEUlffE_EEEEvS6_RKT_EUlibE_EEviT1_,comdat
	.globl	_ZN2at6native32elementwise_kernel_manual_unrollILi128ELi4EZNS0_15gpu_kernel_implINS0_13BinaryFunctorIfffZZZNS0_12_GLOBAL__N_132hermite_polynomial_h_kernel_cudaERNS_18TensorIteratorBaseEENKUlvE_clEvENKUlvE0_clEvEUlffE_EEEEvS6_RKT_EUlibE_EEviT1_ ; -- Begin function _ZN2at6native32elementwise_kernel_manual_unrollILi128ELi4EZNS0_15gpu_kernel_implINS0_13BinaryFunctorIfffZZZNS0_12_GLOBAL__N_132hermite_polynomial_h_kernel_cudaERNS_18TensorIteratorBaseEENKUlvE_clEvENKUlvE0_clEvEUlffE_EEEEvS6_RKT_EUlibE_EEviT1_
	.p2align	8
	.type	_ZN2at6native32elementwise_kernel_manual_unrollILi128ELi4EZNS0_15gpu_kernel_implINS0_13BinaryFunctorIfffZZZNS0_12_GLOBAL__N_132hermite_polynomial_h_kernel_cudaERNS_18TensorIteratorBaseEENKUlvE_clEvENKUlvE0_clEvEUlffE_EEEEvS6_RKT_EUlibE_EEviT1_,@function
_ZN2at6native32elementwise_kernel_manual_unrollILi128ELi4EZNS0_15gpu_kernel_implINS0_13BinaryFunctorIfffZZZNS0_12_GLOBAL__N_132hermite_polynomial_h_kernel_cudaERNS_18TensorIteratorBaseEENKUlvE_clEvENKUlvE0_clEvEUlffE_EEEEvS6_RKT_EUlibE_EEviT1_: ; @_ZN2at6native32elementwise_kernel_manual_unrollILi128ELi4EZNS0_15gpu_kernel_implINS0_13BinaryFunctorIfffZZZNS0_12_GLOBAL__N_132hermite_polynomial_h_kernel_cudaERNS_18TensorIteratorBaseEENKUlvE_clEvENKUlvE0_clEvEUlffE_EEEEvS6_RKT_EUlibE_EEviT1_
; %bb.0:
	v_mov_b32_e32 v1, 0
	v_lshl_or_b32 v10, s15, 9, v0
	s_mov_b32 s13, 0
	s_clause 0x1
	global_load_u16 v9, v1, s[0:1] offset:45
	global_load_i8 v4, v1, s[0:1] offset:47
	s_clause 0x3
	s_load_b32 s14, s[0:1], 0x0
	s_load_b128 s[4:7], s[0:1], 0x8
	s_load_b64 s[2:3], s[0:1], 0x18
	s_load_b128 s[8:11], s[0:1], 0x20
	v_or_b32_e32 v0, 0x180, v10
	s_waitcnt lgkmcnt(0)
	s_mov_b32 s11, 0
	s_mov_b32 s0, exec_lo
	s_waitcnt vmcnt(1)
	v_lshrrev_b32_e32 v5, 8, v9
	v_cmpx_le_i32_e64 s14, v0
	s_xor_b32 s12, exec_lo, s0
	s_cbranch_execz .LBB66_1599
; %bb.1:
	s_mov_b32 s1, -1
	s_mov_b32 s18, 0
	s_mov_b32 s16, 0
	;; [unrolled: 1-line block ×3, first 2 shown]
	s_mov_b32 s17, exec_lo
	v_cmpx_gt_i32_e64 s14, v10
	s_cbranch_execz .LBB66_393
; %bb.2:
	v_mul_lo_u32 v0, v10, s9
	v_and_b32_e32 v2, 0xff, v5
	s_delay_alu instid0(VALU_DEP_1) | instskip(NEXT) | instid1(VALU_DEP_3)
	v_cmp_gt_i16_e32 vcc_lo, 11, v2
	v_ashrrev_i32_e32 v1, 31, v0
	v_add_co_u32 v0, s0, s6, v0
	s_delay_alu instid0(VALU_DEP_1)
	v_add_co_ci_u32_e64 v1, s0, s7, v1, s0
	s_cbranch_vccnz .LBB66_9
; %bb.3:
	v_cmp_lt_i16_e32 vcc_lo, 25, v2
	s_cbranch_vccz .LBB66_18
; %bb.4:
	v_cmp_lt_i16_e32 vcc_lo, 28, v2
	s_cbranch_vccz .LBB66_40
	;; [unrolled: 3-line block ×4, first 2 shown]
; %bb.7:
	v_cmp_eq_u16_e32 vcc_lo, 46, v2
	s_mov_b32 s1, 0
	s_cbranch_vccz .LBB66_48
; %bb.8:
	global_load_b32 v3, v[0:1], off
	s_mov_b32 s0, -1
	s_waitcnt vmcnt(0)
	v_lshlrev_b32_e32 v3, 16, v3
	s_branch .LBB66_50
.LBB66_9:
	s_mov_b32 s0, 0
                                        ; implicit-def: $vgpr3
	s_and_b32 vcc_lo, exec_lo, s1
	s_cbranch_vccnz .LBB66_116
.LBB66_10:
	s_and_not1_b32 vcc_lo, exec_lo, s0
	s_cbranch_vccnz .LBB66_163
.LBB66_11:
	v_mul_lo_u32 v0, v10, s10
	s_waitcnt vmcnt(0)
	v_and_b32_e32 v2, 0xff, v4
	s_delay_alu instid0(VALU_DEP_1) | instskip(NEXT) | instid1(VALU_DEP_3)
	v_cmp_gt_i16_e32 vcc_lo, 11, v2
	v_ashrrev_i32_e32 v1, 31, v0
	v_add_co_u32 v0, s0, s2, v0
	s_delay_alu instid0(VALU_DEP_1)
	v_add_co_ci_u32_e64 v1, s0, s3, v1, s0
	s_cbranch_vccnz .LBB66_19
; %bb.12:
	v_cmp_lt_i16_e32 vcc_lo, 25, v2
	s_cbranch_vccz .LBB66_41
; %bb.13:
	v_cmp_lt_i16_e32 vcc_lo, 28, v2
	s_cbranch_vccz .LBB66_44
	;; [unrolled: 3-line block ×4, first 2 shown]
; %bb.16:
	v_cmp_eq_u16_e32 vcc_lo, 46, v2
	s_mov_b32 s1, 0
	s_cbranch_vccz .LBB66_164
; %bb.17:
	global_load_b32 v6, v[0:1], off
	s_mov_b32 s0, -1
	s_mov_b32 s15, 0
	s_waitcnt vmcnt(0)
	v_lshlrev_b32_e32 v6, 16, v6
	s_branch .LBB66_166
.LBB66_18:
	s_mov_b32 s0, 0
                                        ; implicit-def: $vgpr3
	s_and_b32 vcc_lo, exec_lo, s1
	s_cbranch_vccnz .LBB66_81
	s_branch .LBB66_115
.LBB66_19:
	s_mov_b32 s15, 0
	s_mov_b32 s0, 0
                                        ; implicit-def: $vgpr6
	s_cbranch_execnz .LBB66_342
.LBB66_20:
	s_and_not1_b32 vcc_lo, exec_lo, s0
	s_cbranch_vccnz .LBB66_390
.LBB66_21:
	s_waitcnt vmcnt(0)
	s_delay_alu instid0(VALU_DEP_1) | instskip(SKIP_1) | instid1(VALU_DEP_1)
	v_trunc_f32_e32 v0, v6
	s_mov_b32 s13, exec_lo
	v_mul_f32_e64 v1, 0x2f800000, |v0|
	s_delay_alu instid0(VALU_DEP_1) | instskip(NEXT) | instid1(VALU_DEP_1)
	v_floor_f32_e32 v1, v1
	v_fma_f32 v2, 0xcf800000, v1, |v0|
	v_ashrrev_i32_e32 v0, 31, v0
	v_cvt_u32_f32_e32 v1, v1
	s_delay_alu instid0(VALU_DEP_3) | instskip(NEXT) | instid1(VALU_DEP_2)
	v_cvt_u32_f32_e32 v2, v2
	v_xor_b32_e32 v1, v1, v0
	s_delay_alu instid0(VALU_DEP_2) | instskip(NEXT) | instid1(VALU_DEP_1)
	v_xor_b32_e32 v2, v2, v0
	v_sub_co_u32 v7, vcc_lo, v2, v0
	s_delay_alu instid0(VALU_DEP_3) | instskip(SKIP_1) | instid1(VALU_DEP_2)
	v_sub_co_ci_u32_e32 v0, vcc_lo, v1, v0, vcc_lo
	v_cmp_class_f32_e64 vcc_lo, v6, 0x1f8
	v_dual_cndmask_b32 v2, -1, v0 :: v_dual_cndmask_b32 v1, -1, v7
	v_mov_b32_e32 v0, 0
	s_delay_alu instid0(VALU_DEP_2)
	v_cmpx_lt_i64_e32 -1, v[1:2]
	s_cbranch_execz .LBB66_33
; %bb.22:
	v_mov_b32_e32 v0, 1.0
	s_mov_b32 s19, exec_lo
	v_cmpx_lt_i64_e32 0, v[1:2]
	s_cbranch_execz .LBB66_32
; %bb.23:
                                        ; implicit-def: $vgpr0
	s_mov_b32 s0, exec_lo
	v_cmpx_ne_u64_e32 1, v[1:2]
	s_xor_b32 s20, exec_lo, s0
	s_cbranch_execz .LBB66_29
; %bb.24:
	v_mov_b32_e32 v0, 0x7fc00000
	s_mov_b32 s21, exec_lo
	v_cmpx_gt_u64_e32 0x81, v[1:2]
	s_cbranch_execz .LBB66_28
; %bb.25:
	v_dual_add_f32 v3, v3, v3 :: v_dual_mov_b32 v6, 1.0
	v_lshlrev_b64 v[1:2], 1, v[1:2]
	s_mov_b64 s[0:1], 2
	s_mov_b32 s22, 0
	s_delay_alu instid0(VALU_DEP_2)
	v_mov_b32_e32 v0, v3
.LBB66_26:                              ; =>This Inner Loop Header: Depth=1
	s_clz_i32_u32 s23, s1
	s_delay_alu instid0(SALU_CYCLE_1) | instskip(NEXT) | instid1(SALU_CYCLE_1)
	s_min_u32 s23, s23, 32
	s_lshl_b64 s[24:25], s[0:1], s23
	s_sub_i32 s23, 32, s23
	s_min_u32 s24, s24, 1
	s_delay_alu instid0(SALU_CYCLE_1) | instskip(SKIP_3) | instid1(SALU_CYCLE_1)
	s_or_b32 s24, s25, s24
	s_add_u32 s0, s0, 2
	v_cvt_f32_u32_e32 v7, s24
	s_addc_u32 s1, s1, 0
	v_cmp_ge_u64_e32 vcc_lo, s[0:1], v[1:2]
	s_delay_alu instid0(VALU_DEP_2) | instskip(SKIP_1) | instid1(VALU_DEP_1)
	v_ldexp_f32 v7, v7, s23
	s_or_b32 s22, vcc_lo, s22
	v_dual_mul_f32 v7, v6, v7 :: v_dual_mov_b32 v6, v0
	s_delay_alu instid0(VALU_DEP_1)
	v_fma_f32 v0, v3, v0, -v7
	s_and_not1_b32 exec_lo, exec_lo, s22
	s_cbranch_execnz .LBB66_26
; %bb.27:
	s_or_b32 exec_lo, exec_lo, s22
.LBB66_28:
	s_delay_alu instid0(SALU_CYCLE_1)
	s_or_b32 exec_lo, exec_lo, s21
                                        ; implicit-def: $vgpr3
.LBB66_29:
	s_and_not1_saveexec_b32 s0, s20
; %bb.30:
	v_add_f32_e32 v0, v3, v3
; %bb.31:
	s_or_b32 exec_lo, exec_lo, s0
.LBB66_32:
	s_delay_alu instid0(SALU_CYCLE_1)
	s_or_b32 exec_lo, exec_lo, s19
.LBB66_33:
	s_delay_alu instid0(SALU_CYCLE_1) | instskip(SKIP_2) | instid1(VALU_DEP_1)
	s_or_b32 exec_lo, exec_lo, s13
	v_mul_lo_u32 v1, v10, s8
	v_and_b32_e32 v6, 0xff, v9
	v_cmp_gt_i16_e32 vcc_lo, 11, v6
	s_delay_alu instid0(VALU_DEP_3) | instskip(SKIP_1) | instid1(VALU_DEP_1)
	v_ashrrev_i32_e32 v3, 31, v1
	v_add_co_u32 v2, s0, s4, v1
	v_add_co_ci_u32_e64 v3, s0, s5, v3, s0
	s_cbranch_vccnz .LBB66_42
; %bb.34:
	v_cmp_lt_i16_e32 vcc_lo, 25, v6
	s_cbranch_vccz .LBB66_45
; %bb.35:
	v_cmp_lt_i16_e32 vcc_lo, 28, v6
	s_cbranch_vccz .LBB66_47
	;; [unrolled: 3-line block ×4, first 2 shown]
; %bb.38:
	v_cmp_eq_u16_e32 vcc_lo, 46, v6
	s_mov_b32 s13, 0
	s_mov_b32 s0, -1
	s_mov_b32 s1, 0
	s_cbranch_vccz .LBB66_170
; %bb.39:
	v_bfe_u32 v1, v0, 16, 1
	v_cmp_o_f32_e32 vcc_lo, v0, v0
	s_mov_b32 s1, -1
	s_mov_b32 s0, 0
	s_delay_alu instid0(VALU_DEP_2) | instskip(NEXT) | instid1(VALU_DEP_1)
	v_add3_u32 v1, v0, v1, 0x7fff
	v_lshrrev_b32_e32 v1, 16, v1
	s_delay_alu instid0(VALU_DEP_1)
	v_cndmask_b32_e32 v1, 0x7fc0, v1, vcc_lo
	global_store_b32 v[2:3], v1, off
	s_branch .LBB66_170
.LBB66_40:
	s_mov_b32 s0, 0
                                        ; implicit-def: $vgpr3
	s_branch .LBB66_62
.LBB66_41:
	s_mov_b32 s1, -1
	s_mov_b32 s15, 0
	s_mov_b32 s0, 0
                                        ; implicit-def: $vgpr6
	s_branch .LBB66_306
.LBB66_42:
	s_mov_b32 s13, -1
	s_mov_b32 s0, 0
	s_mov_b32 s1, 0
	s_branch .LBB66_239
.LBB66_43:
	s_mov_b32 s0, 0
                                        ; implicit-def: $vgpr3
	s_branch .LBB66_57
.LBB66_44:
	s_mov_b32 s1, -1
	s_mov_b32 s15, 0
	s_mov_b32 s0, 0
                                        ; implicit-def: $vgpr6
	s_branch .LBB66_287
.LBB66_45:
	s_mov_b32 s13, -1
	s_mov_b32 s0, 0
	s_mov_b32 s1, 0
	s_branch .LBB66_197
.LBB66_46:
	s_mov_b32 s1, -1
	s_mov_b32 s15, 0
	s_mov_b32 s0, 0
                                        ; implicit-def: $vgpr6
	s_branch .LBB66_282
.LBB66_47:
	s_mov_b32 s13, -1
	s_mov_b32 s0, 0
	s_mov_b32 s1, 0
	s_branch .LBB66_180
.LBB66_48:
	s_mov_b32 s16, -1
.LBB66_49:
	s_mov_b32 s0, 0
                                        ; implicit-def: $vgpr3
.LBB66_50:
	s_and_b32 vcc_lo, exec_lo, s1
	s_cbranch_vccz .LBB66_56
; %bb.51:
	v_cmp_eq_u16_e32 vcc_lo, 44, v2
	s_cbranch_vccz .LBB66_55
; %bb.52:
	global_load_u8 v3, v[0:1], off
	s_mov_b32 s16, 0
	s_mov_b32 s0, -1
	s_waitcnt vmcnt(0)
	v_lshlrev_b32_e32 v6, 23, v3
	v_cmp_ne_u32_e32 vcc_lo, 0xff, v3
	s_delay_alu instid0(VALU_DEP_2) | instskip(SKIP_1) | instid1(VALU_DEP_2)
	v_cndmask_b32_e32 v6, 0x7f800001, v6, vcc_lo
	v_cmp_ne_u32_e32 vcc_lo, 0, v3
	v_cndmask_b32_e32 v3, 0x400000, v6, vcc_lo
	s_branch .LBB66_56
.LBB66_53:
	s_mov_b32 s1, -1
	s_mov_b32 s15, 0
	s_branch .LBB66_165
.LBB66_54:
	s_mov_b32 s13, -1
	s_mov_b32 s0, 0
	s_mov_b32 s1, 0
	s_branch .LBB66_176
.LBB66_55:
	s_mov_b32 s16, -1
                                        ; implicit-def: $vgpr3
.LBB66_56:
	s_mov_b32 s1, 0
.LBB66_57:
	s_delay_alu instid0(SALU_CYCLE_1)
	s_and_b32 vcc_lo, exec_lo, s1
	s_cbranch_vccz .LBB66_61
; %bb.58:
	v_cmp_eq_u16_e32 vcc_lo, 29, v2
	s_cbranch_vccz .LBB66_60
; %bb.59:
	global_load_b64 v[6:7], v[0:1], off
	s_mov_b32 s0, -1
	s_mov_b32 s16, 0
	s_mov_b32 s1, 0
	s_waitcnt vmcnt(0)
	v_clz_i32_u32_e32 v3, v7
	s_delay_alu instid0(VALU_DEP_1) | instskip(NEXT) | instid1(VALU_DEP_1)
	v_min_u32_e32 v3, 32, v3
	v_lshlrev_b64 v[6:7], v3, v[6:7]
	v_sub_nc_u32_e32 v3, 32, v3
	s_delay_alu instid0(VALU_DEP_2) | instskip(NEXT) | instid1(VALU_DEP_1)
	v_min_u32_e32 v6, 1, v6
	v_or_b32_e32 v6, v7, v6
	s_delay_alu instid0(VALU_DEP_1) | instskip(NEXT) | instid1(VALU_DEP_1)
	v_cvt_f32_u32_e32 v6, v6
	v_ldexp_f32 v3, v6, v3
	s_branch .LBB66_62
.LBB66_60:
	s_mov_b32 s16, -1
                                        ; implicit-def: $vgpr3
.LBB66_61:
	s_mov_b32 s1, 0
.LBB66_62:
	s_delay_alu instid0(SALU_CYCLE_1)
	s_and_b32 vcc_lo, exec_lo, s1
	s_cbranch_vccz .LBB66_80
; %bb.63:
	v_cmp_gt_i16_e32 vcc_lo, 27, v2
	s_cbranch_vccnz .LBB66_66
; %bb.64:
	v_cmp_lt_i16_e32 vcc_lo, 27, v2
	s_cbranch_vccz .LBB66_67
; %bb.65:
	global_load_b32 v3, v[0:1], off
	s_mov_b32 s0, 0
	s_waitcnt vmcnt(0)
	v_cvt_f32_u32_e32 v3, v3
	s_branch .LBB66_68
.LBB66_66:
	s_mov_b32 s0, -1
                                        ; implicit-def: $vgpr3
	s_branch .LBB66_71
.LBB66_67:
	s_mov_b32 s0, -1
                                        ; implicit-def: $vgpr3
.LBB66_68:
	s_delay_alu instid0(SALU_CYCLE_1)
	s_and_not1_b32 vcc_lo, exec_lo, s0
	s_cbranch_vccnz .LBB66_70
; %bb.69:
	global_load_u16 v3, v[0:1], off
	s_waitcnt vmcnt(0)
	v_cvt_f32_u32_e32 v3, v3
.LBB66_70:
	s_mov_b32 s0, 0
.LBB66_71:
	s_delay_alu instid0(SALU_CYCLE_1)
	s_and_not1_b32 vcc_lo, exec_lo, s0
	s_cbranch_vccnz .LBB66_79
; %bb.72:
	global_load_u8 v6, v[0:1], off
	s_mov_b32 s0, 0
	s_mov_b32 s13, exec_lo
                                        ; implicit-def: $sgpr1
	s_waitcnt vmcnt(0)
	v_cmpx_lt_i16_e32 0x7f, v6
	s_xor_b32 s13, exec_lo, s13
	s_cbranch_execz .LBB66_92
; %bb.73:
	s_mov_b32 s0, -1
	s_mov_b32 s15, exec_lo
                                        ; implicit-def: $sgpr1
	v_cmpx_eq_u16_e32 0x80, v6
; %bb.74:
	s_mov_b32 s1, 0x7f800001
	s_xor_b32 s0, exec_lo, -1
; %bb.75:
	s_or_b32 exec_lo, exec_lo, s15
	s_delay_alu instid0(SALU_CYCLE_1)
	s_and_b32 s0, s0, exec_lo
	s_or_saveexec_b32 s13, s13
	v_mov_b32_e32 v3, s1
	s_xor_b32 exec_lo, exec_lo, s13
	s_cbranch_execnz .LBB66_93
.LBB66_76:
	s_or_b32 exec_lo, exec_lo, s13
	s_and_saveexec_b32 s1, s0
	s_cbranch_execz .LBB66_78
.LBB66_77:
	v_and_b32_e32 v3, 0xffff, v6
	s_delay_alu instid0(VALU_DEP_1) | instskip(NEXT) | instid1(VALU_DEP_1)
	v_and_b32_e32 v7, 7, v3
	v_clz_i32_u32_e32 v8, v7
	s_delay_alu instid0(VALU_DEP_1) | instskip(NEXT) | instid1(VALU_DEP_1)
	v_min_u32_e32 v8, 32, v8
	v_subrev_nc_u32_e32 v11, 28, v8
	v_sub_nc_u32_e32 v8, 29, v8
	s_delay_alu instid0(VALU_DEP_2) | instskip(SKIP_1) | instid1(VALU_DEP_2)
	v_lshlrev_b32_e32 v11, v11, v3
	v_bfe_u32 v3, v3, 3, 4
	v_and_b32_e32 v11, 7, v11
	s_delay_alu instid0(VALU_DEP_2) | instskip(SKIP_1) | instid1(VALU_DEP_1)
	v_cmp_eq_u32_e32 vcc_lo, 0, v3
	v_dual_cndmask_b32 v3, v3, v8 :: v_dual_lshlrev_b32 v6, 24, v6
	v_dual_cndmask_b32 v7, v7, v11 :: v_dual_and_b32 v6, 0x80000000, v6
	s_delay_alu instid0(VALU_DEP_2) | instskip(NEXT) | instid1(VALU_DEP_2)
	v_lshl_add_u32 v3, v3, 23, 0x3b800000
	v_lshlrev_b32_e32 v7, 20, v7
	s_delay_alu instid0(VALU_DEP_1)
	v_or3_b32 v3, v6, v3, v7
.LBB66_78:
	s_or_b32 exec_lo, exec_lo, s1
.LBB66_79:
	s_mov_b32 s0, -1
.LBB66_80:
	s_branch .LBB66_115
.LBB66_81:
	v_cmp_lt_i16_e32 vcc_lo, 22, v2
	s_cbranch_vccz .LBB66_91
; %bb.82:
	v_cmp_gt_i16_e32 vcc_lo, 24, v2
	s_cbranch_vccnz .LBB66_94
; %bb.83:
	v_cmp_lt_i16_e32 vcc_lo, 24, v2
	s_cbranch_vccz .LBB66_95
; %bb.84:
	global_load_u8 v6, v[0:1], off
	s_mov_b32 s0, 0
	s_mov_b32 s13, exec_lo
                                        ; implicit-def: $sgpr1
	s_waitcnt vmcnt(0)
	v_cmpx_lt_i16_e32 0x7f, v6
	s_xor_b32 s13, exec_lo, s13
	s_cbranch_execz .LBB66_107
; %bb.85:
	s_mov_b32 s0, -1
	s_mov_b32 s15, exec_lo
                                        ; implicit-def: $sgpr1
	v_cmpx_eq_u16_e32 0x80, v6
; %bb.86:
	s_mov_b32 s1, 0x7f800001
	s_xor_b32 s0, exec_lo, -1
; %bb.87:
	s_or_b32 exec_lo, exec_lo, s15
	s_delay_alu instid0(SALU_CYCLE_1)
	s_and_b32 s0, s0, exec_lo
	s_or_saveexec_b32 s13, s13
	v_mov_b32_e32 v3, s1
	s_xor_b32 exec_lo, exec_lo, s13
	s_cbranch_execnz .LBB66_108
.LBB66_88:
	s_or_b32 exec_lo, exec_lo, s13
	s_and_saveexec_b32 s1, s0
	s_cbranch_execz .LBB66_90
.LBB66_89:
	v_and_b32_e32 v3, 0xffff, v6
	s_delay_alu instid0(VALU_DEP_1) | instskip(NEXT) | instid1(VALU_DEP_1)
	v_and_b32_e32 v7, 3, v3
	v_clz_i32_u32_e32 v8, v7
	s_delay_alu instid0(VALU_DEP_1) | instskip(NEXT) | instid1(VALU_DEP_1)
	v_min_u32_e32 v8, 32, v8
	v_subrev_nc_u32_e32 v11, 29, v8
	v_sub_nc_u32_e32 v8, 30, v8
	s_delay_alu instid0(VALU_DEP_2) | instskip(SKIP_1) | instid1(VALU_DEP_2)
	v_lshlrev_b32_e32 v11, v11, v3
	v_bfe_u32 v3, v3, 2, 5
	v_and_b32_e32 v11, 3, v11
	s_delay_alu instid0(VALU_DEP_2) | instskip(SKIP_1) | instid1(VALU_DEP_1)
	v_cmp_eq_u32_e32 vcc_lo, 0, v3
	v_dual_cndmask_b32 v3, v3, v8 :: v_dual_lshlrev_b32 v6, 24, v6
	v_dual_cndmask_b32 v7, v7, v11 :: v_dual_and_b32 v6, 0x80000000, v6
	s_delay_alu instid0(VALU_DEP_2) | instskip(NEXT) | instid1(VALU_DEP_2)
	v_lshl_add_u32 v3, v3, 23, 0x37800000
	v_lshlrev_b32_e32 v7, 21, v7
	s_delay_alu instid0(VALU_DEP_1)
	v_or3_b32 v3, v6, v3, v7
.LBB66_90:
	s_or_b32 exec_lo, exec_lo, s1
	s_mov_b32 s0, 0
	s_branch .LBB66_96
.LBB66_91:
	s_mov_b32 s1, -1
                                        ; implicit-def: $vgpr3
	s_branch .LBB66_102
.LBB66_92:
	s_or_saveexec_b32 s13, s13
	v_mov_b32_e32 v3, s1
	s_xor_b32 exec_lo, exec_lo, s13
	s_cbranch_execz .LBB66_76
.LBB66_93:
	v_cmp_ne_u16_e32 vcc_lo, 0, v6
	v_mov_b32_e32 v3, 0
	s_and_not1_b32 s0, s0, exec_lo
	s_and_b32 s1, vcc_lo, exec_lo
	s_delay_alu instid0(SALU_CYCLE_1)
	s_or_b32 s0, s0, s1
	s_or_b32 exec_lo, exec_lo, s13
	s_and_saveexec_b32 s1, s0
	s_cbranch_execnz .LBB66_77
	s_branch .LBB66_78
.LBB66_94:
	s_mov_b32 s0, -1
                                        ; implicit-def: $vgpr3
	s_branch .LBB66_99
.LBB66_95:
	s_mov_b32 s0, -1
                                        ; implicit-def: $vgpr3
.LBB66_96:
	s_delay_alu instid0(SALU_CYCLE_1)
	s_and_b32 vcc_lo, exec_lo, s0
	s_cbranch_vccz .LBB66_98
; %bb.97:
	global_load_u8 v3, v[0:1], off
	s_waitcnt vmcnt(0)
	v_lshlrev_b32_e32 v3, 24, v3
	s_delay_alu instid0(VALU_DEP_1) | instskip(NEXT) | instid1(VALU_DEP_1)
	v_and_b32_e32 v6, 0x7f000000, v3
	v_clz_i32_u32_e32 v7, v6
	v_cmp_ne_u32_e32 vcc_lo, 0, v6
	v_add_nc_u32_e32 v11, 0x1000000, v6
	s_delay_alu instid0(VALU_DEP_3) | instskip(NEXT) | instid1(VALU_DEP_1)
	v_min_u32_e32 v7, 32, v7
	v_sub_nc_u32_e64 v7, v7, 4 clamp
	s_delay_alu instid0(VALU_DEP_1) | instskip(SKIP_1) | instid1(VALU_DEP_2)
	v_lshlrev_b32_e32 v8, v7, v6
	v_lshlrev_b32_e32 v7, 23, v7
	v_lshrrev_b32_e32 v8, 4, v8
	s_delay_alu instid0(VALU_DEP_1) | instskip(SKIP_1) | instid1(VALU_DEP_2)
	v_sub_nc_u32_e32 v7, v8, v7
	v_ashrrev_i32_e32 v8, 8, v11
	v_add_nc_u32_e32 v7, 0x3c000000, v7
	s_delay_alu instid0(VALU_DEP_1) | instskip(NEXT) | instid1(VALU_DEP_1)
	v_and_or_b32 v7, 0x7f800000, v8, v7
	v_cndmask_b32_e32 v6, 0, v7, vcc_lo
	s_delay_alu instid0(VALU_DEP_1)
	v_and_or_b32 v3, 0x80000000, v3, v6
.LBB66_98:
	s_mov_b32 s0, 0
.LBB66_99:
	s_delay_alu instid0(SALU_CYCLE_1)
	s_and_not1_b32 vcc_lo, exec_lo, s0
	s_cbranch_vccnz .LBB66_101
; %bb.100:
	global_load_u8 v3, v[0:1], off
	s_waitcnt vmcnt(0)
	v_lshlrev_b32_e32 v6, 25, v3
	v_lshlrev_b16 v3, 8, v3
	s_delay_alu instid0(VALU_DEP_2) | instskip(NEXT) | instid1(VALU_DEP_2)
	v_lshrrev_b32_e32 v7, 4, v6
	v_and_or_b32 v8, 0x7f00, v3, 0.5
	v_cmp_gt_u32_e32 vcc_lo, 0x8000000, v6
	v_bfe_i32 v3, v3, 0, 16
	s_delay_alu instid0(VALU_DEP_4) | instskip(NEXT) | instid1(VALU_DEP_1)
	v_or_b32_e32 v7, 0x70000000, v7
	v_dual_add_f32 v8, -0.5, v8 :: v_dual_mul_f32 v7, 0x7800000, v7
	s_delay_alu instid0(VALU_DEP_1) | instskip(NEXT) | instid1(VALU_DEP_1)
	v_cndmask_b32_e32 v6, v7, v8, vcc_lo
	v_and_or_b32 v3, 0x80000000, v3, v6
.LBB66_101:
	s_mov_b32 s1, 0
	s_mov_b32 s0, -1
.LBB66_102:
	s_and_not1_b32 vcc_lo, exec_lo, s1
	s_cbranch_vccnz .LBB66_115
; %bb.103:
	v_cmp_lt_i16_e32 vcc_lo, 14, v2
	s_cbranch_vccz .LBB66_106
; %bb.104:
	v_cmp_eq_u16_e32 vcc_lo, 15, v2
	s_cbranch_vccz .LBB66_109
; %bb.105:
	global_load_u16 v3, v[0:1], off
	s_mov_b32 s0, -1
	s_mov_b32 s16, 0
	s_waitcnt vmcnt(0)
	v_lshlrev_b32_e32 v3, 16, v3
	s_branch .LBB66_110
.LBB66_106:
	s_mov_b32 s1, -1
                                        ; implicit-def: $vgpr3
	s_branch .LBB66_111
.LBB66_107:
	s_or_saveexec_b32 s13, s13
	v_mov_b32_e32 v3, s1
	s_xor_b32 exec_lo, exec_lo, s13
	s_cbranch_execz .LBB66_88
.LBB66_108:
	v_cmp_ne_u16_e32 vcc_lo, 0, v6
	v_mov_b32_e32 v3, 0
	s_and_not1_b32 s0, s0, exec_lo
	s_and_b32 s1, vcc_lo, exec_lo
	s_delay_alu instid0(SALU_CYCLE_1)
	s_or_b32 s0, s0, s1
	s_or_b32 exec_lo, exec_lo, s13
	s_and_saveexec_b32 s1, s0
	s_cbranch_execnz .LBB66_89
	s_branch .LBB66_90
.LBB66_109:
	s_mov_b32 s16, -1
                                        ; implicit-def: $vgpr3
.LBB66_110:
	s_mov_b32 s1, 0
.LBB66_111:
	s_delay_alu instid0(SALU_CYCLE_1)
	s_and_b32 vcc_lo, exec_lo, s1
	s_cbranch_vccz .LBB66_115
; %bb.112:
	v_cmp_eq_u16_e32 vcc_lo, 11, v2
	s_cbranch_vccz .LBB66_114
; %bb.113:
	global_load_u8 v3, v[0:1], off
	s_mov_b32 s16, 0
	s_mov_b32 s0, -1
	s_waitcnt vmcnt(0)
	v_cmp_ne_u16_e32 vcc_lo, 0, v3
	v_cndmask_b32_e64 v3, 0, 1.0, vcc_lo
	s_branch .LBB66_115
.LBB66_114:
	s_mov_b32 s16, -1
                                        ; implicit-def: $vgpr3
.LBB66_115:
	s_branch .LBB66_10
.LBB66_116:
	v_cmp_gt_i16_e32 vcc_lo, 5, v2
	s_cbranch_vccnz .LBB66_121
; %bb.117:
	v_cmp_gt_i16_e32 vcc_lo, 8, v2
	s_cbranch_vccnz .LBB66_122
; %bb.118:
	;; [unrolled: 3-line block ×3, first 2 shown]
	v_cmp_lt_i16_e32 vcc_lo, 9, v2
	s_cbranch_vccz .LBB66_124
; %bb.120:
	global_load_b64 v[6:7], v[0:1], off
	s_mov_b32 s0, 0
	s_waitcnt vmcnt(0)
	v_cvt_f32_f64_e32 v3, v[6:7]
	s_branch .LBB66_125
.LBB66_121:
                                        ; implicit-def: $vgpr3
	s_branch .LBB66_143
.LBB66_122:
	s_mov_b32 s0, -1
                                        ; implicit-def: $vgpr3
	s_branch .LBB66_131
.LBB66_123:
	s_mov_b32 s0, -1
                                        ; implicit-def: $vgpr3
	s_branch .LBB66_128
.LBB66_124:
	s_mov_b32 s0, -1
                                        ; implicit-def: $vgpr3
.LBB66_125:
	s_delay_alu instid0(SALU_CYCLE_1)
	s_and_not1_b32 vcc_lo, exec_lo, s0
	s_cbranch_vccnz .LBB66_127
; %bb.126:
	global_load_b32 v3, v[0:1], off
.LBB66_127:
	s_mov_b32 s0, 0
.LBB66_128:
	s_delay_alu instid0(SALU_CYCLE_1)
	s_and_not1_b32 vcc_lo, exec_lo, s0
	s_cbranch_vccnz .LBB66_130
; %bb.129:
	global_load_b32 v3, v[0:1], off
	s_waitcnt vmcnt(0)
	v_cvt_f32_f16_e32 v3, v3
.LBB66_130:
	s_mov_b32 s0, 0
.LBB66_131:
	s_delay_alu instid0(SALU_CYCLE_1)
	s_and_not1_b32 vcc_lo, exec_lo, s0
	s_cbranch_vccnz .LBB66_142
; %bb.132:
	v_cmp_gt_i16_e32 vcc_lo, 6, v2
	s_cbranch_vccnz .LBB66_135
; %bb.133:
	v_cmp_lt_i16_e32 vcc_lo, 6, v2
	s_cbranch_vccz .LBB66_136
; %bb.134:
	global_load_b64 v[6:7], v[0:1], off
	s_mov_b32 s0, 0
	s_waitcnt vmcnt(0)
	v_cvt_f32_f64_e32 v3, v[6:7]
	s_branch .LBB66_137
.LBB66_135:
	s_mov_b32 s0, -1
                                        ; implicit-def: $vgpr3
	s_branch .LBB66_140
.LBB66_136:
	s_mov_b32 s0, -1
                                        ; implicit-def: $vgpr3
.LBB66_137:
	s_delay_alu instid0(SALU_CYCLE_1)
	s_and_not1_b32 vcc_lo, exec_lo, s0
	s_cbranch_vccnz .LBB66_139
; %bb.138:
	global_load_b32 v3, v[0:1], off
.LBB66_139:
	s_mov_b32 s0, 0
.LBB66_140:
	s_delay_alu instid0(SALU_CYCLE_1)
	s_and_not1_b32 vcc_lo, exec_lo, s0
	s_cbranch_vccnz .LBB66_142
; %bb.141:
	global_load_u16 v3, v[0:1], off
	s_waitcnt vmcnt(0)
	v_cvt_f32_f16_e32 v3, v3
.LBB66_142:
	s_cbranch_execnz .LBB66_162
.LBB66_143:
	v_cmp_gt_i16_e32 vcc_lo, 2, v2
	s_cbranch_vccnz .LBB66_147
; %bb.144:
	v_cmp_gt_i16_e32 vcc_lo, 3, v2
	s_cbranch_vccnz .LBB66_148
; %bb.145:
	v_cmp_lt_i16_e32 vcc_lo, 3, v2
	s_cbranch_vccz .LBB66_149
; %bb.146:
	global_load_b64 v[6:7], v[0:1], off
	s_mov_b32 s0, 0
	s_waitcnt vmcnt(0)
	v_xor_b32_e32 v3, v6, v7
	v_cls_i32_e32 v8, v7
	s_delay_alu instid0(VALU_DEP_2) | instskip(NEXT) | instid1(VALU_DEP_2)
	v_ashrrev_i32_e32 v3, 31, v3
	v_add_nc_u32_e32 v8, -1, v8
	s_delay_alu instid0(VALU_DEP_2) | instskip(NEXT) | instid1(VALU_DEP_1)
	v_add_nc_u32_e32 v3, 32, v3
	v_min_u32_e32 v3, v8, v3
	s_delay_alu instid0(VALU_DEP_1) | instskip(SKIP_1) | instid1(VALU_DEP_2)
	v_lshlrev_b64 v[6:7], v3, v[6:7]
	v_sub_nc_u32_e32 v3, 32, v3
	v_min_u32_e32 v6, 1, v6
	s_delay_alu instid0(VALU_DEP_1) | instskip(NEXT) | instid1(VALU_DEP_1)
	v_or_b32_e32 v6, v7, v6
	v_cvt_f32_i32_e32 v6, v6
	s_delay_alu instid0(VALU_DEP_1)
	v_ldexp_f32 v3, v6, v3
	s_branch .LBB66_150
.LBB66_147:
	s_mov_b32 s0, -1
                                        ; implicit-def: $vgpr3
	s_branch .LBB66_156
.LBB66_148:
	s_mov_b32 s0, -1
                                        ; implicit-def: $vgpr3
	s_branch .LBB66_153
.LBB66_149:
	s_mov_b32 s0, -1
                                        ; implicit-def: $vgpr3
.LBB66_150:
	s_delay_alu instid0(SALU_CYCLE_1)
	s_and_not1_b32 vcc_lo, exec_lo, s0
	s_cbranch_vccnz .LBB66_152
; %bb.151:
	global_load_b32 v3, v[0:1], off
	s_waitcnt vmcnt(0)
	v_cvt_f32_i32_e32 v3, v3
.LBB66_152:
	s_mov_b32 s0, 0
.LBB66_153:
	s_delay_alu instid0(SALU_CYCLE_1)
	s_and_not1_b32 vcc_lo, exec_lo, s0
	s_cbranch_vccnz .LBB66_155
; %bb.154:
	global_load_i16 v3, v[0:1], off
	s_waitcnt vmcnt(0)
	v_cvt_f32_i32_e32 v3, v3
.LBB66_155:
	s_mov_b32 s0, 0
.LBB66_156:
	s_delay_alu instid0(SALU_CYCLE_1)
	s_and_not1_b32 vcc_lo, exec_lo, s0
	s_cbranch_vccnz .LBB66_162
; %bb.157:
	v_cmp_lt_i16_e32 vcc_lo, 0, v2
	s_mov_b32 s0, 0
	s_cbranch_vccz .LBB66_159
; %bb.158:
	global_load_i8 v2, v[0:1], off
	s_waitcnt vmcnt(0)
	v_cvt_f32_i32_e32 v3, v2
	s_branch .LBB66_160
.LBB66_159:
	s_mov_b32 s0, -1
                                        ; implicit-def: $vgpr3
.LBB66_160:
	s_delay_alu instid0(SALU_CYCLE_1)
	s_and_not1_b32 vcc_lo, exec_lo, s0
	s_cbranch_vccnz .LBB66_162
; %bb.161:
	global_load_u8 v0, v[0:1], off
	s_waitcnt vmcnt(0)
	v_cvt_f32_ubyte0_e32 v3, v0
.LBB66_162:
	s_branch .LBB66_11
.LBB66_163:
	s_mov_b32 s0, 0
	s_mov_b32 s15, 0
	s_branch .LBB66_391
.LBB66_164:
	s_mov_b32 s15, -1
.LBB66_165:
	s_mov_b32 s0, 0
                                        ; implicit-def: $vgpr6
.LBB66_166:
	s_and_b32 vcc_lo, exec_lo, s1
	s_cbranch_vccz .LBB66_281
; %bb.167:
	v_cmp_eq_u16_e32 vcc_lo, 44, v2
	s_cbranch_vccz .LBB66_280
; %bb.168:
	global_load_u8 v6, v[0:1], off
	s_mov_b32 s15, 0
	s_mov_b32 s0, -1
	s_waitcnt vmcnt(0)
	v_lshlrev_b32_e32 v7, 23, v6
	v_cmp_ne_u32_e32 vcc_lo, 0xff, v6
	s_delay_alu instid0(VALU_DEP_2) | instskip(SKIP_1) | instid1(VALU_DEP_2)
	v_cndmask_b32_e32 v7, 0x7f800001, v7, vcc_lo
	v_cmp_ne_u32_e32 vcc_lo, 0, v6
	v_cndmask_b32_e32 v6, 0x400000, v7, vcc_lo
	s_branch .LBB66_281
.LBB66_169:
	s_mov_b32 s13, -1
	s_mov_b32 s0, 0
	s_mov_b32 s1, 0
.LBB66_170:
	s_and_b32 vcc_lo, exec_lo, s13
	s_cbranch_vccz .LBB66_175
; %bb.171:
	v_cmp_eq_u16_e32 vcc_lo, 44, v6
	s_mov_b32 s0, -1
	s_cbranch_vccz .LBB66_175
; %bb.172:
	v_bfe_u32 v7, v0, 23, 8
	v_mov_b32_e32 v1, 0xff
	s_mov_b32 s1, exec_lo
	s_delay_alu instid0(VALU_DEP_2)
	v_cmpx_ne_u32_e32 0xff, v7
; %bb.173:
	v_and_b32_e32 v1, 0x400000, v0
	v_and_or_b32 v7, 0x3fffff, v0, v7
	s_delay_alu instid0(VALU_DEP_2) | instskip(NEXT) | instid1(VALU_DEP_2)
	v_cmp_ne_u32_e32 vcc_lo, 0, v1
	v_cmp_ne_u32_e64 s0, 0, v7
	v_lshrrev_b32_e32 v1, 23, v0
	s_delay_alu instid0(VALU_DEP_2) | instskip(NEXT) | instid1(SALU_CYCLE_1)
	s_and_b32 s0, vcc_lo, s0
	v_cndmask_b32_e64 v7, 0, 1, s0
	s_delay_alu instid0(VALU_DEP_1)
	v_add_nc_u32_e32 v1, v1, v7
; %bb.174:
	s_or_b32 exec_lo, exec_lo, s1
	s_mov_b32 s1, -1
	s_mov_b32 s0, 0
	global_store_b8 v[2:3], v1, off
.LBB66_175:
	s_mov_b32 s13, 0
.LBB66_176:
	s_delay_alu instid0(SALU_CYCLE_1)
	s_and_b32 vcc_lo, exec_lo, s13
	s_cbranch_vccz .LBB66_179
; %bb.177:
	v_cmp_eq_u16_e32 vcc_lo, 29, v6
	s_mov_b32 s0, -1
	s_cbranch_vccz .LBB66_179
; %bb.178:
	v_trunc_f32_e32 v1, v0
	s_mov_b32 s1, -1
	s_mov_b32 s0, 0
	s_mov_b32 s13, 0
	s_delay_alu instid0(VALU_DEP_1) | instskip(NEXT) | instid1(VALU_DEP_1)
	v_mul_f32_e32 v7, 0x2f800000, v1
	v_floor_f32_e32 v7, v7
	s_delay_alu instid0(VALU_DEP_1) | instskip(SKIP_1) | instid1(VALU_DEP_2)
	v_fmamk_f32 v1, v7, 0xcf800000, v1
	v_cvt_u32_f32_e32 v8, v7
	v_cvt_u32_f32_e32 v7, v1
	global_store_b64 v[2:3], v[7:8], off
	s_branch .LBB66_180
.LBB66_179:
	s_mov_b32 s13, 0
.LBB66_180:
	s_delay_alu instid0(SALU_CYCLE_1)
	s_and_b32 vcc_lo, exec_lo, s13
	s_cbranch_vccz .LBB66_196
; %bb.181:
	v_cmp_gt_i16_e32 vcc_lo, 27, v6
	s_mov_b32 s1, -1
	s_cbranch_vccnz .LBB66_187
; %bb.182:
	v_cmp_lt_i16_e32 vcc_lo, 27, v6
	s_cbranch_vccz .LBB66_184
; %bb.183:
	v_cvt_u32_f32_e32 v1, v0
	s_mov_b32 s1, 0
	global_store_b32 v[2:3], v1, off
.LBB66_184:
	s_and_not1_b32 vcc_lo, exec_lo, s1
	s_cbranch_vccnz .LBB66_186
; %bb.185:
	v_cvt_u32_f32_e32 v1, v0
	global_store_b16 v[2:3], v1, off
.LBB66_186:
	s_mov_b32 s1, 0
.LBB66_187:
	s_delay_alu instid0(SALU_CYCLE_1)
	s_and_not1_b32 vcc_lo, exec_lo, s1
	s_cbranch_vccnz .LBB66_195
; %bb.188:
	v_and_b32_e32 v1, 0x7fffffff, v0
	v_mov_b32_e32 v7, 0x80
	s_mov_b32 s1, exec_lo
	s_delay_alu instid0(VALU_DEP_2)
	v_cmpx_gt_u32_e32 0x43800000, v1
	s_cbranch_execz .LBB66_194
; %bb.189:
	v_cmp_lt_u32_e32 vcc_lo, 0x3bffffff, v1
	s_mov_b32 s13, 0
                                        ; implicit-def: $vgpr1
	s_and_saveexec_b32 s19, vcc_lo
	s_delay_alu instid0(SALU_CYCLE_1)
	s_xor_b32 s19, exec_lo, s19
	s_cbranch_execz .LBB66_419
; %bb.190:
	v_bfe_u32 v1, v0, 20, 1
	s_mov_b32 s13, exec_lo
	s_delay_alu instid0(VALU_DEP_1) | instskip(NEXT) | instid1(VALU_DEP_1)
	v_add3_u32 v1, v0, v1, 0x487ffff
	v_lshrrev_b32_e32 v1, 20, v1
	s_or_saveexec_b32 s19, s19
                                        ; implicit-def: $sgpr20
	s_delay_alu instid0(SALU_CYCLE_1)
	s_xor_b32 exec_lo, exec_lo, s19
	s_cbranch_execnz .LBB66_420
.LBB66_191:
	s_or_b32 exec_lo, exec_lo, s19
	v_mov_b32_e32 v7, s20
	s_and_saveexec_b32 s19, s13
.LBB66_192:
	v_lshrrev_b32_e32 v7, 24, v0
	s_delay_alu instid0(VALU_DEP_1)
	v_and_or_b32 v7, 0x80, v7, v1
.LBB66_193:
	s_or_b32 exec_lo, exec_lo, s19
.LBB66_194:
	s_delay_alu instid0(SALU_CYCLE_1)
	s_or_b32 exec_lo, exec_lo, s1
	global_store_b8 v[2:3], v7, off
.LBB66_195:
	s_mov_b32 s1, -1
.LBB66_196:
	s_mov_b32 s13, 0
.LBB66_197:
	s_delay_alu instid0(SALU_CYCLE_1)
	s_and_b32 vcc_lo, exec_lo, s13
	s_cbranch_vccz .LBB66_238
; %bb.198:
	v_cmp_lt_i16_e32 vcc_lo, 22, v6
	s_mov_b32 s13, -1
	s_cbranch_vccz .LBB66_230
; %bb.199:
	v_cmp_gt_i16_e32 vcc_lo, 24, v6
	s_mov_b32 s1, -1
	s_cbranch_vccnz .LBB66_219
; %bb.200:
	v_cmp_lt_i16_e32 vcc_lo, 24, v6
	s_cbranch_vccz .LBB66_208
; %bb.201:
	v_and_b32_e32 v1, 0x7fffffff, v0
	v_mov_b32_e32 v7, 0x80
	s_mov_b32 s1, exec_lo
	s_delay_alu instid0(VALU_DEP_2)
	v_cmpx_gt_u32_e32 0x47800000, v1
	s_cbranch_execz .LBB66_207
; %bb.202:
	v_cmp_lt_u32_e32 vcc_lo, 0x37ffffff, v1
	s_mov_b32 s13, 0
                                        ; implicit-def: $vgpr1
	s_and_saveexec_b32 s19, vcc_lo
	s_delay_alu instid0(SALU_CYCLE_1)
	s_xor_b32 s19, exec_lo, s19
	s_cbranch_execz .LBB66_538
; %bb.203:
	v_bfe_u32 v1, v0, 21, 1
	s_mov_b32 s13, exec_lo
	s_delay_alu instid0(VALU_DEP_1) | instskip(NEXT) | instid1(VALU_DEP_1)
	v_add3_u32 v1, v0, v1, 0x88fffff
	v_lshrrev_b32_e32 v1, 21, v1
	s_or_saveexec_b32 s19, s19
                                        ; implicit-def: $sgpr20
	s_delay_alu instid0(SALU_CYCLE_1)
	s_xor_b32 exec_lo, exec_lo, s19
	s_cbranch_execnz .LBB66_539
.LBB66_204:
	s_or_b32 exec_lo, exec_lo, s19
	v_mov_b32_e32 v7, s20
	s_and_saveexec_b32 s19, s13
.LBB66_205:
	v_lshrrev_b32_e32 v7, 24, v0
	s_delay_alu instid0(VALU_DEP_1)
	v_and_or_b32 v7, 0x80, v7, v1
.LBB66_206:
	s_or_b32 exec_lo, exec_lo, s19
.LBB66_207:
	s_delay_alu instid0(SALU_CYCLE_1)
	s_or_b32 exec_lo, exec_lo, s1
	s_mov_b32 s1, 0
	global_store_b8 v[2:3], v7, off
.LBB66_208:
	s_and_b32 vcc_lo, exec_lo, s1
	s_cbranch_vccz .LBB66_218
; %bb.209:
	v_and_b32_e32 v7, 0x7fffffff, v0
	s_mov_b32 s1, exec_lo
                                        ; implicit-def: $vgpr1
	s_delay_alu instid0(VALU_DEP_1)
	v_cmpx_gt_u32_e32 0x43f00000, v7
	s_xor_b32 s1, exec_lo, s1
	s_cbranch_execz .LBB66_215
; %bb.210:
	s_mov_b32 s13, exec_lo
                                        ; implicit-def: $vgpr1
	v_cmpx_lt_u32_e32 0x3c7fffff, v7
	s_xor_b32 s13, exec_lo, s13
; %bb.211:
	v_bfe_u32 v1, v0, 20, 1
	s_delay_alu instid0(VALU_DEP_1) | instskip(NEXT) | instid1(VALU_DEP_1)
	v_add3_u32 v1, v0, v1, 0x407ffff
	v_and_b32_e32 v7, 0xff00000, v1
	v_lshrrev_b32_e32 v1, 20, v1
	s_delay_alu instid0(VALU_DEP_2) | instskip(NEXT) | instid1(VALU_DEP_2)
	v_cmp_ne_u32_e32 vcc_lo, 0x7f00000, v7
	v_cndmask_b32_e32 v1, 0x7e, v1, vcc_lo
; %bb.212:
	s_and_not1_saveexec_b32 s13, s13
; %bb.213:
	v_add_f32_e64 v1, 0x46800000, |v0|
; %bb.214:
	s_or_b32 exec_lo, exec_lo, s13
                                        ; implicit-def: $vgpr7
.LBB66_215:
	s_and_not1_saveexec_b32 s1, s1
; %bb.216:
	v_mov_b32_e32 v1, 0x7f
	v_cmp_lt_u32_e32 vcc_lo, 0x7f800000, v7
	s_delay_alu instid0(VALU_DEP_2)
	v_cndmask_b32_e32 v1, 0x7e, v1, vcc_lo
; %bb.217:
	s_or_b32 exec_lo, exec_lo, s1
	v_lshrrev_b32_e32 v7, 24, v0
	s_delay_alu instid0(VALU_DEP_1)
	v_and_or_b32 v1, 0x80, v7, v1
	global_store_b8 v[2:3], v1, off
.LBB66_218:
	s_mov_b32 s1, 0
.LBB66_219:
	s_delay_alu instid0(SALU_CYCLE_1)
	s_and_not1_b32 vcc_lo, exec_lo, s1
	s_cbranch_vccnz .LBB66_229
; %bb.220:
	v_and_b32_e32 v7, 0x7fffffff, v0
	s_mov_b32 s1, exec_lo
                                        ; implicit-def: $vgpr1
	s_delay_alu instid0(VALU_DEP_1)
	v_cmpx_gt_u32_e32 0x47800000, v7
	s_xor_b32 s1, exec_lo, s1
	s_cbranch_execz .LBB66_226
; %bb.221:
	s_mov_b32 s13, exec_lo
                                        ; implicit-def: $vgpr1
	v_cmpx_lt_u32_e32 0x387fffff, v7
	s_xor_b32 s13, exec_lo, s13
; %bb.222:
	v_bfe_u32 v1, v0, 21, 1
	s_delay_alu instid0(VALU_DEP_1) | instskip(NEXT) | instid1(VALU_DEP_1)
	v_add3_u32 v1, v0, v1, 0x80fffff
	v_lshrrev_b32_e32 v1, 21, v1
; %bb.223:
	s_and_not1_saveexec_b32 s13, s13
; %bb.224:
	v_add_f32_e64 v1, 0x43000000, |v0|
; %bb.225:
	s_or_b32 exec_lo, exec_lo, s13
                                        ; implicit-def: $vgpr7
.LBB66_226:
	s_and_not1_saveexec_b32 s1, s1
; %bb.227:
	v_mov_b32_e32 v1, 0x7f
	v_cmp_lt_u32_e32 vcc_lo, 0x7f800000, v7
	s_delay_alu instid0(VALU_DEP_2)
	v_cndmask_b32_e32 v1, 0x7c, v1, vcc_lo
; %bb.228:
	s_or_b32 exec_lo, exec_lo, s1
	v_lshrrev_b32_e32 v7, 24, v0
	s_delay_alu instid0(VALU_DEP_1)
	v_and_or_b32 v1, 0x80, v7, v1
	global_store_b8 v[2:3], v1, off
.LBB66_229:
	s_mov_b32 s13, 0
	s_mov_b32 s1, -1
.LBB66_230:
	s_and_not1_b32 vcc_lo, exec_lo, s13
	s_cbranch_vccnz .LBB66_238
; %bb.231:
	v_cmp_lt_i16_e32 vcc_lo, 14, v6
	s_mov_b32 s13, -1
	s_cbranch_vccz .LBB66_235
; %bb.232:
	v_cmp_eq_u16_e32 vcc_lo, 15, v6
	s_mov_b32 s0, -1
	s_cbranch_vccz .LBB66_234
; %bb.233:
	v_bfe_u32 v1, v0, 16, 1
	v_cmp_o_f32_e32 vcc_lo, v0, v0
	s_mov_b32 s1, -1
	s_mov_b32 s0, 0
	s_delay_alu instid0(VALU_DEP_2) | instskip(NEXT) | instid1(VALU_DEP_1)
	v_add3_u32 v1, v0, v1, 0x7fff
	v_lshrrev_b32_e32 v1, 16, v1
	s_delay_alu instid0(VALU_DEP_1)
	v_cndmask_b32_e32 v1, 0x7fc0, v1, vcc_lo
	global_store_b16 v[2:3], v1, off
.LBB66_234:
	s_mov_b32 s13, 0
.LBB66_235:
	s_delay_alu instid0(SALU_CYCLE_1)
	s_and_b32 vcc_lo, exec_lo, s13
	s_cbranch_vccz .LBB66_238
; %bb.236:
	v_cmp_eq_u16_e32 vcc_lo, 11, v6
	s_mov_b32 s0, -1
	s_cbranch_vccz .LBB66_238
; %bb.237:
	v_cmp_neq_f32_e32 vcc_lo, 0, v0
	s_mov_b32 s0, 0
	s_mov_b32 s1, -1
	v_cndmask_b32_e64 v1, 0, 1, vcc_lo
	global_store_b8 v[2:3], v1, off
.LBB66_238:
	s_mov_b32 s13, 0
.LBB66_239:
	s_delay_alu instid0(SALU_CYCLE_1)
	s_and_b32 vcc_lo, exec_lo, s13
	s_cbranch_vccz .LBB66_278
; %bb.240:
	v_cmp_gt_i16_e32 vcc_lo, 5, v6
	s_mov_b32 s1, -1
	s_cbranch_vccnz .LBB66_261
; %bb.241:
	v_cmp_gt_i16_e32 vcc_lo, 8, v6
	s_cbranch_vccnz .LBB66_251
; %bb.242:
	v_cmp_gt_i16_e32 vcc_lo, 9, v6
	s_cbranch_vccnz .LBB66_248
; %bb.243:
	v_cmp_lt_i16_e32 vcc_lo, 9, v6
	s_cbranch_vccz .LBB66_245
; %bb.244:
	v_cvt_f64_f32_e32 v[11:12], v0
	v_mov_b32_e32 v13, 0
	s_mov_b32 s1, 0
	s_delay_alu instid0(VALU_DEP_1)
	v_mov_b32_e32 v14, v13
	global_store_b128 v[2:3], v[11:14], off
.LBB66_245:
	s_and_not1_b32 vcc_lo, exec_lo, s1
	s_cbranch_vccnz .LBB66_247
; %bb.246:
	v_mov_b32_e32 v1, 0
	global_store_b64 v[2:3], v[0:1], off
.LBB66_247:
	s_mov_b32 s1, 0
.LBB66_248:
	s_delay_alu instid0(SALU_CYCLE_1)
	s_and_not1_b32 vcc_lo, exec_lo, s1
	s_cbranch_vccnz .LBB66_250
; %bb.249:
	v_cvt_f16_f32_e32 v1, v0
	s_delay_alu instid0(VALU_DEP_1)
	v_and_b32_e32 v1, 0xffff, v1
	global_store_b32 v[2:3], v1, off
.LBB66_250:
	s_mov_b32 s1, 0
.LBB66_251:
	s_delay_alu instid0(SALU_CYCLE_1)
	s_and_not1_b32 vcc_lo, exec_lo, s1
	s_cbranch_vccnz .LBB66_260
; %bb.252:
	v_cmp_gt_i16_e32 vcc_lo, 6, v6
	s_mov_b32 s1, -1
	s_cbranch_vccnz .LBB66_258
; %bb.253:
	v_cmp_lt_i16_e32 vcc_lo, 6, v6
	s_cbranch_vccz .LBB66_255
; %bb.254:
	v_cvt_f64_f32_e32 v[7:8], v0
	s_mov_b32 s1, 0
	global_store_b64 v[2:3], v[7:8], off
.LBB66_255:
	s_and_not1_b32 vcc_lo, exec_lo, s1
	s_cbranch_vccnz .LBB66_257
; %bb.256:
	global_store_b32 v[2:3], v0, off
.LBB66_257:
	s_mov_b32 s1, 0
.LBB66_258:
	s_delay_alu instid0(SALU_CYCLE_1)
	s_and_not1_b32 vcc_lo, exec_lo, s1
	s_cbranch_vccnz .LBB66_260
; %bb.259:
	v_cvt_f16_f32_e32 v1, v0
	global_store_b16 v[2:3], v1, off
.LBB66_260:
	s_mov_b32 s1, 0
.LBB66_261:
	s_delay_alu instid0(SALU_CYCLE_1)
	s_and_not1_b32 vcc_lo, exec_lo, s1
	s_cbranch_vccnz .LBB66_277
; %bb.262:
	v_cmp_gt_i16_e32 vcc_lo, 2, v6
	s_mov_b32 s1, -1
	s_cbranch_vccnz .LBB66_272
; %bb.263:
	v_cmp_gt_i16_e32 vcc_lo, 3, v6
	s_cbranch_vccnz .LBB66_269
; %bb.264:
	v_cmp_lt_i16_e32 vcc_lo, 3, v6
	s_cbranch_vccz .LBB66_266
; %bb.265:
	v_trunc_f32_e32 v1, v0
	s_mov_b32 s1, 0
	s_delay_alu instid0(VALU_DEP_1) | instskip(NEXT) | instid1(VALU_DEP_1)
	v_mul_f32_e64 v7, 0x2f800000, |v1|
	v_floor_f32_e32 v7, v7
	s_delay_alu instid0(VALU_DEP_1) | instskip(SKIP_2) | instid1(VALU_DEP_3)
	v_fma_f32 v8, 0xcf800000, v7, |v1|
	v_ashrrev_i32_e32 v1, 31, v1
	v_cvt_u32_f32_e32 v7, v7
	v_cvt_u32_f32_e32 v8, v8
	s_delay_alu instid0(VALU_DEP_2) | instskip(NEXT) | instid1(VALU_DEP_2)
	v_xor_b32_e32 v11, v7, v1
	v_xor_b32_e32 v8, v8, v1
	s_delay_alu instid0(VALU_DEP_1) | instskip(NEXT) | instid1(VALU_DEP_3)
	v_sub_co_u32 v7, vcc_lo, v8, v1
	v_sub_co_ci_u32_e32 v8, vcc_lo, v11, v1, vcc_lo
	global_store_b64 v[2:3], v[7:8], off
.LBB66_266:
	s_and_not1_b32 vcc_lo, exec_lo, s1
	s_cbranch_vccnz .LBB66_268
; %bb.267:
	v_cvt_i32_f32_e32 v1, v0
	global_store_b32 v[2:3], v1, off
.LBB66_268:
	s_mov_b32 s1, 0
.LBB66_269:
	s_delay_alu instid0(SALU_CYCLE_1)
	s_and_not1_b32 vcc_lo, exec_lo, s1
	s_cbranch_vccnz .LBB66_271
; %bb.270:
	v_cvt_i32_f32_e32 v1, v0
	global_store_b16 v[2:3], v1, off
.LBB66_271:
	s_mov_b32 s1, 0
.LBB66_272:
	s_delay_alu instid0(SALU_CYCLE_1)
	s_and_not1_b32 vcc_lo, exec_lo, s1
	s_cbranch_vccnz .LBB66_277
; %bb.273:
	v_cmp_lt_i16_e32 vcc_lo, 0, v6
	s_mov_b32 s1, -1
	s_cbranch_vccz .LBB66_275
; %bb.274:
	v_cvt_i32_f32_e32 v1, v0
	s_mov_b32 s1, 0
	global_store_b8 v[2:3], v1, off
.LBB66_275:
	s_and_not1_b32 vcc_lo, exec_lo, s1
	s_cbranch_vccnz .LBB66_277
; %bb.276:
	v_trunc_f32_e32 v0, v0
	s_delay_alu instid0(VALU_DEP_1) | instskip(NEXT) | instid1(VALU_DEP_1)
	v_mul_f32_e64 v1, 0x2f800000, |v0|
	v_floor_f32_e32 v1, v1
	s_delay_alu instid0(VALU_DEP_1) | instskip(SKIP_1) | instid1(VALU_DEP_2)
	v_fma_f32 v1, 0xcf800000, v1, |v0|
	v_ashrrev_i32_e32 v0, 31, v0
	v_cvt_u32_f32_e32 v1, v1
	s_delay_alu instid0(VALU_DEP_1) | instskip(NEXT) | instid1(VALU_DEP_1)
	v_xor_b32_e32 v1, v1, v0
	v_sub_nc_u32_e32 v0, v1, v0
	global_store_b8 v[2:3], v0, off
.LBB66_277:
	s_mov_b32 s1, -1
.LBB66_278:
	s_delay_alu instid0(SALU_CYCLE_1)
	s_and_not1_b32 vcc_lo, exec_lo, s1
	s_cbranch_vccnz .LBB66_391
; %bb.279:
	v_add_nc_u32_e32 v10, 0x80, v10
	s_mov_b32 s1, -1
	s_branch .LBB66_392
.LBB66_280:
	s_mov_b32 s15, -1
                                        ; implicit-def: $vgpr6
.LBB66_281:
	s_mov_b32 s1, 0
.LBB66_282:
	s_delay_alu instid0(SALU_CYCLE_1)
	s_and_b32 vcc_lo, exec_lo, s1
	s_cbranch_vccz .LBB66_286
; %bb.283:
	v_cmp_eq_u16_e32 vcc_lo, 29, v2
	s_cbranch_vccz .LBB66_285
; %bb.284:
	global_load_b64 v[6:7], v[0:1], off
	s_mov_b32 s0, -1
	s_mov_b32 s15, 0
	s_mov_b32 s1, 0
	s_waitcnt vmcnt(0)
	v_clz_i32_u32_e32 v8, v7
	s_delay_alu instid0(VALU_DEP_1) | instskip(NEXT) | instid1(VALU_DEP_1)
	v_min_u32_e32 v8, 32, v8
	v_lshlrev_b64 v[6:7], v8, v[6:7]
	s_delay_alu instid0(VALU_DEP_1) | instskip(NEXT) | instid1(VALU_DEP_1)
	v_min_u32_e32 v6, 1, v6
	v_or_b32_e32 v6, v7, v6
	v_sub_nc_u32_e32 v7, 32, v8
	s_delay_alu instid0(VALU_DEP_2) | instskip(NEXT) | instid1(VALU_DEP_1)
	v_cvt_f32_u32_e32 v6, v6
	v_ldexp_f32 v6, v6, v7
	s_branch .LBB66_287
.LBB66_285:
	s_mov_b32 s15, -1
                                        ; implicit-def: $vgpr6
.LBB66_286:
	s_mov_b32 s1, 0
.LBB66_287:
	s_delay_alu instid0(SALU_CYCLE_1)
	s_and_b32 vcc_lo, exec_lo, s1
	s_cbranch_vccz .LBB66_305
; %bb.288:
	v_cmp_gt_i16_e32 vcc_lo, 27, v2
	s_cbranch_vccnz .LBB66_291
; %bb.289:
	v_cmp_lt_i16_e32 vcc_lo, 27, v2
	s_cbranch_vccz .LBB66_292
; %bb.290:
	global_load_b32 v6, v[0:1], off
	s_mov_b32 s0, 0
	s_waitcnt vmcnt(0)
	v_cvt_f32_u32_e32 v6, v6
	s_branch .LBB66_293
.LBB66_291:
	s_mov_b32 s0, -1
                                        ; implicit-def: $vgpr6
	s_branch .LBB66_296
.LBB66_292:
	s_mov_b32 s0, -1
                                        ; implicit-def: $vgpr6
.LBB66_293:
	s_delay_alu instid0(SALU_CYCLE_1)
	s_and_not1_b32 vcc_lo, exec_lo, s0
	s_cbranch_vccnz .LBB66_295
; %bb.294:
	global_load_u16 v6, v[0:1], off
	s_waitcnt vmcnt(0)
	v_cvt_f32_u32_e32 v6, v6
.LBB66_295:
	s_mov_b32 s0, 0
.LBB66_296:
	s_delay_alu instid0(SALU_CYCLE_1)
	s_and_not1_b32 vcc_lo, exec_lo, s0
	s_cbranch_vccnz .LBB66_304
; %bb.297:
	global_load_u8 v7, v[0:1], off
	s_mov_b32 s0, 0
	s_mov_b32 s13, exec_lo
                                        ; implicit-def: $sgpr1
	s_waitcnt vmcnt(0)
	v_cmpx_lt_i16_e32 0x7f, v7
	s_xor_b32 s13, exec_lo, s13
	s_cbranch_execz .LBB66_318
; %bb.298:
	s_mov_b32 s0, -1
	s_mov_b32 s19, exec_lo
                                        ; implicit-def: $sgpr1
	v_cmpx_eq_u16_e32 0x80, v7
; %bb.299:
	s_mov_b32 s1, 0x7f800001
	s_xor_b32 s0, exec_lo, -1
; %bb.300:
	s_or_b32 exec_lo, exec_lo, s19
	s_delay_alu instid0(SALU_CYCLE_1)
	s_and_b32 s0, s0, exec_lo
	s_or_saveexec_b32 s13, s13
	v_mov_b32_e32 v6, s1
	s_xor_b32 exec_lo, exec_lo, s13
	s_cbranch_execnz .LBB66_319
.LBB66_301:
	s_or_b32 exec_lo, exec_lo, s13
	s_and_saveexec_b32 s1, s0
	s_cbranch_execz .LBB66_303
.LBB66_302:
	v_and_b32_e32 v6, 0xffff, v7
	s_delay_alu instid0(VALU_DEP_1) | instskip(NEXT) | instid1(VALU_DEP_1)
	v_and_b32_e32 v8, 7, v6
	v_clz_i32_u32_e32 v11, v8
	s_delay_alu instid0(VALU_DEP_1) | instskip(NEXT) | instid1(VALU_DEP_1)
	v_min_u32_e32 v11, 32, v11
	v_subrev_nc_u32_e32 v12, 28, v11
	v_sub_nc_u32_e32 v11, 29, v11
	s_delay_alu instid0(VALU_DEP_2) | instskip(SKIP_1) | instid1(VALU_DEP_2)
	v_lshlrev_b32_e32 v12, v12, v6
	v_bfe_u32 v6, v6, 3, 4
	v_and_b32_e32 v12, 7, v12
	s_delay_alu instid0(VALU_DEP_2) | instskip(NEXT) | instid1(VALU_DEP_2)
	v_cmp_eq_u32_e32 vcc_lo, 0, v6
	v_dual_cndmask_b32 v8, v8, v12 :: v_dual_lshlrev_b32 v7, 24, v7
	v_cndmask_b32_e32 v6, v6, v11, vcc_lo
	s_delay_alu instid0(VALU_DEP_2) | instskip(NEXT) | instid1(VALU_DEP_3)
	v_and_b32_e32 v7, 0x80000000, v7
	v_lshlrev_b32_e32 v8, 20, v8
	s_delay_alu instid0(VALU_DEP_3) | instskip(NEXT) | instid1(VALU_DEP_1)
	v_lshl_add_u32 v6, v6, 23, 0x3b800000
	v_or3_b32 v6, v7, v6, v8
.LBB66_303:
	s_or_b32 exec_lo, exec_lo, s1
.LBB66_304:
	s_mov_b32 s0, -1
.LBB66_305:
	s_mov_b32 s1, 0
.LBB66_306:
	s_delay_alu instid0(SALU_CYCLE_1)
	s_and_b32 vcc_lo, exec_lo, s1
	s_cbranch_vccz .LBB66_341
; %bb.307:
	v_cmp_lt_i16_e32 vcc_lo, 22, v2
	s_cbranch_vccz .LBB66_317
; %bb.308:
	v_cmp_gt_i16_e32 vcc_lo, 24, v2
	s_cbranch_vccnz .LBB66_320
; %bb.309:
	v_cmp_lt_i16_e32 vcc_lo, 24, v2
	s_cbranch_vccz .LBB66_321
; %bb.310:
	global_load_u8 v7, v[0:1], off
	s_mov_b32 s0, 0
	s_mov_b32 s13, exec_lo
                                        ; implicit-def: $sgpr1
	s_waitcnt vmcnt(0)
	v_cmpx_lt_i16_e32 0x7f, v7
	s_xor_b32 s13, exec_lo, s13
	s_cbranch_execz .LBB66_333
; %bb.311:
	s_mov_b32 s0, -1
	s_mov_b32 s19, exec_lo
                                        ; implicit-def: $sgpr1
	v_cmpx_eq_u16_e32 0x80, v7
; %bb.312:
	s_mov_b32 s1, 0x7f800001
	s_xor_b32 s0, exec_lo, -1
; %bb.313:
	s_or_b32 exec_lo, exec_lo, s19
	s_delay_alu instid0(SALU_CYCLE_1)
	s_and_b32 s0, s0, exec_lo
	s_or_saveexec_b32 s13, s13
	v_mov_b32_e32 v6, s1
	s_xor_b32 exec_lo, exec_lo, s13
	s_cbranch_execnz .LBB66_334
.LBB66_314:
	s_or_b32 exec_lo, exec_lo, s13
	s_and_saveexec_b32 s1, s0
	s_cbranch_execz .LBB66_316
.LBB66_315:
	v_and_b32_e32 v6, 0xffff, v7
	s_delay_alu instid0(VALU_DEP_1) | instskip(NEXT) | instid1(VALU_DEP_1)
	v_and_b32_e32 v8, 3, v6
	v_clz_i32_u32_e32 v11, v8
	s_delay_alu instid0(VALU_DEP_1) | instskip(NEXT) | instid1(VALU_DEP_1)
	v_min_u32_e32 v11, 32, v11
	v_subrev_nc_u32_e32 v12, 29, v11
	v_sub_nc_u32_e32 v11, 30, v11
	s_delay_alu instid0(VALU_DEP_2) | instskip(SKIP_1) | instid1(VALU_DEP_2)
	v_lshlrev_b32_e32 v12, v12, v6
	v_bfe_u32 v6, v6, 2, 5
	v_and_b32_e32 v12, 3, v12
	s_delay_alu instid0(VALU_DEP_2) | instskip(NEXT) | instid1(VALU_DEP_2)
	v_cmp_eq_u32_e32 vcc_lo, 0, v6
	v_dual_cndmask_b32 v8, v8, v12 :: v_dual_lshlrev_b32 v7, 24, v7
	v_cndmask_b32_e32 v6, v6, v11, vcc_lo
	s_delay_alu instid0(VALU_DEP_2) | instskip(NEXT) | instid1(VALU_DEP_3)
	v_and_b32_e32 v7, 0x80000000, v7
	v_lshlrev_b32_e32 v8, 21, v8
	s_delay_alu instid0(VALU_DEP_3) | instskip(NEXT) | instid1(VALU_DEP_1)
	v_lshl_add_u32 v6, v6, 23, 0x37800000
	v_or3_b32 v6, v7, v6, v8
.LBB66_316:
	s_or_b32 exec_lo, exec_lo, s1
	s_mov_b32 s0, 0
	s_branch .LBB66_322
.LBB66_317:
	s_mov_b32 s1, -1
                                        ; implicit-def: $vgpr6
	s_branch .LBB66_328
.LBB66_318:
	s_or_saveexec_b32 s13, s13
	v_mov_b32_e32 v6, s1
	s_xor_b32 exec_lo, exec_lo, s13
	s_cbranch_execz .LBB66_301
.LBB66_319:
	v_cmp_ne_u16_e32 vcc_lo, 0, v7
	v_mov_b32_e32 v6, 0
	s_and_not1_b32 s0, s0, exec_lo
	s_and_b32 s1, vcc_lo, exec_lo
	s_delay_alu instid0(SALU_CYCLE_1)
	s_or_b32 s0, s0, s1
	s_or_b32 exec_lo, exec_lo, s13
	s_and_saveexec_b32 s1, s0
	s_cbranch_execnz .LBB66_302
	s_branch .LBB66_303
.LBB66_320:
	s_mov_b32 s0, -1
                                        ; implicit-def: $vgpr6
	s_branch .LBB66_325
.LBB66_321:
	s_mov_b32 s0, -1
                                        ; implicit-def: $vgpr6
.LBB66_322:
	s_delay_alu instid0(SALU_CYCLE_1)
	s_and_b32 vcc_lo, exec_lo, s0
	s_cbranch_vccz .LBB66_324
; %bb.323:
	global_load_u8 v6, v[0:1], off
	s_waitcnt vmcnt(0)
	v_lshlrev_b32_e32 v6, 24, v6
	s_delay_alu instid0(VALU_DEP_1) | instskip(NEXT) | instid1(VALU_DEP_1)
	v_and_b32_e32 v7, 0x7f000000, v6
	v_clz_i32_u32_e32 v8, v7
	v_add_nc_u32_e32 v12, 0x1000000, v7
	v_cmp_ne_u32_e32 vcc_lo, 0, v7
	s_delay_alu instid0(VALU_DEP_3) | instskip(NEXT) | instid1(VALU_DEP_1)
	v_min_u32_e32 v8, 32, v8
	v_sub_nc_u32_e64 v8, v8, 4 clamp
	s_delay_alu instid0(VALU_DEP_1) | instskip(SKIP_1) | instid1(VALU_DEP_2)
	v_lshlrev_b32_e32 v11, v8, v7
	v_lshlrev_b32_e32 v8, 23, v8
	v_lshrrev_b32_e32 v11, 4, v11
	s_delay_alu instid0(VALU_DEP_1) | instskip(SKIP_1) | instid1(VALU_DEP_2)
	v_sub_nc_u32_e32 v8, v11, v8
	v_ashrrev_i32_e32 v11, 8, v12
	v_add_nc_u32_e32 v8, 0x3c000000, v8
	s_delay_alu instid0(VALU_DEP_1) | instskip(NEXT) | instid1(VALU_DEP_1)
	v_and_or_b32 v8, 0x7f800000, v11, v8
	v_cndmask_b32_e32 v7, 0, v8, vcc_lo
	s_delay_alu instid0(VALU_DEP_1)
	v_and_or_b32 v6, 0x80000000, v6, v7
.LBB66_324:
	s_mov_b32 s0, 0
.LBB66_325:
	s_delay_alu instid0(SALU_CYCLE_1)
	s_and_not1_b32 vcc_lo, exec_lo, s0
	s_cbranch_vccnz .LBB66_327
; %bb.326:
	global_load_u8 v6, v[0:1], off
	s_waitcnt vmcnt(0)
	v_lshlrev_b32_e32 v7, 25, v6
	v_lshlrev_b16 v6, 8, v6
	s_delay_alu instid0(VALU_DEP_2) | instskip(NEXT) | instid1(VALU_DEP_2)
	v_lshrrev_b32_e32 v8, 4, v7
	v_and_or_b32 v11, 0x7f00, v6, 0.5
	v_bfe_i32 v6, v6, 0, 16
	s_delay_alu instid0(VALU_DEP_3) | instskip(NEXT) | instid1(VALU_DEP_1)
	v_or_b32_e32 v8, 0x70000000, v8
	v_dual_add_f32 v11, -0.5, v11 :: v_dual_mul_f32 v8, 0x7800000, v8
	v_cmp_gt_u32_e32 vcc_lo, 0x8000000, v7
	s_delay_alu instid0(VALU_DEP_2) | instskip(NEXT) | instid1(VALU_DEP_1)
	v_cndmask_b32_e32 v7, v8, v11, vcc_lo
	v_and_or_b32 v6, 0x80000000, v6, v7
.LBB66_327:
	s_mov_b32 s1, 0
	s_mov_b32 s0, -1
.LBB66_328:
	s_and_not1_b32 vcc_lo, exec_lo, s1
	s_cbranch_vccnz .LBB66_341
; %bb.329:
	v_cmp_lt_i16_e32 vcc_lo, 14, v2
	s_cbranch_vccz .LBB66_332
; %bb.330:
	v_cmp_eq_u16_e32 vcc_lo, 15, v2
	s_cbranch_vccz .LBB66_335
; %bb.331:
	global_load_u16 v6, v[0:1], off
	s_mov_b32 s0, -1
	s_mov_b32 s15, 0
	s_waitcnt vmcnt(0)
	v_lshlrev_b32_e32 v6, 16, v6
	s_branch .LBB66_336
.LBB66_332:
	s_mov_b32 s1, -1
                                        ; implicit-def: $vgpr6
	s_branch .LBB66_337
.LBB66_333:
	s_or_saveexec_b32 s13, s13
	v_mov_b32_e32 v6, s1
	s_xor_b32 exec_lo, exec_lo, s13
	s_cbranch_execz .LBB66_314
.LBB66_334:
	v_cmp_ne_u16_e32 vcc_lo, 0, v7
	v_mov_b32_e32 v6, 0
	s_and_not1_b32 s0, s0, exec_lo
	s_and_b32 s1, vcc_lo, exec_lo
	s_delay_alu instid0(SALU_CYCLE_1)
	s_or_b32 s0, s0, s1
	s_or_b32 exec_lo, exec_lo, s13
	s_and_saveexec_b32 s1, s0
	s_cbranch_execnz .LBB66_315
	s_branch .LBB66_316
.LBB66_335:
	s_mov_b32 s15, -1
                                        ; implicit-def: $vgpr6
.LBB66_336:
	s_mov_b32 s1, 0
.LBB66_337:
	s_delay_alu instid0(SALU_CYCLE_1)
	s_and_b32 vcc_lo, exec_lo, s1
	s_cbranch_vccz .LBB66_341
; %bb.338:
	v_cmp_eq_u16_e32 vcc_lo, 11, v2
	s_cbranch_vccz .LBB66_340
; %bb.339:
	global_load_u8 v6, v[0:1], off
	s_mov_b32 s15, 0
	s_mov_b32 s0, -1
	s_waitcnt vmcnt(0)
	v_cmp_ne_u16_e32 vcc_lo, 0, v6
	v_cndmask_b32_e64 v6, 0, 1.0, vcc_lo
	s_branch .LBB66_341
.LBB66_340:
	s_mov_b32 s15, -1
                                        ; implicit-def: $vgpr6
.LBB66_341:
	s_branch .LBB66_20
.LBB66_342:
	v_cmp_gt_i16_e32 vcc_lo, 5, v2
	s_cbranch_vccnz .LBB66_347
; %bb.343:
	v_cmp_gt_i16_e32 vcc_lo, 8, v2
	s_cbranch_vccnz .LBB66_348
; %bb.344:
	;; [unrolled: 3-line block ×3, first 2 shown]
	v_cmp_lt_i16_e32 vcc_lo, 9, v2
	s_cbranch_vccz .LBB66_350
; %bb.346:
	global_load_b64 v[6:7], v[0:1], off
	s_mov_b32 s0, 0
	s_waitcnt vmcnt(0)
	v_cvt_f32_f64_e32 v6, v[6:7]
	s_branch .LBB66_351
.LBB66_347:
	s_mov_b32 s0, -1
                                        ; implicit-def: $vgpr6
	s_branch .LBB66_369
.LBB66_348:
	s_mov_b32 s0, -1
                                        ; implicit-def: $vgpr6
	s_branch .LBB66_357
.LBB66_349:
	s_mov_b32 s0, -1
                                        ; implicit-def: $vgpr6
	s_branch .LBB66_354
.LBB66_350:
	s_mov_b32 s0, -1
                                        ; implicit-def: $vgpr6
.LBB66_351:
	s_delay_alu instid0(SALU_CYCLE_1)
	s_and_not1_b32 vcc_lo, exec_lo, s0
	s_cbranch_vccnz .LBB66_353
; %bb.352:
	global_load_b32 v6, v[0:1], off
.LBB66_353:
	s_mov_b32 s0, 0
.LBB66_354:
	s_delay_alu instid0(SALU_CYCLE_1)
	s_and_not1_b32 vcc_lo, exec_lo, s0
	s_cbranch_vccnz .LBB66_356
; %bb.355:
	global_load_b32 v6, v[0:1], off
	s_waitcnt vmcnt(0)
	v_cvt_f32_f16_e32 v6, v6
.LBB66_356:
	s_mov_b32 s0, 0
.LBB66_357:
	s_delay_alu instid0(SALU_CYCLE_1)
	s_and_not1_b32 vcc_lo, exec_lo, s0
	s_cbranch_vccnz .LBB66_368
; %bb.358:
	v_cmp_gt_i16_e32 vcc_lo, 6, v2
	s_cbranch_vccnz .LBB66_361
; %bb.359:
	v_cmp_lt_i16_e32 vcc_lo, 6, v2
	s_cbranch_vccz .LBB66_362
; %bb.360:
	global_load_b64 v[6:7], v[0:1], off
	s_mov_b32 s0, 0
	s_waitcnt vmcnt(0)
	v_cvt_f32_f64_e32 v6, v[6:7]
	s_branch .LBB66_363
.LBB66_361:
	s_mov_b32 s0, -1
                                        ; implicit-def: $vgpr6
	s_branch .LBB66_366
.LBB66_362:
	s_mov_b32 s0, -1
                                        ; implicit-def: $vgpr6
.LBB66_363:
	s_delay_alu instid0(SALU_CYCLE_1)
	s_and_not1_b32 vcc_lo, exec_lo, s0
	s_cbranch_vccnz .LBB66_365
; %bb.364:
	global_load_b32 v6, v[0:1], off
.LBB66_365:
	s_mov_b32 s0, 0
.LBB66_366:
	s_delay_alu instid0(SALU_CYCLE_1)
	s_and_not1_b32 vcc_lo, exec_lo, s0
	s_cbranch_vccnz .LBB66_368
; %bb.367:
	global_load_u16 v6, v[0:1], off
	s_waitcnt vmcnt(0)
	v_cvt_f32_f16_e32 v6, v6
.LBB66_368:
	s_mov_b32 s0, 0
.LBB66_369:
	s_delay_alu instid0(SALU_CYCLE_1)
	s_and_not1_b32 vcc_lo, exec_lo, s0
	s_cbranch_vccnz .LBB66_389
; %bb.370:
	v_cmp_gt_i16_e32 vcc_lo, 2, v2
	s_cbranch_vccnz .LBB66_374
; %bb.371:
	v_cmp_gt_i16_e32 vcc_lo, 3, v2
	s_cbranch_vccnz .LBB66_375
; %bb.372:
	v_cmp_lt_i16_e32 vcc_lo, 3, v2
	s_cbranch_vccz .LBB66_376
; %bb.373:
	global_load_b64 v[6:7], v[0:1], off
	s_mov_b32 s0, 0
	s_waitcnt vmcnt(0)
	v_xor_b32_e32 v8, v6, v7
	v_cls_i32_e32 v11, v7
	s_delay_alu instid0(VALU_DEP_2) | instskip(NEXT) | instid1(VALU_DEP_2)
	v_ashrrev_i32_e32 v8, 31, v8
	v_add_nc_u32_e32 v11, -1, v11
	s_delay_alu instid0(VALU_DEP_2) | instskip(NEXT) | instid1(VALU_DEP_1)
	v_add_nc_u32_e32 v8, 32, v8
	v_min_u32_e32 v8, v11, v8
	s_delay_alu instid0(VALU_DEP_1) | instskip(NEXT) | instid1(VALU_DEP_1)
	v_lshlrev_b64 v[6:7], v8, v[6:7]
	v_min_u32_e32 v6, 1, v6
	s_delay_alu instid0(VALU_DEP_1) | instskip(SKIP_1) | instid1(VALU_DEP_2)
	v_or_b32_e32 v6, v7, v6
	v_sub_nc_u32_e32 v7, 32, v8
	v_cvt_f32_i32_e32 v6, v6
	s_delay_alu instid0(VALU_DEP_1)
	v_ldexp_f32 v6, v6, v7
	s_branch .LBB66_377
.LBB66_374:
	s_mov_b32 s0, -1
                                        ; implicit-def: $vgpr6
	s_branch .LBB66_383
.LBB66_375:
	s_mov_b32 s0, -1
                                        ; implicit-def: $vgpr6
	s_branch .LBB66_380
.LBB66_376:
	s_mov_b32 s0, -1
                                        ; implicit-def: $vgpr6
.LBB66_377:
	s_delay_alu instid0(SALU_CYCLE_1)
	s_and_not1_b32 vcc_lo, exec_lo, s0
	s_cbranch_vccnz .LBB66_379
; %bb.378:
	global_load_b32 v6, v[0:1], off
	s_waitcnt vmcnt(0)
	v_cvt_f32_i32_e32 v6, v6
.LBB66_379:
	s_mov_b32 s0, 0
.LBB66_380:
	s_delay_alu instid0(SALU_CYCLE_1)
	s_and_not1_b32 vcc_lo, exec_lo, s0
	s_cbranch_vccnz .LBB66_382
; %bb.381:
	global_load_i16 v6, v[0:1], off
	s_waitcnt vmcnt(0)
	v_cvt_f32_i32_e32 v6, v6
.LBB66_382:
	s_mov_b32 s0, 0
.LBB66_383:
	s_delay_alu instid0(SALU_CYCLE_1)
	s_and_not1_b32 vcc_lo, exec_lo, s0
	s_cbranch_vccnz .LBB66_389
; %bb.384:
	v_cmp_lt_i16_e32 vcc_lo, 0, v2
	s_mov_b32 s0, 0
	s_cbranch_vccz .LBB66_386
; %bb.385:
	global_load_i8 v2, v[0:1], off
	s_waitcnt vmcnt(0)
	v_cvt_f32_i32_e32 v6, v2
	s_branch .LBB66_387
.LBB66_386:
	s_mov_b32 s0, -1
                                        ; implicit-def: $vgpr6
.LBB66_387:
	s_delay_alu instid0(SALU_CYCLE_1)
	s_and_not1_b32 vcc_lo, exec_lo, s0
	s_cbranch_vccnz .LBB66_389
; %bb.388:
	global_load_u8 v0, v[0:1], off
	s_waitcnt vmcnt(0)
	v_cvt_f32_ubyte0_e32 v6, v0
.LBB66_389:
	s_branch .LBB66_21
.LBB66_390:
	s_mov_b32 s0, 0
.LBB66_391:
	s_mov_b32 s1, 0
                                        ; implicit-def: $vgpr10
.LBB66_392:
	s_and_b32 s13, s0, exec_lo
	s_and_b32 s15, s15, exec_lo
	;; [unrolled: 1-line block ×3, first 2 shown]
	s_or_not1_b32 s1, s1, exec_lo
.LBB66_393:
	s_or_b32 exec_lo, exec_lo, s17
	s_mov_b32 s19, 0
	s_mov_b32 s0, 0
                                        ; implicit-def: $vgpr2
                                        ; implicit-def: $vgpr0_vgpr1
                                        ; implicit-def: $vgpr6
	s_and_saveexec_b32 s17, s1
	s_cbranch_execz .LBB66_1283
; %bb.394:
	s_mov_b32 s23, -1
	s_mov_b32 s18, s16
	s_mov_b32 s20, s15
	;; [unrolled: 1-line block ×3, first 2 shown]
	s_mov_b32 s21, exec_lo
	v_cmpx_gt_i32_e64 s14, v10
	s_cbranch_execz .LBB66_795
; %bb.395:
	v_mul_lo_u32 v0, v10, s9
	v_and_b32_e32 v2, 0xff, v5
	s_delay_alu instid0(VALU_DEP_1) | instskip(NEXT) | instid1(VALU_DEP_3)
	v_cmp_gt_i16_e32 vcc_lo, 11, v2
	v_ashrrev_i32_e32 v1, 31, v0
	v_add_co_u32 v0, s0, s6, v0
	s_delay_alu instid0(VALU_DEP_1)
	v_add_co_ci_u32_e64 v1, s0, s7, v1, s0
	s_cbranch_vccnz .LBB66_402
; %bb.396:
	v_cmp_lt_i16_e32 vcc_lo, 25, v2
	s_cbranch_vccz .LBB66_411
; %bb.397:
	v_cmp_lt_i16_e32 vcc_lo, 28, v2
	s_cbranch_vccz .LBB66_413
	;; [unrolled: 3-line block ×4, first 2 shown]
; %bb.400:
	v_cmp_eq_u16_e32 vcc_lo, 46, v2
	s_mov_b32 s1, 0
	s_cbranch_vccz .LBB66_421
; %bb.401:
	global_load_b32 v3, v[0:1], off
	s_mov_b32 s0, -1
	s_mov_b32 s18, 0
	s_waitcnt vmcnt(0)
	v_lshlrev_b32_e32 v3, 16, v3
	s_branch .LBB66_423
.LBB66_402:
	s_mov_b32 s0, 0
	s_mov_b32 s18, s16
                                        ; implicit-def: $vgpr3
	s_cbranch_execnz .LBB66_489
.LBB66_403:
	s_and_not1_b32 vcc_lo, exec_lo, s0
	s_cbranch_vccnz .LBB66_537
.LBB66_404:
	v_mul_lo_u32 v0, v10, s10
	s_waitcnt vmcnt(0)
	v_and_b32_e32 v2, 0xff, v4
	s_delay_alu instid0(VALU_DEP_1) | instskip(NEXT) | instid1(VALU_DEP_3)
	v_cmp_gt_i16_e32 vcc_lo, 11, v2
	v_ashrrev_i32_e32 v1, 31, v0
	v_add_co_u32 v0, s0, s2, v0
	s_delay_alu instid0(VALU_DEP_1)
	v_add_co_ci_u32_e64 v1, s0, s3, v1, s0
	s_cbranch_vccnz .LBB66_412
; %bb.405:
	v_cmp_lt_i16_e32 vcc_lo, 25, v2
	s_cbranch_vccz .LBB66_414
; %bb.406:
	v_cmp_lt_i16_e32 vcc_lo, 28, v2
	s_cbranch_vccz .LBB66_416
	;; [unrolled: 3-line block ×4, first 2 shown]
; %bb.409:
	v_cmp_eq_u16_e32 vcc_lo, 46, v2
	s_mov_b32 s1, 0
	s_cbranch_vccz .LBB66_540
; %bb.410:
	global_load_b32 v6, v[0:1], off
	s_mov_b32 s0, -1
	s_mov_b32 s20, 0
	s_waitcnt vmcnt(0)
	v_lshlrev_b32_e32 v6, 16, v6
	s_branch .LBB66_542
.LBB66_411:
	s_mov_b32 s1, -1
	s_mov_b32 s0, 0
	s_mov_b32 s18, s16
                                        ; implicit-def: $vgpr3
	s_branch .LBB66_453
.LBB66_412:
	s_mov_b32 s1, -1
	s_mov_b32 s0, 0
	s_mov_b32 s20, s15
                                        ; implicit-def: $vgpr6
	s_branch .LBB66_607
.LBB66_413:
	s_mov_b32 s1, -1
	s_mov_b32 s0, 0
	s_mov_b32 s18, s16
                                        ; implicit-def: $vgpr3
	s_branch .LBB66_434
.LBB66_414:
	s_mov_b32 s1, -1
	s_mov_b32 s0, 0
	s_mov_b32 s20, s15
                                        ; implicit-def: $vgpr6
	s_branch .LBB66_571
.LBB66_415:
	s_mov_b32 s1, -1
	s_mov_b32 s0, 0
	s_mov_b32 s18, s16
                                        ; implicit-def: $vgpr3
	s_branch .LBB66_429
.LBB66_416:
	s_mov_b32 s1, -1
	s_mov_b32 s0, 0
	s_mov_b32 s20, s15
                                        ; implicit-def: $vgpr6
	s_branch .LBB66_552
.LBB66_417:
	s_mov_b32 s1, -1
	s_mov_b32 s0, 0
	s_mov_b32 s18, s16
	s_branch .LBB66_422
.LBB66_418:
	s_mov_b32 s1, -1
	s_mov_b32 s0, 0
	s_mov_b32 s20, s15
                                        ; implicit-def: $vgpr6
	s_branch .LBB66_547
.LBB66_419:
	s_or_saveexec_b32 s19, s19
                                        ; implicit-def: $sgpr20
	s_delay_alu instid0(SALU_CYCLE_1)
	s_xor_b32 exec_lo, exec_lo, s19
	s_cbranch_execz .LBB66_191
.LBB66_420:
	v_add_f32_e64 v1, 0x46000000, |v0|
	s_and_not1_b32 s13, s13, exec_lo
	s_mov_b32 s20, 0
	s_delay_alu instid0(VALU_DEP_1) | instskip(NEXT) | instid1(VALU_DEP_1)
	v_and_b32_e32 v1, 0xff, v1
	v_cmp_ne_u32_e32 vcc_lo, 0, v1
	s_and_b32 s21, vcc_lo, exec_lo
	s_delay_alu instid0(SALU_CYCLE_1)
	s_or_b32 s13, s13, s21
	s_or_b32 exec_lo, exec_lo, s19
	v_mov_b32_e32 v7, s20
	s_and_saveexec_b32 s19, s13
	s_cbranch_execnz .LBB66_192
	s_branch .LBB66_193
.LBB66_421:
	s_mov_b32 s18, -1
	s_mov_b32 s0, 0
.LBB66_422:
                                        ; implicit-def: $vgpr3
.LBB66_423:
	s_and_b32 vcc_lo, exec_lo, s1
	s_cbranch_vccz .LBB66_428
; %bb.424:
	v_cmp_eq_u16_e32 vcc_lo, 44, v2
	s_cbranch_vccz .LBB66_427
; %bb.425:
	global_load_u8 v3, v[0:1], off
	s_mov_b32 s18, 0
	s_mov_b32 s0, -1
	s_waitcnt vmcnt(0)
	v_lshlrev_b32_e32 v6, 23, v3
	v_cmp_ne_u32_e32 vcc_lo, 0xff, v3
	s_delay_alu instid0(VALU_DEP_2) | instskip(SKIP_1) | instid1(VALU_DEP_2)
	v_cndmask_b32_e32 v6, 0x7f800001, v6, vcc_lo
	v_cmp_ne_u32_e32 vcc_lo, 0, v3
	v_cndmask_b32_e32 v3, 0x400000, v6, vcc_lo
	s_branch .LBB66_428
.LBB66_426:
	s_mov_b32 s1, -1
	s_mov_b32 s0, 0
	s_mov_b32 s20, s15
	s_branch .LBB66_541
.LBB66_427:
	s_mov_b32 s18, -1
                                        ; implicit-def: $vgpr3
.LBB66_428:
	s_mov_b32 s1, 0
.LBB66_429:
	s_delay_alu instid0(SALU_CYCLE_1)
	s_and_b32 vcc_lo, exec_lo, s1
	s_cbranch_vccz .LBB66_433
; %bb.430:
	v_cmp_eq_u16_e32 vcc_lo, 29, v2
	s_cbranch_vccz .LBB66_432
; %bb.431:
	global_load_b64 v[6:7], v[0:1], off
	s_mov_b32 s0, -1
	s_mov_b32 s18, 0
	s_mov_b32 s1, 0
	s_waitcnt vmcnt(0)
	v_clz_i32_u32_e32 v3, v7
	s_delay_alu instid0(VALU_DEP_1) | instskip(NEXT) | instid1(VALU_DEP_1)
	v_min_u32_e32 v3, 32, v3
	v_lshlrev_b64 v[6:7], v3, v[6:7]
	v_sub_nc_u32_e32 v3, 32, v3
	s_delay_alu instid0(VALU_DEP_2) | instskip(NEXT) | instid1(VALU_DEP_1)
	v_min_u32_e32 v6, 1, v6
	v_or_b32_e32 v6, v7, v6
	s_delay_alu instid0(VALU_DEP_1) | instskip(NEXT) | instid1(VALU_DEP_1)
	v_cvt_f32_u32_e32 v6, v6
	v_ldexp_f32 v3, v6, v3
	s_branch .LBB66_434
.LBB66_432:
	s_mov_b32 s18, -1
                                        ; implicit-def: $vgpr3
.LBB66_433:
	s_mov_b32 s1, 0
.LBB66_434:
	s_delay_alu instid0(SALU_CYCLE_1)
	s_and_b32 vcc_lo, exec_lo, s1
	s_cbranch_vccz .LBB66_452
; %bb.435:
	v_cmp_gt_i16_e32 vcc_lo, 27, v2
	s_cbranch_vccnz .LBB66_438
; %bb.436:
	v_cmp_lt_i16_e32 vcc_lo, 27, v2
	s_cbranch_vccz .LBB66_439
; %bb.437:
	global_load_b32 v3, v[0:1], off
	s_mov_b32 s0, 0
	s_waitcnt vmcnt(0)
	v_cvt_f32_u32_e32 v3, v3
	s_branch .LBB66_440
.LBB66_438:
	s_mov_b32 s0, -1
                                        ; implicit-def: $vgpr3
	s_branch .LBB66_443
.LBB66_439:
	s_mov_b32 s0, -1
                                        ; implicit-def: $vgpr3
.LBB66_440:
	s_delay_alu instid0(SALU_CYCLE_1)
	s_and_not1_b32 vcc_lo, exec_lo, s0
	s_cbranch_vccnz .LBB66_442
; %bb.441:
	global_load_u16 v3, v[0:1], off
	s_waitcnt vmcnt(0)
	v_cvt_f32_u32_e32 v3, v3
.LBB66_442:
	s_mov_b32 s0, 0
.LBB66_443:
	s_delay_alu instid0(SALU_CYCLE_1)
	s_and_not1_b32 vcc_lo, exec_lo, s0
	s_cbranch_vccnz .LBB66_451
; %bb.444:
	global_load_u8 v6, v[0:1], off
	s_mov_b32 s0, 0
	s_mov_b32 s19, exec_lo
                                        ; implicit-def: $sgpr1
	s_waitcnt vmcnt(0)
	v_cmpx_lt_i16_e32 0x7f, v6
	s_xor_b32 s19, exec_lo, s19
	s_cbranch_execz .LBB66_465
; %bb.445:
	s_mov_b32 s0, -1
	s_mov_b32 s20, exec_lo
                                        ; implicit-def: $sgpr1
	v_cmpx_eq_u16_e32 0x80, v6
; %bb.446:
	s_mov_b32 s1, 0x7f800001
	s_xor_b32 s0, exec_lo, -1
; %bb.447:
	s_or_b32 exec_lo, exec_lo, s20
	s_delay_alu instid0(SALU_CYCLE_1)
	s_and_b32 s0, s0, exec_lo
	s_or_saveexec_b32 s19, s19
	v_mov_b32_e32 v3, s1
	s_xor_b32 exec_lo, exec_lo, s19
	s_cbranch_execnz .LBB66_466
.LBB66_448:
	s_or_b32 exec_lo, exec_lo, s19
	s_and_saveexec_b32 s1, s0
	s_cbranch_execz .LBB66_450
.LBB66_449:
	v_and_b32_e32 v3, 0xffff, v6
	s_delay_alu instid0(VALU_DEP_1) | instskip(NEXT) | instid1(VALU_DEP_1)
	v_and_b32_e32 v7, 7, v3
	v_clz_i32_u32_e32 v8, v7
	s_delay_alu instid0(VALU_DEP_1) | instskip(NEXT) | instid1(VALU_DEP_1)
	v_min_u32_e32 v8, 32, v8
	v_subrev_nc_u32_e32 v11, 28, v8
	v_sub_nc_u32_e32 v8, 29, v8
	s_delay_alu instid0(VALU_DEP_2) | instskip(SKIP_1) | instid1(VALU_DEP_2)
	v_lshlrev_b32_e32 v11, v11, v3
	v_bfe_u32 v3, v3, 3, 4
	v_and_b32_e32 v11, 7, v11
	s_delay_alu instid0(VALU_DEP_2) | instskip(SKIP_1) | instid1(VALU_DEP_1)
	v_cmp_eq_u32_e32 vcc_lo, 0, v3
	v_dual_cndmask_b32 v3, v3, v8 :: v_dual_lshlrev_b32 v6, 24, v6
	v_dual_cndmask_b32 v7, v7, v11 :: v_dual_and_b32 v6, 0x80000000, v6
	s_delay_alu instid0(VALU_DEP_2) | instskip(NEXT) | instid1(VALU_DEP_2)
	v_lshl_add_u32 v3, v3, 23, 0x3b800000
	v_lshlrev_b32_e32 v7, 20, v7
	s_delay_alu instid0(VALU_DEP_1)
	v_or3_b32 v3, v6, v3, v7
.LBB66_450:
	s_or_b32 exec_lo, exec_lo, s1
.LBB66_451:
	s_mov_b32 s0, -1
.LBB66_452:
	s_mov_b32 s1, 0
.LBB66_453:
	s_delay_alu instid0(SALU_CYCLE_1)
	s_and_b32 vcc_lo, exec_lo, s1
	s_cbranch_vccz .LBB66_488
; %bb.454:
	v_cmp_lt_i16_e32 vcc_lo, 22, v2
	s_cbranch_vccz .LBB66_464
; %bb.455:
	v_cmp_gt_i16_e32 vcc_lo, 24, v2
	s_cbranch_vccnz .LBB66_467
; %bb.456:
	v_cmp_lt_i16_e32 vcc_lo, 24, v2
	s_cbranch_vccz .LBB66_468
; %bb.457:
	global_load_u8 v6, v[0:1], off
	s_mov_b32 s0, 0
	s_mov_b32 s19, exec_lo
                                        ; implicit-def: $sgpr1
	s_waitcnt vmcnt(0)
	v_cmpx_lt_i16_e32 0x7f, v6
	s_xor_b32 s19, exec_lo, s19
	s_cbranch_execz .LBB66_480
; %bb.458:
	s_mov_b32 s0, -1
	s_mov_b32 s20, exec_lo
                                        ; implicit-def: $sgpr1
	v_cmpx_eq_u16_e32 0x80, v6
; %bb.459:
	s_mov_b32 s1, 0x7f800001
	s_xor_b32 s0, exec_lo, -1
; %bb.460:
	s_or_b32 exec_lo, exec_lo, s20
	s_delay_alu instid0(SALU_CYCLE_1)
	s_and_b32 s0, s0, exec_lo
	s_or_saveexec_b32 s19, s19
	v_mov_b32_e32 v3, s1
	s_xor_b32 exec_lo, exec_lo, s19
	s_cbranch_execnz .LBB66_481
.LBB66_461:
	s_or_b32 exec_lo, exec_lo, s19
	s_and_saveexec_b32 s1, s0
	s_cbranch_execz .LBB66_463
.LBB66_462:
	v_and_b32_e32 v3, 0xffff, v6
	s_delay_alu instid0(VALU_DEP_1) | instskip(NEXT) | instid1(VALU_DEP_1)
	v_and_b32_e32 v7, 3, v3
	v_clz_i32_u32_e32 v8, v7
	s_delay_alu instid0(VALU_DEP_1) | instskip(NEXT) | instid1(VALU_DEP_1)
	v_min_u32_e32 v8, 32, v8
	v_subrev_nc_u32_e32 v11, 29, v8
	v_sub_nc_u32_e32 v8, 30, v8
	s_delay_alu instid0(VALU_DEP_2) | instskip(SKIP_1) | instid1(VALU_DEP_2)
	v_lshlrev_b32_e32 v11, v11, v3
	v_bfe_u32 v3, v3, 2, 5
	v_and_b32_e32 v11, 3, v11
	s_delay_alu instid0(VALU_DEP_2) | instskip(SKIP_1) | instid1(VALU_DEP_1)
	v_cmp_eq_u32_e32 vcc_lo, 0, v3
	v_dual_cndmask_b32 v3, v3, v8 :: v_dual_lshlrev_b32 v6, 24, v6
	v_dual_cndmask_b32 v7, v7, v11 :: v_dual_and_b32 v6, 0x80000000, v6
	s_delay_alu instid0(VALU_DEP_2) | instskip(NEXT) | instid1(VALU_DEP_2)
	v_lshl_add_u32 v3, v3, 23, 0x37800000
	v_lshlrev_b32_e32 v7, 21, v7
	s_delay_alu instid0(VALU_DEP_1)
	v_or3_b32 v3, v6, v3, v7
.LBB66_463:
	s_or_b32 exec_lo, exec_lo, s1
	s_mov_b32 s0, 0
	s_branch .LBB66_469
.LBB66_464:
	s_mov_b32 s1, -1
                                        ; implicit-def: $vgpr3
	s_branch .LBB66_475
.LBB66_465:
	s_or_saveexec_b32 s19, s19
	v_mov_b32_e32 v3, s1
	s_xor_b32 exec_lo, exec_lo, s19
	s_cbranch_execz .LBB66_448
.LBB66_466:
	v_cmp_ne_u16_e32 vcc_lo, 0, v6
	v_mov_b32_e32 v3, 0
	s_and_not1_b32 s0, s0, exec_lo
	s_and_b32 s1, vcc_lo, exec_lo
	s_delay_alu instid0(SALU_CYCLE_1)
	s_or_b32 s0, s0, s1
	s_or_b32 exec_lo, exec_lo, s19
	s_and_saveexec_b32 s1, s0
	s_cbranch_execnz .LBB66_449
	s_branch .LBB66_450
.LBB66_467:
	s_mov_b32 s0, -1
                                        ; implicit-def: $vgpr3
	s_branch .LBB66_472
.LBB66_468:
	s_mov_b32 s0, -1
                                        ; implicit-def: $vgpr3
.LBB66_469:
	s_delay_alu instid0(SALU_CYCLE_1)
	s_and_b32 vcc_lo, exec_lo, s0
	s_cbranch_vccz .LBB66_471
; %bb.470:
	global_load_u8 v3, v[0:1], off
	s_waitcnt vmcnt(0)
	v_lshlrev_b32_e32 v3, 24, v3
	s_delay_alu instid0(VALU_DEP_1) | instskip(NEXT) | instid1(VALU_DEP_1)
	v_and_b32_e32 v6, 0x7f000000, v3
	v_clz_i32_u32_e32 v7, v6
	v_cmp_ne_u32_e32 vcc_lo, 0, v6
	v_add_nc_u32_e32 v11, 0x1000000, v6
	s_delay_alu instid0(VALU_DEP_3) | instskip(NEXT) | instid1(VALU_DEP_1)
	v_min_u32_e32 v7, 32, v7
	v_sub_nc_u32_e64 v7, v7, 4 clamp
	s_delay_alu instid0(VALU_DEP_1) | instskip(SKIP_1) | instid1(VALU_DEP_2)
	v_lshlrev_b32_e32 v8, v7, v6
	v_lshlrev_b32_e32 v7, 23, v7
	v_lshrrev_b32_e32 v8, 4, v8
	s_delay_alu instid0(VALU_DEP_1) | instskip(SKIP_1) | instid1(VALU_DEP_2)
	v_sub_nc_u32_e32 v7, v8, v7
	v_ashrrev_i32_e32 v8, 8, v11
	v_add_nc_u32_e32 v7, 0x3c000000, v7
	s_delay_alu instid0(VALU_DEP_1) | instskip(NEXT) | instid1(VALU_DEP_1)
	v_and_or_b32 v7, 0x7f800000, v8, v7
	v_cndmask_b32_e32 v6, 0, v7, vcc_lo
	s_delay_alu instid0(VALU_DEP_1)
	v_and_or_b32 v3, 0x80000000, v3, v6
.LBB66_471:
	s_mov_b32 s0, 0
.LBB66_472:
	s_delay_alu instid0(SALU_CYCLE_1)
	s_and_not1_b32 vcc_lo, exec_lo, s0
	s_cbranch_vccnz .LBB66_474
; %bb.473:
	global_load_u8 v3, v[0:1], off
	s_waitcnt vmcnt(0)
	v_lshlrev_b32_e32 v6, 25, v3
	v_lshlrev_b16 v3, 8, v3
	s_delay_alu instid0(VALU_DEP_2) | instskip(NEXT) | instid1(VALU_DEP_2)
	v_lshrrev_b32_e32 v7, 4, v6
	v_and_or_b32 v8, 0x7f00, v3, 0.5
	v_cmp_gt_u32_e32 vcc_lo, 0x8000000, v6
	v_bfe_i32 v3, v3, 0, 16
	s_delay_alu instid0(VALU_DEP_4) | instskip(NEXT) | instid1(VALU_DEP_1)
	v_or_b32_e32 v7, 0x70000000, v7
	v_dual_add_f32 v8, -0.5, v8 :: v_dual_mul_f32 v7, 0x7800000, v7
	s_delay_alu instid0(VALU_DEP_1) | instskip(NEXT) | instid1(VALU_DEP_1)
	v_cndmask_b32_e32 v6, v7, v8, vcc_lo
	v_and_or_b32 v3, 0x80000000, v3, v6
.LBB66_474:
	s_mov_b32 s1, 0
	s_mov_b32 s0, -1
.LBB66_475:
	s_and_not1_b32 vcc_lo, exec_lo, s1
	s_cbranch_vccnz .LBB66_488
; %bb.476:
	v_cmp_lt_i16_e32 vcc_lo, 14, v2
	s_cbranch_vccz .LBB66_479
; %bb.477:
	v_cmp_eq_u16_e32 vcc_lo, 15, v2
	s_cbranch_vccz .LBB66_482
; %bb.478:
	global_load_u16 v3, v[0:1], off
	s_mov_b32 s0, -1
	s_mov_b32 s18, 0
	s_waitcnt vmcnt(0)
	v_lshlrev_b32_e32 v3, 16, v3
	s_branch .LBB66_483
.LBB66_479:
	s_mov_b32 s1, -1
                                        ; implicit-def: $vgpr3
	s_branch .LBB66_484
.LBB66_480:
	s_or_saveexec_b32 s19, s19
	v_mov_b32_e32 v3, s1
	s_xor_b32 exec_lo, exec_lo, s19
	s_cbranch_execz .LBB66_461
.LBB66_481:
	v_cmp_ne_u16_e32 vcc_lo, 0, v6
	v_mov_b32_e32 v3, 0
	s_and_not1_b32 s0, s0, exec_lo
	s_and_b32 s1, vcc_lo, exec_lo
	s_delay_alu instid0(SALU_CYCLE_1)
	s_or_b32 s0, s0, s1
	s_or_b32 exec_lo, exec_lo, s19
	s_and_saveexec_b32 s1, s0
	s_cbranch_execnz .LBB66_462
	s_branch .LBB66_463
.LBB66_482:
	s_mov_b32 s18, -1
                                        ; implicit-def: $vgpr3
.LBB66_483:
	s_mov_b32 s1, 0
.LBB66_484:
	s_delay_alu instid0(SALU_CYCLE_1)
	s_and_b32 vcc_lo, exec_lo, s1
	s_cbranch_vccz .LBB66_488
; %bb.485:
	v_cmp_eq_u16_e32 vcc_lo, 11, v2
	s_cbranch_vccz .LBB66_487
; %bb.486:
	global_load_u8 v3, v[0:1], off
	s_mov_b32 s18, 0
	s_mov_b32 s0, -1
	s_waitcnt vmcnt(0)
	v_cmp_ne_u16_e32 vcc_lo, 0, v3
	v_cndmask_b32_e64 v3, 0, 1.0, vcc_lo
	s_branch .LBB66_488
.LBB66_487:
	s_mov_b32 s18, -1
                                        ; implicit-def: $vgpr3
.LBB66_488:
	s_branch .LBB66_403
.LBB66_489:
	v_cmp_gt_i16_e32 vcc_lo, 5, v2
	s_cbranch_vccnz .LBB66_494
; %bb.490:
	v_cmp_gt_i16_e32 vcc_lo, 8, v2
	s_cbranch_vccnz .LBB66_495
; %bb.491:
	;; [unrolled: 3-line block ×3, first 2 shown]
	v_cmp_lt_i16_e32 vcc_lo, 9, v2
	s_cbranch_vccz .LBB66_497
; %bb.493:
	global_load_b64 v[6:7], v[0:1], off
	s_mov_b32 s0, 0
	s_waitcnt vmcnt(0)
	v_cvt_f32_f64_e32 v3, v[6:7]
	s_branch .LBB66_498
.LBB66_494:
	s_mov_b32 s0, -1
                                        ; implicit-def: $vgpr3
	s_branch .LBB66_516
.LBB66_495:
	s_mov_b32 s0, -1
                                        ; implicit-def: $vgpr3
	s_branch .LBB66_504
.LBB66_496:
	s_mov_b32 s0, -1
                                        ; implicit-def: $vgpr3
	s_branch .LBB66_501
.LBB66_497:
	s_mov_b32 s0, -1
                                        ; implicit-def: $vgpr3
.LBB66_498:
	s_delay_alu instid0(SALU_CYCLE_1)
	s_and_not1_b32 vcc_lo, exec_lo, s0
	s_cbranch_vccnz .LBB66_500
; %bb.499:
	global_load_b32 v3, v[0:1], off
.LBB66_500:
	s_mov_b32 s0, 0
.LBB66_501:
	s_delay_alu instid0(SALU_CYCLE_1)
	s_and_not1_b32 vcc_lo, exec_lo, s0
	s_cbranch_vccnz .LBB66_503
; %bb.502:
	global_load_b32 v3, v[0:1], off
	s_waitcnt vmcnt(0)
	v_cvt_f32_f16_e32 v3, v3
.LBB66_503:
	s_mov_b32 s0, 0
.LBB66_504:
	s_delay_alu instid0(SALU_CYCLE_1)
	s_and_not1_b32 vcc_lo, exec_lo, s0
	s_cbranch_vccnz .LBB66_515
; %bb.505:
	v_cmp_gt_i16_e32 vcc_lo, 6, v2
	s_cbranch_vccnz .LBB66_508
; %bb.506:
	v_cmp_lt_i16_e32 vcc_lo, 6, v2
	s_cbranch_vccz .LBB66_509
; %bb.507:
	global_load_b64 v[6:7], v[0:1], off
	s_mov_b32 s0, 0
	s_waitcnt vmcnt(0)
	v_cvt_f32_f64_e32 v3, v[6:7]
	s_branch .LBB66_510
.LBB66_508:
	s_mov_b32 s0, -1
                                        ; implicit-def: $vgpr3
	s_branch .LBB66_513
.LBB66_509:
	s_mov_b32 s0, -1
                                        ; implicit-def: $vgpr3
.LBB66_510:
	s_delay_alu instid0(SALU_CYCLE_1)
	s_and_not1_b32 vcc_lo, exec_lo, s0
	s_cbranch_vccnz .LBB66_512
; %bb.511:
	global_load_b32 v3, v[0:1], off
.LBB66_512:
	s_mov_b32 s0, 0
.LBB66_513:
	s_delay_alu instid0(SALU_CYCLE_1)
	s_and_not1_b32 vcc_lo, exec_lo, s0
	s_cbranch_vccnz .LBB66_515
; %bb.514:
	global_load_u16 v3, v[0:1], off
	s_waitcnt vmcnt(0)
	v_cvt_f32_f16_e32 v3, v3
.LBB66_515:
	s_mov_b32 s0, 0
.LBB66_516:
	s_delay_alu instid0(SALU_CYCLE_1)
	s_and_not1_b32 vcc_lo, exec_lo, s0
	s_cbranch_vccnz .LBB66_536
; %bb.517:
	v_cmp_gt_i16_e32 vcc_lo, 2, v2
	s_cbranch_vccnz .LBB66_521
; %bb.518:
	v_cmp_gt_i16_e32 vcc_lo, 3, v2
	s_cbranch_vccnz .LBB66_522
; %bb.519:
	v_cmp_lt_i16_e32 vcc_lo, 3, v2
	s_cbranch_vccz .LBB66_523
; %bb.520:
	global_load_b64 v[6:7], v[0:1], off
	s_mov_b32 s0, 0
	s_waitcnt vmcnt(0)
	v_xor_b32_e32 v3, v6, v7
	v_cls_i32_e32 v8, v7
	s_delay_alu instid0(VALU_DEP_2) | instskip(NEXT) | instid1(VALU_DEP_2)
	v_ashrrev_i32_e32 v3, 31, v3
	v_add_nc_u32_e32 v8, -1, v8
	s_delay_alu instid0(VALU_DEP_2) | instskip(NEXT) | instid1(VALU_DEP_1)
	v_add_nc_u32_e32 v3, 32, v3
	v_min_u32_e32 v3, v8, v3
	s_delay_alu instid0(VALU_DEP_1) | instskip(SKIP_1) | instid1(VALU_DEP_2)
	v_lshlrev_b64 v[6:7], v3, v[6:7]
	v_sub_nc_u32_e32 v3, 32, v3
	v_min_u32_e32 v6, 1, v6
	s_delay_alu instid0(VALU_DEP_1) | instskip(NEXT) | instid1(VALU_DEP_1)
	v_or_b32_e32 v6, v7, v6
	v_cvt_f32_i32_e32 v6, v6
	s_delay_alu instid0(VALU_DEP_1)
	v_ldexp_f32 v3, v6, v3
	s_branch .LBB66_524
.LBB66_521:
	s_mov_b32 s0, -1
                                        ; implicit-def: $vgpr3
	s_branch .LBB66_530
.LBB66_522:
	s_mov_b32 s0, -1
                                        ; implicit-def: $vgpr3
	s_branch .LBB66_527
.LBB66_523:
	s_mov_b32 s0, -1
                                        ; implicit-def: $vgpr3
.LBB66_524:
	s_delay_alu instid0(SALU_CYCLE_1)
	s_and_not1_b32 vcc_lo, exec_lo, s0
	s_cbranch_vccnz .LBB66_526
; %bb.525:
	global_load_b32 v3, v[0:1], off
	s_waitcnt vmcnt(0)
	v_cvt_f32_i32_e32 v3, v3
.LBB66_526:
	s_mov_b32 s0, 0
.LBB66_527:
	s_delay_alu instid0(SALU_CYCLE_1)
	s_and_not1_b32 vcc_lo, exec_lo, s0
	s_cbranch_vccnz .LBB66_529
; %bb.528:
	global_load_i16 v3, v[0:1], off
	s_waitcnt vmcnt(0)
	v_cvt_f32_i32_e32 v3, v3
.LBB66_529:
	s_mov_b32 s0, 0
.LBB66_530:
	s_delay_alu instid0(SALU_CYCLE_1)
	s_and_not1_b32 vcc_lo, exec_lo, s0
	s_cbranch_vccnz .LBB66_536
; %bb.531:
	v_cmp_lt_i16_e32 vcc_lo, 0, v2
	s_mov_b32 s0, 0
	s_cbranch_vccz .LBB66_533
; %bb.532:
	global_load_i8 v2, v[0:1], off
	s_waitcnt vmcnt(0)
	v_cvt_f32_i32_e32 v3, v2
	s_branch .LBB66_534
.LBB66_533:
	s_mov_b32 s0, -1
                                        ; implicit-def: $vgpr3
.LBB66_534:
	s_delay_alu instid0(SALU_CYCLE_1)
	s_and_not1_b32 vcc_lo, exec_lo, s0
	s_cbranch_vccnz .LBB66_536
; %bb.535:
	global_load_u8 v0, v[0:1], off
	s_waitcnt vmcnt(0)
	v_cvt_f32_ubyte0_e32 v3, v0
.LBB66_536:
	s_branch .LBB66_404
.LBB66_537:
	s_mov_b32 s1, 0
	s_mov_b32 s0, s13
	;; [unrolled: 1-line block ×3, first 2 shown]
	s_branch .LBB66_793
.LBB66_538:
	s_or_saveexec_b32 s19, s19
                                        ; implicit-def: $sgpr20
	s_delay_alu instid0(SALU_CYCLE_1)
	s_xor_b32 exec_lo, exec_lo, s19
	s_cbranch_execz .LBB66_204
.LBB66_539:
	v_add_f32_e64 v1, 0x42800000, |v0|
	s_and_not1_b32 s13, s13, exec_lo
	s_mov_b32 s20, 0
	s_delay_alu instid0(VALU_DEP_1) | instskip(NEXT) | instid1(VALU_DEP_1)
	v_and_b32_e32 v1, 0xff, v1
	v_cmp_ne_u32_e32 vcc_lo, 0, v1
	s_and_b32 s21, vcc_lo, exec_lo
	s_delay_alu instid0(SALU_CYCLE_1)
	s_or_b32 s13, s13, s21
	s_or_b32 exec_lo, exec_lo, s19
	v_mov_b32_e32 v7, s20
	s_and_saveexec_b32 s19, s13
	s_cbranch_execnz .LBB66_205
	s_branch .LBB66_206
.LBB66_540:
	s_mov_b32 s20, -1
	s_mov_b32 s0, 0
.LBB66_541:
                                        ; implicit-def: $vgpr6
.LBB66_542:
	s_and_b32 vcc_lo, exec_lo, s1
	s_cbranch_vccz .LBB66_546
; %bb.543:
	v_cmp_eq_u16_e32 vcc_lo, 44, v2
	s_cbranch_vccz .LBB66_545
; %bb.544:
	global_load_u8 v6, v[0:1], off
	s_mov_b32 s20, 0
	s_mov_b32 s0, -1
	s_waitcnt vmcnt(0)
	v_lshlrev_b32_e32 v7, 23, v6
	v_cmp_ne_u32_e32 vcc_lo, 0xff, v6
	s_delay_alu instid0(VALU_DEP_2) | instskip(SKIP_1) | instid1(VALU_DEP_2)
	v_cndmask_b32_e32 v7, 0x7f800001, v7, vcc_lo
	v_cmp_ne_u32_e32 vcc_lo, 0, v6
	v_cndmask_b32_e32 v6, 0x400000, v7, vcc_lo
	s_branch .LBB66_546
.LBB66_545:
	s_mov_b32 s20, -1
                                        ; implicit-def: $vgpr6
.LBB66_546:
	s_mov_b32 s1, 0
.LBB66_547:
	s_delay_alu instid0(SALU_CYCLE_1)
	s_and_b32 vcc_lo, exec_lo, s1
	s_cbranch_vccz .LBB66_551
; %bb.548:
	v_cmp_eq_u16_e32 vcc_lo, 29, v2
	s_cbranch_vccz .LBB66_550
; %bb.549:
	global_load_b64 v[6:7], v[0:1], off
	s_mov_b32 s0, -1
	s_mov_b32 s20, 0
	s_mov_b32 s1, 0
	s_waitcnt vmcnt(0)
	v_clz_i32_u32_e32 v8, v7
	s_delay_alu instid0(VALU_DEP_1) | instskip(NEXT) | instid1(VALU_DEP_1)
	v_min_u32_e32 v8, 32, v8
	v_lshlrev_b64 v[6:7], v8, v[6:7]
	s_delay_alu instid0(VALU_DEP_1) | instskip(NEXT) | instid1(VALU_DEP_1)
	v_min_u32_e32 v6, 1, v6
	v_or_b32_e32 v6, v7, v6
	v_sub_nc_u32_e32 v7, 32, v8
	s_delay_alu instid0(VALU_DEP_2) | instskip(NEXT) | instid1(VALU_DEP_1)
	v_cvt_f32_u32_e32 v6, v6
	v_ldexp_f32 v6, v6, v7
	s_branch .LBB66_552
.LBB66_550:
	s_mov_b32 s20, -1
                                        ; implicit-def: $vgpr6
.LBB66_551:
	s_mov_b32 s1, 0
.LBB66_552:
	s_delay_alu instid0(SALU_CYCLE_1)
	s_and_b32 vcc_lo, exec_lo, s1
	s_cbranch_vccz .LBB66_570
; %bb.553:
	v_cmp_gt_i16_e32 vcc_lo, 27, v2
	s_cbranch_vccnz .LBB66_556
; %bb.554:
	v_cmp_lt_i16_e32 vcc_lo, 27, v2
	s_cbranch_vccz .LBB66_557
; %bb.555:
	global_load_b32 v6, v[0:1], off
	s_mov_b32 s0, 0
	s_waitcnt vmcnt(0)
	v_cvt_f32_u32_e32 v6, v6
	s_branch .LBB66_558
.LBB66_556:
	s_mov_b32 s0, -1
                                        ; implicit-def: $vgpr6
	s_branch .LBB66_561
.LBB66_557:
	s_mov_b32 s0, -1
                                        ; implicit-def: $vgpr6
.LBB66_558:
	s_delay_alu instid0(SALU_CYCLE_1)
	s_and_not1_b32 vcc_lo, exec_lo, s0
	s_cbranch_vccnz .LBB66_560
; %bb.559:
	global_load_u16 v6, v[0:1], off
	s_waitcnt vmcnt(0)
	v_cvt_f32_u32_e32 v6, v6
.LBB66_560:
	s_mov_b32 s0, 0
.LBB66_561:
	s_delay_alu instid0(SALU_CYCLE_1)
	s_and_not1_b32 vcc_lo, exec_lo, s0
	s_cbranch_vccnz .LBB66_569
; %bb.562:
	global_load_u8 v7, v[0:1], off
	s_mov_b32 s0, 0
	s_mov_b32 s19, exec_lo
                                        ; implicit-def: $sgpr1
	s_waitcnt vmcnt(0)
	v_cmpx_lt_i16_e32 0x7f, v7
	s_xor_b32 s19, exec_lo, s19
	s_cbranch_execz .LBB66_583
; %bb.563:
	s_mov_b32 s0, -1
	s_mov_b32 s22, exec_lo
                                        ; implicit-def: $sgpr1
	v_cmpx_eq_u16_e32 0x80, v7
; %bb.564:
	s_mov_b32 s1, 0x7f800001
	s_xor_b32 s0, exec_lo, -1
; %bb.565:
	s_or_b32 exec_lo, exec_lo, s22
	s_delay_alu instid0(SALU_CYCLE_1)
	s_and_b32 s0, s0, exec_lo
	s_or_saveexec_b32 s19, s19
	v_mov_b32_e32 v6, s1
	s_xor_b32 exec_lo, exec_lo, s19
	s_cbranch_execnz .LBB66_584
.LBB66_566:
	s_or_b32 exec_lo, exec_lo, s19
	s_and_saveexec_b32 s1, s0
	s_cbranch_execz .LBB66_568
.LBB66_567:
	v_and_b32_e32 v6, 0xffff, v7
	s_delay_alu instid0(VALU_DEP_1) | instskip(NEXT) | instid1(VALU_DEP_1)
	v_and_b32_e32 v8, 7, v6
	v_clz_i32_u32_e32 v11, v8
	s_delay_alu instid0(VALU_DEP_1) | instskip(NEXT) | instid1(VALU_DEP_1)
	v_min_u32_e32 v11, 32, v11
	v_subrev_nc_u32_e32 v12, 28, v11
	v_sub_nc_u32_e32 v11, 29, v11
	s_delay_alu instid0(VALU_DEP_2) | instskip(SKIP_1) | instid1(VALU_DEP_2)
	v_lshlrev_b32_e32 v12, v12, v6
	v_bfe_u32 v6, v6, 3, 4
	v_and_b32_e32 v12, 7, v12
	s_delay_alu instid0(VALU_DEP_2) | instskip(NEXT) | instid1(VALU_DEP_2)
	v_cmp_eq_u32_e32 vcc_lo, 0, v6
	v_dual_cndmask_b32 v8, v8, v12 :: v_dual_lshlrev_b32 v7, 24, v7
	v_cndmask_b32_e32 v6, v6, v11, vcc_lo
	s_delay_alu instid0(VALU_DEP_2) | instskip(NEXT) | instid1(VALU_DEP_3)
	v_and_b32_e32 v7, 0x80000000, v7
	v_lshlrev_b32_e32 v8, 20, v8
	s_delay_alu instid0(VALU_DEP_3) | instskip(NEXT) | instid1(VALU_DEP_1)
	v_lshl_add_u32 v6, v6, 23, 0x3b800000
	v_or3_b32 v6, v7, v6, v8
.LBB66_568:
	s_or_b32 exec_lo, exec_lo, s1
.LBB66_569:
	s_mov_b32 s0, -1
.LBB66_570:
	s_mov_b32 s1, 0
.LBB66_571:
	s_delay_alu instid0(SALU_CYCLE_1)
	s_and_b32 vcc_lo, exec_lo, s1
	s_cbranch_vccz .LBB66_606
; %bb.572:
	v_cmp_lt_i16_e32 vcc_lo, 22, v2
	s_cbranch_vccz .LBB66_582
; %bb.573:
	v_cmp_gt_i16_e32 vcc_lo, 24, v2
	s_cbranch_vccnz .LBB66_585
; %bb.574:
	v_cmp_lt_i16_e32 vcc_lo, 24, v2
	s_cbranch_vccz .LBB66_586
; %bb.575:
	global_load_u8 v7, v[0:1], off
	s_mov_b32 s0, 0
	s_mov_b32 s19, exec_lo
                                        ; implicit-def: $sgpr1
	s_waitcnt vmcnt(0)
	v_cmpx_lt_i16_e32 0x7f, v7
	s_xor_b32 s19, exec_lo, s19
	s_cbranch_execz .LBB66_598
; %bb.576:
	s_mov_b32 s0, -1
	s_mov_b32 s22, exec_lo
                                        ; implicit-def: $sgpr1
	v_cmpx_eq_u16_e32 0x80, v7
; %bb.577:
	s_mov_b32 s1, 0x7f800001
	s_xor_b32 s0, exec_lo, -1
; %bb.578:
	s_or_b32 exec_lo, exec_lo, s22
	s_delay_alu instid0(SALU_CYCLE_1)
	s_and_b32 s0, s0, exec_lo
	s_or_saveexec_b32 s19, s19
	v_mov_b32_e32 v6, s1
	s_xor_b32 exec_lo, exec_lo, s19
	s_cbranch_execnz .LBB66_599
.LBB66_579:
	s_or_b32 exec_lo, exec_lo, s19
	s_and_saveexec_b32 s1, s0
	s_cbranch_execz .LBB66_581
.LBB66_580:
	v_and_b32_e32 v6, 0xffff, v7
	s_delay_alu instid0(VALU_DEP_1) | instskip(NEXT) | instid1(VALU_DEP_1)
	v_and_b32_e32 v8, 3, v6
	v_clz_i32_u32_e32 v11, v8
	s_delay_alu instid0(VALU_DEP_1) | instskip(NEXT) | instid1(VALU_DEP_1)
	v_min_u32_e32 v11, 32, v11
	v_subrev_nc_u32_e32 v12, 29, v11
	v_sub_nc_u32_e32 v11, 30, v11
	s_delay_alu instid0(VALU_DEP_2) | instskip(SKIP_1) | instid1(VALU_DEP_2)
	v_lshlrev_b32_e32 v12, v12, v6
	v_bfe_u32 v6, v6, 2, 5
	v_and_b32_e32 v12, 3, v12
	s_delay_alu instid0(VALU_DEP_2) | instskip(NEXT) | instid1(VALU_DEP_2)
	v_cmp_eq_u32_e32 vcc_lo, 0, v6
	v_dual_cndmask_b32 v8, v8, v12 :: v_dual_lshlrev_b32 v7, 24, v7
	v_cndmask_b32_e32 v6, v6, v11, vcc_lo
	s_delay_alu instid0(VALU_DEP_2) | instskip(NEXT) | instid1(VALU_DEP_3)
	v_and_b32_e32 v7, 0x80000000, v7
	v_lshlrev_b32_e32 v8, 21, v8
	s_delay_alu instid0(VALU_DEP_3) | instskip(NEXT) | instid1(VALU_DEP_1)
	v_lshl_add_u32 v6, v6, 23, 0x37800000
	v_or3_b32 v6, v7, v6, v8
.LBB66_581:
	s_or_b32 exec_lo, exec_lo, s1
	s_mov_b32 s0, 0
	s_branch .LBB66_587
.LBB66_582:
	s_mov_b32 s1, -1
                                        ; implicit-def: $vgpr6
	s_branch .LBB66_593
.LBB66_583:
	s_or_saveexec_b32 s19, s19
	v_mov_b32_e32 v6, s1
	s_xor_b32 exec_lo, exec_lo, s19
	s_cbranch_execz .LBB66_566
.LBB66_584:
	v_cmp_ne_u16_e32 vcc_lo, 0, v7
	v_mov_b32_e32 v6, 0
	s_and_not1_b32 s0, s0, exec_lo
	s_and_b32 s1, vcc_lo, exec_lo
	s_delay_alu instid0(SALU_CYCLE_1)
	s_or_b32 s0, s0, s1
	s_or_b32 exec_lo, exec_lo, s19
	s_and_saveexec_b32 s1, s0
	s_cbranch_execnz .LBB66_567
	s_branch .LBB66_568
.LBB66_585:
	s_mov_b32 s0, -1
                                        ; implicit-def: $vgpr6
	s_branch .LBB66_590
.LBB66_586:
	s_mov_b32 s0, -1
                                        ; implicit-def: $vgpr6
.LBB66_587:
	s_delay_alu instid0(SALU_CYCLE_1)
	s_and_b32 vcc_lo, exec_lo, s0
	s_cbranch_vccz .LBB66_589
; %bb.588:
	global_load_u8 v6, v[0:1], off
	s_waitcnt vmcnt(0)
	v_lshlrev_b32_e32 v6, 24, v6
	s_delay_alu instid0(VALU_DEP_1) | instskip(NEXT) | instid1(VALU_DEP_1)
	v_and_b32_e32 v7, 0x7f000000, v6
	v_clz_i32_u32_e32 v8, v7
	v_add_nc_u32_e32 v12, 0x1000000, v7
	v_cmp_ne_u32_e32 vcc_lo, 0, v7
	s_delay_alu instid0(VALU_DEP_3) | instskip(NEXT) | instid1(VALU_DEP_1)
	v_min_u32_e32 v8, 32, v8
	v_sub_nc_u32_e64 v8, v8, 4 clamp
	s_delay_alu instid0(VALU_DEP_1) | instskip(SKIP_1) | instid1(VALU_DEP_2)
	v_lshlrev_b32_e32 v11, v8, v7
	v_lshlrev_b32_e32 v8, 23, v8
	v_lshrrev_b32_e32 v11, 4, v11
	s_delay_alu instid0(VALU_DEP_1) | instskip(SKIP_1) | instid1(VALU_DEP_2)
	v_sub_nc_u32_e32 v8, v11, v8
	v_ashrrev_i32_e32 v11, 8, v12
	v_add_nc_u32_e32 v8, 0x3c000000, v8
	s_delay_alu instid0(VALU_DEP_1) | instskip(NEXT) | instid1(VALU_DEP_1)
	v_and_or_b32 v8, 0x7f800000, v11, v8
	v_cndmask_b32_e32 v7, 0, v8, vcc_lo
	s_delay_alu instid0(VALU_DEP_1)
	v_and_or_b32 v6, 0x80000000, v6, v7
.LBB66_589:
	s_mov_b32 s0, 0
.LBB66_590:
	s_delay_alu instid0(SALU_CYCLE_1)
	s_and_not1_b32 vcc_lo, exec_lo, s0
	s_cbranch_vccnz .LBB66_592
; %bb.591:
	global_load_u8 v6, v[0:1], off
	s_waitcnt vmcnt(0)
	v_lshlrev_b32_e32 v7, 25, v6
	v_lshlrev_b16 v6, 8, v6
	s_delay_alu instid0(VALU_DEP_2) | instskip(NEXT) | instid1(VALU_DEP_2)
	v_lshrrev_b32_e32 v8, 4, v7
	v_and_or_b32 v11, 0x7f00, v6, 0.5
	v_bfe_i32 v6, v6, 0, 16
	s_delay_alu instid0(VALU_DEP_3) | instskip(NEXT) | instid1(VALU_DEP_1)
	v_or_b32_e32 v8, 0x70000000, v8
	v_dual_add_f32 v11, -0.5, v11 :: v_dual_mul_f32 v8, 0x7800000, v8
	v_cmp_gt_u32_e32 vcc_lo, 0x8000000, v7
	s_delay_alu instid0(VALU_DEP_2) | instskip(NEXT) | instid1(VALU_DEP_1)
	v_cndmask_b32_e32 v7, v8, v11, vcc_lo
	v_and_or_b32 v6, 0x80000000, v6, v7
.LBB66_592:
	s_mov_b32 s1, 0
	s_mov_b32 s0, -1
.LBB66_593:
	s_and_not1_b32 vcc_lo, exec_lo, s1
	s_cbranch_vccnz .LBB66_606
; %bb.594:
	v_cmp_lt_i16_e32 vcc_lo, 14, v2
	s_cbranch_vccz .LBB66_597
; %bb.595:
	v_cmp_eq_u16_e32 vcc_lo, 15, v2
	s_cbranch_vccz .LBB66_600
; %bb.596:
	global_load_u16 v6, v[0:1], off
	s_mov_b32 s0, -1
	s_mov_b32 s20, 0
	s_waitcnt vmcnt(0)
	v_lshlrev_b32_e32 v6, 16, v6
	s_branch .LBB66_601
.LBB66_597:
	s_mov_b32 s1, -1
                                        ; implicit-def: $vgpr6
	s_branch .LBB66_602
.LBB66_598:
	s_or_saveexec_b32 s19, s19
	v_mov_b32_e32 v6, s1
	s_xor_b32 exec_lo, exec_lo, s19
	s_cbranch_execz .LBB66_579
.LBB66_599:
	v_cmp_ne_u16_e32 vcc_lo, 0, v7
	v_mov_b32_e32 v6, 0
	s_and_not1_b32 s0, s0, exec_lo
	s_and_b32 s1, vcc_lo, exec_lo
	s_delay_alu instid0(SALU_CYCLE_1)
	s_or_b32 s0, s0, s1
	s_or_b32 exec_lo, exec_lo, s19
	s_and_saveexec_b32 s1, s0
	s_cbranch_execnz .LBB66_580
	s_branch .LBB66_581
.LBB66_600:
	s_mov_b32 s20, -1
                                        ; implicit-def: $vgpr6
.LBB66_601:
	s_mov_b32 s1, 0
.LBB66_602:
	s_delay_alu instid0(SALU_CYCLE_1)
	s_and_b32 vcc_lo, exec_lo, s1
	s_cbranch_vccz .LBB66_606
; %bb.603:
	v_cmp_eq_u16_e32 vcc_lo, 11, v2
	s_cbranch_vccz .LBB66_605
; %bb.604:
	global_load_u8 v6, v[0:1], off
	s_mov_b32 s20, 0
	s_mov_b32 s0, -1
	s_waitcnt vmcnt(0)
	v_cmp_ne_u16_e32 vcc_lo, 0, v6
	v_cndmask_b32_e64 v6, 0, 1.0, vcc_lo
	s_branch .LBB66_606
.LBB66_605:
	s_mov_b32 s20, -1
                                        ; implicit-def: $vgpr6
.LBB66_606:
	s_mov_b32 s1, 0
.LBB66_607:
	s_delay_alu instid0(SALU_CYCLE_1)
	s_and_b32 vcc_lo, exec_lo, s1
	s_cbranch_vccz .LBB66_656
; %bb.608:
	v_cmp_gt_i16_e32 vcc_lo, 5, v2
	s_cbranch_vccnz .LBB66_613
; %bb.609:
	v_cmp_gt_i16_e32 vcc_lo, 8, v2
	s_cbranch_vccnz .LBB66_614
	;; [unrolled: 3-line block ×3, first 2 shown]
; %bb.611:
	v_cmp_lt_i16_e32 vcc_lo, 9, v2
	s_cbranch_vccz .LBB66_616
; %bb.612:
	global_load_b64 v[6:7], v[0:1], off
	s_mov_b32 s0, 0
	s_waitcnt vmcnt(0)
	v_cvt_f32_f64_e32 v6, v[6:7]
	s_branch .LBB66_617
.LBB66_613:
	s_mov_b32 s0, -1
                                        ; implicit-def: $vgpr6
	s_branch .LBB66_635
.LBB66_614:
	s_mov_b32 s0, -1
                                        ; implicit-def: $vgpr6
	s_branch .LBB66_623
.LBB66_615:
	s_mov_b32 s0, -1
                                        ; implicit-def: $vgpr6
	s_branch .LBB66_620
.LBB66_616:
	s_mov_b32 s0, -1
                                        ; implicit-def: $vgpr6
.LBB66_617:
	s_delay_alu instid0(SALU_CYCLE_1)
	s_and_not1_b32 vcc_lo, exec_lo, s0
	s_cbranch_vccnz .LBB66_619
; %bb.618:
	global_load_b32 v6, v[0:1], off
.LBB66_619:
	s_mov_b32 s0, 0
.LBB66_620:
	s_delay_alu instid0(SALU_CYCLE_1)
	s_and_not1_b32 vcc_lo, exec_lo, s0
	s_cbranch_vccnz .LBB66_622
; %bb.621:
	global_load_b32 v6, v[0:1], off
	s_waitcnt vmcnt(0)
	v_cvt_f32_f16_e32 v6, v6
.LBB66_622:
	s_mov_b32 s0, 0
.LBB66_623:
	s_delay_alu instid0(SALU_CYCLE_1)
	s_and_not1_b32 vcc_lo, exec_lo, s0
	s_cbranch_vccnz .LBB66_634
; %bb.624:
	v_cmp_gt_i16_e32 vcc_lo, 6, v2
	s_cbranch_vccnz .LBB66_627
; %bb.625:
	v_cmp_lt_i16_e32 vcc_lo, 6, v2
	s_cbranch_vccz .LBB66_628
; %bb.626:
	global_load_b64 v[6:7], v[0:1], off
	s_mov_b32 s0, 0
	s_waitcnt vmcnt(0)
	v_cvt_f32_f64_e32 v6, v[6:7]
	s_branch .LBB66_629
.LBB66_627:
	s_mov_b32 s0, -1
                                        ; implicit-def: $vgpr6
	s_branch .LBB66_632
.LBB66_628:
	s_mov_b32 s0, -1
                                        ; implicit-def: $vgpr6
.LBB66_629:
	s_delay_alu instid0(SALU_CYCLE_1)
	s_and_not1_b32 vcc_lo, exec_lo, s0
	s_cbranch_vccnz .LBB66_631
; %bb.630:
	global_load_b32 v6, v[0:1], off
.LBB66_631:
	s_mov_b32 s0, 0
.LBB66_632:
	s_delay_alu instid0(SALU_CYCLE_1)
	s_and_not1_b32 vcc_lo, exec_lo, s0
	s_cbranch_vccnz .LBB66_634
; %bb.633:
	global_load_u16 v6, v[0:1], off
	s_waitcnt vmcnt(0)
	v_cvt_f32_f16_e32 v6, v6
.LBB66_634:
	s_mov_b32 s0, 0
.LBB66_635:
	s_delay_alu instid0(SALU_CYCLE_1)
	s_and_not1_b32 vcc_lo, exec_lo, s0
	s_cbranch_vccnz .LBB66_655
; %bb.636:
	v_cmp_gt_i16_e32 vcc_lo, 2, v2
	s_cbranch_vccnz .LBB66_640
; %bb.637:
	v_cmp_gt_i16_e32 vcc_lo, 3, v2
	s_cbranch_vccnz .LBB66_641
; %bb.638:
	v_cmp_lt_i16_e32 vcc_lo, 3, v2
	s_cbranch_vccz .LBB66_642
; %bb.639:
	global_load_b64 v[6:7], v[0:1], off
	s_mov_b32 s0, 0
	s_waitcnt vmcnt(0)
	v_xor_b32_e32 v8, v6, v7
	v_cls_i32_e32 v11, v7
	s_delay_alu instid0(VALU_DEP_2) | instskip(NEXT) | instid1(VALU_DEP_2)
	v_ashrrev_i32_e32 v8, 31, v8
	v_add_nc_u32_e32 v11, -1, v11
	s_delay_alu instid0(VALU_DEP_2) | instskip(NEXT) | instid1(VALU_DEP_1)
	v_add_nc_u32_e32 v8, 32, v8
	v_min_u32_e32 v8, v11, v8
	s_delay_alu instid0(VALU_DEP_1) | instskip(NEXT) | instid1(VALU_DEP_1)
	v_lshlrev_b64 v[6:7], v8, v[6:7]
	v_min_u32_e32 v6, 1, v6
	s_delay_alu instid0(VALU_DEP_1) | instskip(SKIP_1) | instid1(VALU_DEP_2)
	v_or_b32_e32 v6, v7, v6
	v_sub_nc_u32_e32 v7, 32, v8
	v_cvt_f32_i32_e32 v6, v6
	s_delay_alu instid0(VALU_DEP_1)
	v_ldexp_f32 v6, v6, v7
	s_branch .LBB66_643
.LBB66_640:
	s_mov_b32 s0, -1
                                        ; implicit-def: $vgpr6
	s_branch .LBB66_649
.LBB66_641:
	s_mov_b32 s0, -1
                                        ; implicit-def: $vgpr6
	s_branch .LBB66_646
.LBB66_642:
	s_mov_b32 s0, -1
                                        ; implicit-def: $vgpr6
.LBB66_643:
	s_delay_alu instid0(SALU_CYCLE_1)
	s_and_not1_b32 vcc_lo, exec_lo, s0
	s_cbranch_vccnz .LBB66_645
; %bb.644:
	global_load_b32 v6, v[0:1], off
	s_waitcnt vmcnt(0)
	v_cvt_f32_i32_e32 v6, v6
.LBB66_645:
	s_mov_b32 s0, 0
.LBB66_646:
	s_delay_alu instid0(SALU_CYCLE_1)
	s_and_not1_b32 vcc_lo, exec_lo, s0
	s_cbranch_vccnz .LBB66_648
; %bb.647:
	global_load_i16 v6, v[0:1], off
	s_waitcnt vmcnt(0)
	v_cvt_f32_i32_e32 v6, v6
.LBB66_648:
	s_mov_b32 s0, 0
.LBB66_649:
	s_delay_alu instid0(SALU_CYCLE_1)
	s_and_not1_b32 vcc_lo, exec_lo, s0
	s_cbranch_vccnz .LBB66_655
; %bb.650:
	v_cmp_lt_i16_e32 vcc_lo, 0, v2
	s_mov_b32 s0, 0
	s_cbranch_vccz .LBB66_652
; %bb.651:
	global_load_i8 v2, v[0:1], off
	s_waitcnt vmcnt(0)
	v_cvt_f32_i32_e32 v6, v2
	s_branch .LBB66_653
.LBB66_652:
	s_mov_b32 s0, -1
                                        ; implicit-def: $vgpr6
.LBB66_653:
	s_delay_alu instid0(SALU_CYCLE_1)
	s_and_not1_b32 vcc_lo, exec_lo, s0
	s_cbranch_vccnz .LBB66_655
; %bb.654:
	global_load_u8 v0, v[0:1], off
	s_waitcnt vmcnt(0)
	v_cvt_f32_ubyte0_e32 v6, v0
.LBB66_655:
	s_mov_b32 s0, -1
.LBB66_656:
	s_delay_alu instid0(SALU_CYCLE_1)
	s_and_not1_b32 vcc_lo, exec_lo, s0
	s_cbranch_vccnz .LBB66_676
; %bb.657:
	s_waitcnt vmcnt(0)
	s_delay_alu instid0(VALU_DEP_1) | instskip(SKIP_1) | instid1(VALU_DEP_1)
	v_trunc_f32_e32 v0, v6
	s_mov_b32 s19, exec_lo
	v_mul_f32_e64 v1, 0x2f800000, |v0|
	s_delay_alu instid0(VALU_DEP_1) | instskip(NEXT) | instid1(VALU_DEP_1)
	v_floor_f32_e32 v1, v1
	v_fma_f32 v2, 0xcf800000, v1, |v0|
	v_ashrrev_i32_e32 v0, 31, v0
	v_cvt_u32_f32_e32 v1, v1
	s_delay_alu instid0(VALU_DEP_3) | instskip(NEXT) | instid1(VALU_DEP_2)
	v_cvt_u32_f32_e32 v2, v2
	v_xor_b32_e32 v1, v1, v0
	s_delay_alu instid0(VALU_DEP_2) | instskip(NEXT) | instid1(VALU_DEP_1)
	v_xor_b32_e32 v2, v2, v0
	v_sub_co_u32 v7, vcc_lo, v2, v0
	s_delay_alu instid0(VALU_DEP_3) | instskip(SKIP_1) | instid1(VALU_DEP_2)
	v_sub_co_ci_u32_e32 v0, vcc_lo, v1, v0, vcc_lo
	v_cmp_class_f32_e64 vcc_lo, v6, 0x1f8
	v_dual_cndmask_b32 v2, -1, v0 :: v_dual_cndmask_b32 v1, -1, v7
	v_mov_b32_e32 v0, 0
	s_delay_alu instid0(VALU_DEP_2)
	v_cmpx_lt_i64_e32 -1, v[1:2]
	s_cbranch_execz .LBB66_669
; %bb.658:
	v_mov_b32_e32 v0, 1.0
	s_mov_b32 s22, exec_lo
	v_cmpx_lt_i64_e32 0, v[1:2]
	s_cbranch_execz .LBB66_668
; %bb.659:
                                        ; implicit-def: $vgpr0
	s_mov_b32 s0, exec_lo
	v_cmpx_ne_u64_e32 1, v[1:2]
	s_xor_b32 s23, exec_lo, s0
	s_cbranch_execz .LBB66_665
; %bb.660:
	v_mov_b32_e32 v0, 0x7fc00000
	s_mov_b32 s24, exec_lo
	v_cmpx_gt_u64_e32 0x81, v[1:2]
	s_cbranch_execz .LBB66_664
; %bb.661:
	v_dual_add_f32 v3, v3, v3 :: v_dual_mov_b32 v6, 1.0
	v_lshlrev_b64 v[1:2], 1, v[1:2]
	s_mov_b64 s[0:1], 2
	s_mov_b32 s25, 0
	s_delay_alu instid0(VALU_DEP_2)
	v_mov_b32_e32 v0, v3
.LBB66_662:                             ; =>This Inner Loop Header: Depth=1
	s_clz_i32_u32 s26, s1
	s_delay_alu instid0(SALU_CYCLE_1) | instskip(NEXT) | instid1(SALU_CYCLE_1)
	s_min_u32 s28, s26, 32
	s_lshl_b64 s[26:27], s[0:1], s28
	s_delay_alu instid0(SALU_CYCLE_1) | instskip(NEXT) | instid1(SALU_CYCLE_1)
	s_min_u32 s26, s26, 1
	s_or_b32 s26, s27, s26
	s_delay_alu instid0(SALU_CYCLE_1) | instskip(SKIP_3) | instid1(SALU_CYCLE_1)
	v_cvt_f32_u32_e32 v7, s26
	s_sub_i32 s26, 32, s28
	s_add_u32 s0, s0, 2
	s_addc_u32 s1, s1, 0
	v_cmp_ge_u64_e32 vcc_lo, s[0:1], v[1:2]
	v_ldexp_f32 v7, v7, s26
	s_delay_alu instid0(VALU_DEP_1) | instskip(SKIP_1) | instid1(VALU_DEP_1)
	v_dual_mul_f32 v7, v6, v7 :: v_dual_mov_b32 v6, v0
	s_or_b32 s25, vcc_lo, s25
	v_fma_f32 v0, v3, v0, -v7
	s_and_not1_b32 exec_lo, exec_lo, s25
	s_cbranch_execnz .LBB66_662
; %bb.663:
	s_or_b32 exec_lo, exec_lo, s25
.LBB66_664:
	s_delay_alu instid0(SALU_CYCLE_1)
	s_or_b32 exec_lo, exec_lo, s24
                                        ; implicit-def: $vgpr3
.LBB66_665:
	s_and_not1_saveexec_b32 s0, s23
; %bb.666:
	v_add_f32_e32 v0, v3, v3
; %bb.667:
	s_or_b32 exec_lo, exec_lo, s0
.LBB66_668:
	s_delay_alu instid0(SALU_CYCLE_1)
	s_or_b32 exec_lo, exec_lo, s22
.LBB66_669:
	s_delay_alu instid0(SALU_CYCLE_1) | instskip(SKIP_2) | instid1(VALU_DEP_1)
	s_or_b32 exec_lo, exec_lo, s19
	v_mul_lo_u32 v1, v10, s8
	v_and_b32_e32 v6, 0xff, v9
	v_cmp_gt_i16_e32 vcc_lo, 11, v6
	s_delay_alu instid0(VALU_DEP_3) | instskip(SKIP_1) | instid1(VALU_DEP_1)
	v_ashrrev_i32_e32 v3, 31, v1
	v_add_co_u32 v2, s0, s4, v1
	v_add_co_ci_u32_e64 v3, s0, s5, v3, s0
	s_cbranch_vccnz .LBB66_677
; %bb.670:
	v_cmp_lt_i16_e32 vcc_lo, 25, v6
	s_cbranch_vccz .LBB66_678
; %bb.671:
	v_cmp_lt_i16_e32 vcc_lo, 28, v6
	s_cbranch_vccz .LBB66_679
	;; [unrolled: 3-line block ×4, first 2 shown]
; %bb.674:
	v_cmp_eq_u16_e32 vcc_lo, 46, v6
	s_mov_b32 s19, 0
	s_mov_b32 s0, -1
	s_mov_b32 s1, 0
	s_cbranch_vccz .LBB66_682
; %bb.675:
	v_bfe_u32 v1, v0, 16, 1
	v_cmp_o_f32_e32 vcc_lo, v0, v0
	s_mov_b32 s1, -1
	s_mov_b32 s0, 0
	s_delay_alu instid0(VALU_DEP_2) | instskip(NEXT) | instid1(VALU_DEP_1)
	v_add3_u32 v1, v0, v1, 0x7fff
	v_lshrrev_b32_e32 v1, 16, v1
	s_delay_alu instid0(VALU_DEP_1)
	v_cndmask_b32_e32 v1, 0x7fc0, v1, vcc_lo
	global_store_b32 v[2:3], v1, off
	s_branch .LBB66_682
.LBB66_676:
	s_mov_b32 s1, 0
	s_mov_b32 s0, s13
	s_branch .LBB66_793
.LBB66_677:
	s_mov_b32 s19, -1
	s_mov_b32 s1, 0
	s_mov_b32 s0, s13
	s_branch .LBB66_751
.LBB66_678:
	s_mov_b32 s19, -1
	s_mov_b32 s1, 0
	s_mov_b32 s0, s13
	s_branch .LBB66_709
.LBB66_679:
	s_mov_b32 s19, -1
	s_mov_b32 s1, 0
	s_mov_b32 s0, s13
	s_branch .LBB66_692
.LBB66_680:
	s_mov_b32 s19, -1
	s_mov_b32 s1, 0
	s_mov_b32 s0, s13
	s_branch .LBB66_688
.LBB66_681:
	s_mov_b32 s19, -1
	s_mov_b32 s1, 0
	s_mov_b32 s0, s13
.LBB66_682:
	s_and_b32 vcc_lo, exec_lo, s19
	s_cbranch_vccz .LBB66_687
; %bb.683:
	v_cmp_eq_u16_e32 vcc_lo, 44, v6
	s_mov_b32 s0, -1
	s_cbranch_vccz .LBB66_687
; %bb.684:
	v_bfe_u32 v7, v0, 23, 8
	v_mov_b32_e32 v1, 0xff
	s_mov_b32 s1, exec_lo
	s_delay_alu instid0(VALU_DEP_2)
	v_cmpx_ne_u32_e32 0xff, v7
; %bb.685:
	v_and_b32_e32 v1, 0x400000, v0
	v_and_or_b32 v7, 0x3fffff, v0, v7
	s_delay_alu instid0(VALU_DEP_2) | instskip(NEXT) | instid1(VALU_DEP_2)
	v_cmp_ne_u32_e32 vcc_lo, 0, v1
	v_cmp_ne_u32_e64 s0, 0, v7
	v_lshrrev_b32_e32 v1, 23, v0
	s_delay_alu instid0(VALU_DEP_2) | instskip(NEXT) | instid1(SALU_CYCLE_1)
	s_and_b32 s0, vcc_lo, s0
	v_cndmask_b32_e64 v7, 0, 1, s0
	s_delay_alu instid0(VALU_DEP_1)
	v_add_nc_u32_e32 v1, v1, v7
; %bb.686:
	s_or_b32 exec_lo, exec_lo, s1
	s_mov_b32 s1, -1
	s_mov_b32 s0, 0
	global_store_b8 v[2:3], v1, off
.LBB66_687:
	s_mov_b32 s19, 0
.LBB66_688:
	s_delay_alu instid0(SALU_CYCLE_1)
	s_and_b32 vcc_lo, exec_lo, s19
	s_cbranch_vccz .LBB66_691
; %bb.689:
	v_cmp_eq_u16_e32 vcc_lo, 29, v6
	s_mov_b32 s0, -1
	s_cbranch_vccz .LBB66_691
; %bb.690:
	v_trunc_f32_e32 v1, v0
	s_mov_b32 s1, -1
	s_mov_b32 s0, 0
	s_mov_b32 s19, 0
	s_delay_alu instid0(VALU_DEP_1) | instskip(NEXT) | instid1(VALU_DEP_1)
	v_mul_f32_e32 v7, 0x2f800000, v1
	v_floor_f32_e32 v7, v7
	s_delay_alu instid0(VALU_DEP_1) | instskip(SKIP_1) | instid1(VALU_DEP_2)
	v_fmamk_f32 v1, v7, 0xcf800000, v1
	v_cvt_u32_f32_e32 v8, v7
	v_cvt_u32_f32_e32 v7, v1
	global_store_b64 v[2:3], v[7:8], off
	s_branch .LBB66_692
.LBB66_691:
	s_mov_b32 s19, 0
.LBB66_692:
	s_delay_alu instid0(SALU_CYCLE_1)
	s_and_b32 vcc_lo, exec_lo, s19
	s_cbranch_vccz .LBB66_708
; %bb.693:
	v_cmp_gt_i16_e32 vcc_lo, 27, v6
	s_mov_b32 s1, -1
	s_cbranch_vccnz .LBB66_699
; %bb.694:
	v_cmp_lt_i16_e32 vcc_lo, 27, v6
	s_cbranch_vccz .LBB66_696
; %bb.695:
	v_cvt_u32_f32_e32 v1, v0
	s_mov_b32 s1, 0
	global_store_b32 v[2:3], v1, off
.LBB66_696:
	s_and_not1_b32 vcc_lo, exec_lo, s1
	s_cbranch_vccnz .LBB66_698
; %bb.697:
	v_cvt_u32_f32_e32 v1, v0
	global_store_b16 v[2:3], v1, off
.LBB66_698:
	s_mov_b32 s1, 0
.LBB66_699:
	s_delay_alu instid0(SALU_CYCLE_1)
	s_and_not1_b32 vcc_lo, exec_lo, s1
	s_cbranch_vccnz .LBB66_707
; %bb.700:
	v_and_b32_e32 v1, 0x7fffffff, v0
	v_mov_b32_e32 v7, 0x80
	s_mov_b32 s1, exec_lo
	s_delay_alu instid0(VALU_DEP_2)
	v_cmpx_gt_u32_e32 0x43800000, v1
	s_cbranch_execz .LBB66_706
; %bb.701:
	v_cmp_lt_u32_e32 vcc_lo, 0x3bffffff, v1
	s_mov_b32 s19, 0
                                        ; implicit-def: $vgpr1
	s_and_saveexec_b32 s22, vcc_lo
	s_delay_alu instid0(SALU_CYCLE_1)
	s_xor_b32 s22, exec_lo, s22
	s_cbranch_execz .LBB66_809
; %bb.702:
	v_bfe_u32 v1, v0, 20, 1
	s_mov_b32 s19, exec_lo
	s_delay_alu instid0(VALU_DEP_1) | instskip(NEXT) | instid1(VALU_DEP_1)
	v_add3_u32 v1, v0, v1, 0x487ffff
	v_lshrrev_b32_e32 v1, 20, v1
	s_or_saveexec_b32 s22, s22
                                        ; implicit-def: $sgpr23
	s_delay_alu instid0(SALU_CYCLE_1)
	s_xor_b32 exec_lo, exec_lo, s22
	s_cbranch_execnz .LBB66_810
.LBB66_703:
	s_or_b32 exec_lo, exec_lo, s22
	v_mov_b32_e32 v7, s23
	s_and_saveexec_b32 s22, s19
.LBB66_704:
	v_lshrrev_b32_e32 v7, 24, v0
	s_delay_alu instid0(VALU_DEP_1)
	v_and_or_b32 v7, 0x80, v7, v1
.LBB66_705:
	s_or_b32 exec_lo, exec_lo, s22
.LBB66_706:
	s_delay_alu instid0(SALU_CYCLE_1)
	s_or_b32 exec_lo, exec_lo, s1
	global_store_b8 v[2:3], v7, off
.LBB66_707:
	s_mov_b32 s1, -1
.LBB66_708:
	s_mov_b32 s19, 0
.LBB66_709:
	s_delay_alu instid0(SALU_CYCLE_1)
	s_and_b32 vcc_lo, exec_lo, s19
	s_cbranch_vccz .LBB66_750
; %bb.710:
	v_cmp_lt_i16_e32 vcc_lo, 22, v6
	s_mov_b32 s19, -1
	s_cbranch_vccz .LBB66_742
; %bb.711:
	v_cmp_gt_i16_e32 vcc_lo, 24, v6
	s_mov_b32 s1, -1
	s_cbranch_vccnz .LBB66_731
; %bb.712:
	v_cmp_lt_i16_e32 vcc_lo, 24, v6
	s_cbranch_vccz .LBB66_720
; %bb.713:
	v_and_b32_e32 v1, 0x7fffffff, v0
	v_mov_b32_e32 v7, 0x80
	s_mov_b32 s1, exec_lo
	s_delay_alu instid0(VALU_DEP_2)
	v_cmpx_gt_u32_e32 0x47800000, v1
	s_cbranch_execz .LBB66_719
; %bb.714:
	v_cmp_lt_u32_e32 vcc_lo, 0x37ffffff, v1
	s_mov_b32 s19, 0
                                        ; implicit-def: $vgpr1
	s_and_saveexec_b32 s22, vcc_lo
	s_delay_alu instid0(SALU_CYCLE_1)
	s_xor_b32 s22, exec_lo, s22
	s_cbranch_execz .LBB66_941
; %bb.715:
	v_bfe_u32 v1, v0, 21, 1
	s_mov_b32 s19, exec_lo
	s_delay_alu instid0(VALU_DEP_1) | instskip(NEXT) | instid1(VALU_DEP_1)
	v_add3_u32 v1, v0, v1, 0x88fffff
	v_lshrrev_b32_e32 v1, 21, v1
	s_or_saveexec_b32 s22, s22
                                        ; implicit-def: $sgpr23
	s_delay_alu instid0(SALU_CYCLE_1)
	s_xor_b32 exec_lo, exec_lo, s22
	s_cbranch_execnz .LBB66_942
.LBB66_716:
	s_or_b32 exec_lo, exec_lo, s22
	v_mov_b32_e32 v7, s23
	s_and_saveexec_b32 s22, s19
.LBB66_717:
	v_lshrrev_b32_e32 v7, 24, v0
	s_delay_alu instid0(VALU_DEP_1)
	v_and_or_b32 v7, 0x80, v7, v1
.LBB66_718:
	s_or_b32 exec_lo, exec_lo, s22
.LBB66_719:
	s_delay_alu instid0(SALU_CYCLE_1)
	s_or_b32 exec_lo, exec_lo, s1
	s_mov_b32 s1, 0
	global_store_b8 v[2:3], v7, off
.LBB66_720:
	s_and_b32 vcc_lo, exec_lo, s1
	s_cbranch_vccz .LBB66_730
; %bb.721:
	v_and_b32_e32 v7, 0x7fffffff, v0
	s_mov_b32 s1, exec_lo
                                        ; implicit-def: $vgpr1
	s_delay_alu instid0(VALU_DEP_1)
	v_cmpx_gt_u32_e32 0x43f00000, v7
	s_xor_b32 s1, exec_lo, s1
	s_cbranch_execz .LBB66_727
; %bb.722:
	s_mov_b32 s19, exec_lo
                                        ; implicit-def: $vgpr1
	v_cmpx_lt_u32_e32 0x3c7fffff, v7
	s_xor_b32 s19, exec_lo, s19
; %bb.723:
	v_bfe_u32 v1, v0, 20, 1
	s_delay_alu instid0(VALU_DEP_1) | instskip(NEXT) | instid1(VALU_DEP_1)
	v_add3_u32 v1, v0, v1, 0x407ffff
	v_and_b32_e32 v7, 0xff00000, v1
	v_lshrrev_b32_e32 v1, 20, v1
	s_delay_alu instid0(VALU_DEP_2) | instskip(NEXT) | instid1(VALU_DEP_2)
	v_cmp_ne_u32_e32 vcc_lo, 0x7f00000, v7
	v_cndmask_b32_e32 v1, 0x7e, v1, vcc_lo
; %bb.724:
	s_and_not1_saveexec_b32 s19, s19
; %bb.725:
	v_add_f32_e64 v1, 0x46800000, |v0|
; %bb.726:
	s_or_b32 exec_lo, exec_lo, s19
                                        ; implicit-def: $vgpr7
.LBB66_727:
	s_and_not1_saveexec_b32 s1, s1
; %bb.728:
	v_mov_b32_e32 v1, 0x7f
	v_cmp_lt_u32_e32 vcc_lo, 0x7f800000, v7
	s_delay_alu instid0(VALU_DEP_2)
	v_cndmask_b32_e32 v1, 0x7e, v1, vcc_lo
; %bb.729:
	s_or_b32 exec_lo, exec_lo, s1
	v_lshrrev_b32_e32 v7, 24, v0
	s_delay_alu instid0(VALU_DEP_1)
	v_and_or_b32 v1, 0x80, v7, v1
	global_store_b8 v[2:3], v1, off
.LBB66_730:
	s_mov_b32 s1, 0
.LBB66_731:
	s_delay_alu instid0(SALU_CYCLE_1)
	s_and_not1_b32 vcc_lo, exec_lo, s1
	s_cbranch_vccnz .LBB66_741
; %bb.732:
	v_and_b32_e32 v7, 0x7fffffff, v0
	s_mov_b32 s1, exec_lo
                                        ; implicit-def: $vgpr1
	s_delay_alu instid0(VALU_DEP_1)
	v_cmpx_gt_u32_e32 0x47800000, v7
	s_xor_b32 s1, exec_lo, s1
	s_cbranch_execz .LBB66_738
; %bb.733:
	s_mov_b32 s19, exec_lo
                                        ; implicit-def: $vgpr1
	v_cmpx_lt_u32_e32 0x387fffff, v7
	s_xor_b32 s19, exec_lo, s19
; %bb.734:
	v_bfe_u32 v1, v0, 21, 1
	s_delay_alu instid0(VALU_DEP_1) | instskip(NEXT) | instid1(VALU_DEP_1)
	v_add3_u32 v1, v0, v1, 0x80fffff
	v_lshrrev_b32_e32 v1, 21, v1
; %bb.735:
	s_and_not1_saveexec_b32 s19, s19
; %bb.736:
	v_add_f32_e64 v1, 0x43000000, |v0|
; %bb.737:
	s_or_b32 exec_lo, exec_lo, s19
                                        ; implicit-def: $vgpr7
.LBB66_738:
	s_and_not1_saveexec_b32 s1, s1
; %bb.739:
	v_mov_b32_e32 v1, 0x7f
	v_cmp_lt_u32_e32 vcc_lo, 0x7f800000, v7
	s_delay_alu instid0(VALU_DEP_2)
	v_cndmask_b32_e32 v1, 0x7c, v1, vcc_lo
; %bb.740:
	s_or_b32 exec_lo, exec_lo, s1
	v_lshrrev_b32_e32 v7, 24, v0
	s_delay_alu instid0(VALU_DEP_1)
	v_and_or_b32 v1, 0x80, v7, v1
	global_store_b8 v[2:3], v1, off
.LBB66_741:
	s_mov_b32 s19, 0
	s_mov_b32 s1, -1
.LBB66_742:
	s_and_not1_b32 vcc_lo, exec_lo, s19
	s_cbranch_vccnz .LBB66_750
; %bb.743:
	v_cmp_lt_i16_e32 vcc_lo, 14, v6
	s_mov_b32 s19, -1
	s_cbranch_vccz .LBB66_747
; %bb.744:
	v_cmp_eq_u16_e32 vcc_lo, 15, v6
	s_mov_b32 s0, -1
	s_cbranch_vccz .LBB66_746
; %bb.745:
	v_bfe_u32 v1, v0, 16, 1
	v_cmp_o_f32_e32 vcc_lo, v0, v0
	s_mov_b32 s1, -1
	s_mov_b32 s0, 0
	s_delay_alu instid0(VALU_DEP_2) | instskip(NEXT) | instid1(VALU_DEP_1)
	v_add3_u32 v1, v0, v1, 0x7fff
	v_lshrrev_b32_e32 v1, 16, v1
	s_delay_alu instid0(VALU_DEP_1)
	v_cndmask_b32_e32 v1, 0x7fc0, v1, vcc_lo
	global_store_b16 v[2:3], v1, off
.LBB66_746:
	s_mov_b32 s19, 0
.LBB66_747:
	s_delay_alu instid0(SALU_CYCLE_1)
	s_and_b32 vcc_lo, exec_lo, s19
	s_cbranch_vccz .LBB66_750
; %bb.748:
	v_cmp_eq_u16_e32 vcc_lo, 11, v6
	s_mov_b32 s0, -1
	s_cbranch_vccz .LBB66_750
; %bb.749:
	v_cmp_neq_f32_e32 vcc_lo, 0, v0
	s_mov_b32 s0, 0
	s_mov_b32 s1, -1
	v_cndmask_b32_e64 v1, 0, 1, vcc_lo
	global_store_b8 v[2:3], v1, off
.LBB66_750:
	s_mov_b32 s19, 0
.LBB66_751:
	s_delay_alu instid0(SALU_CYCLE_1)
	s_and_b32 vcc_lo, exec_lo, s19
	s_cbranch_vccz .LBB66_790
; %bb.752:
	v_cmp_gt_i16_e32 vcc_lo, 5, v6
	s_mov_b32 s1, -1
	s_cbranch_vccnz .LBB66_773
; %bb.753:
	v_cmp_gt_i16_e32 vcc_lo, 8, v6
	s_cbranch_vccnz .LBB66_763
; %bb.754:
	v_cmp_gt_i16_e32 vcc_lo, 9, v6
	s_cbranch_vccnz .LBB66_760
; %bb.755:
	v_cmp_lt_i16_e32 vcc_lo, 9, v6
	s_cbranch_vccz .LBB66_757
; %bb.756:
	v_cvt_f64_f32_e32 v[11:12], v0
	v_mov_b32_e32 v13, 0
	s_mov_b32 s1, 0
	s_delay_alu instid0(VALU_DEP_1)
	v_mov_b32_e32 v14, v13
	global_store_b128 v[2:3], v[11:14], off
.LBB66_757:
	s_and_not1_b32 vcc_lo, exec_lo, s1
	s_cbranch_vccnz .LBB66_759
; %bb.758:
	v_mov_b32_e32 v1, 0
	global_store_b64 v[2:3], v[0:1], off
.LBB66_759:
	s_mov_b32 s1, 0
.LBB66_760:
	s_delay_alu instid0(SALU_CYCLE_1)
	s_and_not1_b32 vcc_lo, exec_lo, s1
	s_cbranch_vccnz .LBB66_762
; %bb.761:
	v_cvt_f16_f32_e32 v1, v0
	s_delay_alu instid0(VALU_DEP_1)
	v_and_b32_e32 v1, 0xffff, v1
	global_store_b32 v[2:3], v1, off
.LBB66_762:
	s_mov_b32 s1, 0
.LBB66_763:
	s_delay_alu instid0(SALU_CYCLE_1)
	s_and_not1_b32 vcc_lo, exec_lo, s1
	s_cbranch_vccnz .LBB66_772
; %bb.764:
	v_cmp_gt_i16_e32 vcc_lo, 6, v6
	s_mov_b32 s1, -1
	s_cbranch_vccnz .LBB66_770
; %bb.765:
	v_cmp_lt_i16_e32 vcc_lo, 6, v6
	s_cbranch_vccz .LBB66_767
; %bb.766:
	v_cvt_f64_f32_e32 v[7:8], v0
	s_mov_b32 s1, 0
	global_store_b64 v[2:3], v[7:8], off
.LBB66_767:
	s_and_not1_b32 vcc_lo, exec_lo, s1
	s_cbranch_vccnz .LBB66_769
; %bb.768:
	global_store_b32 v[2:3], v0, off
.LBB66_769:
	s_mov_b32 s1, 0
.LBB66_770:
	s_delay_alu instid0(SALU_CYCLE_1)
	s_and_not1_b32 vcc_lo, exec_lo, s1
	s_cbranch_vccnz .LBB66_772
; %bb.771:
	v_cvt_f16_f32_e32 v1, v0
	global_store_b16 v[2:3], v1, off
.LBB66_772:
	s_mov_b32 s1, 0
.LBB66_773:
	s_delay_alu instid0(SALU_CYCLE_1)
	s_and_not1_b32 vcc_lo, exec_lo, s1
	s_cbranch_vccnz .LBB66_789
; %bb.774:
	v_cmp_gt_i16_e32 vcc_lo, 2, v6
	s_mov_b32 s1, -1
	s_cbranch_vccnz .LBB66_784
; %bb.775:
	v_cmp_gt_i16_e32 vcc_lo, 3, v6
	s_cbranch_vccnz .LBB66_781
; %bb.776:
	v_cmp_lt_i16_e32 vcc_lo, 3, v6
	s_cbranch_vccz .LBB66_778
; %bb.777:
	v_trunc_f32_e32 v1, v0
	s_mov_b32 s1, 0
	s_delay_alu instid0(VALU_DEP_1) | instskip(NEXT) | instid1(VALU_DEP_1)
	v_mul_f32_e64 v7, 0x2f800000, |v1|
	v_floor_f32_e32 v7, v7
	s_delay_alu instid0(VALU_DEP_1) | instskip(SKIP_2) | instid1(VALU_DEP_3)
	v_fma_f32 v8, 0xcf800000, v7, |v1|
	v_ashrrev_i32_e32 v1, 31, v1
	v_cvt_u32_f32_e32 v7, v7
	v_cvt_u32_f32_e32 v8, v8
	s_delay_alu instid0(VALU_DEP_2) | instskip(NEXT) | instid1(VALU_DEP_2)
	v_xor_b32_e32 v11, v7, v1
	v_xor_b32_e32 v8, v8, v1
	s_delay_alu instid0(VALU_DEP_1) | instskip(NEXT) | instid1(VALU_DEP_3)
	v_sub_co_u32 v7, vcc_lo, v8, v1
	v_sub_co_ci_u32_e32 v8, vcc_lo, v11, v1, vcc_lo
	global_store_b64 v[2:3], v[7:8], off
.LBB66_778:
	s_and_not1_b32 vcc_lo, exec_lo, s1
	s_cbranch_vccnz .LBB66_780
; %bb.779:
	v_cvt_i32_f32_e32 v1, v0
	global_store_b32 v[2:3], v1, off
.LBB66_780:
	s_mov_b32 s1, 0
.LBB66_781:
	s_delay_alu instid0(SALU_CYCLE_1)
	s_and_not1_b32 vcc_lo, exec_lo, s1
	s_cbranch_vccnz .LBB66_783
; %bb.782:
	v_cvt_i32_f32_e32 v1, v0
	global_store_b16 v[2:3], v1, off
.LBB66_783:
	s_mov_b32 s1, 0
.LBB66_784:
	s_delay_alu instid0(SALU_CYCLE_1)
	s_and_not1_b32 vcc_lo, exec_lo, s1
	s_cbranch_vccnz .LBB66_789
; %bb.785:
	v_cmp_lt_i16_e32 vcc_lo, 0, v6
	s_mov_b32 s1, -1
	s_cbranch_vccz .LBB66_787
; %bb.786:
	v_cvt_i32_f32_e32 v1, v0
	s_mov_b32 s1, 0
	global_store_b8 v[2:3], v1, off
.LBB66_787:
	s_and_not1_b32 vcc_lo, exec_lo, s1
	s_cbranch_vccnz .LBB66_789
; %bb.788:
	v_trunc_f32_e32 v0, v0
	s_delay_alu instid0(VALU_DEP_1) | instskip(NEXT) | instid1(VALU_DEP_1)
	v_mul_f32_e64 v1, 0x2f800000, |v0|
	v_floor_f32_e32 v1, v1
	s_delay_alu instid0(VALU_DEP_1) | instskip(SKIP_1) | instid1(VALU_DEP_2)
	v_fma_f32 v1, 0xcf800000, v1, |v0|
	v_ashrrev_i32_e32 v0, 31, v0
	v_cvt_u32_f32_e32 v1, v1
	s_delay_alu instid0(VALU_DEP_1) | instskip(NEXT) | instid1(VALU_DEP_1)
	v_xor_b32_e32 v1, v1, v0
	v_sub_nc_u32_e32 v0, v1, v0
	global_store_b8 v[2:3], v0, off
.LBB66_789:
	s_mov_b32 s1, -1
.LBB66_790:
	s_delay_alu instid0(SALU_CYCLE_1)
	s_and_not1_b32 vcc_lo, exec_lo, s1
	s_cbranch_vccnz .LBB66_792
; %bb.791:
	v_add_nc_u32_e32 v10, 0x80, v10
	s_mov_b32 s1, -1
	s_branch .LBB66_794
.LBB66_792:
	s_mov_b32 s1, 0
.LBB66_793:
                                        ; implicit-def: $vgpr10
.LBB66_794:
	s_and_not1_b32 s19, s13, exec_lo
	s_and_b32 s0, s0, exec_lo
	s_and_b32 s20, s20, exec_lo
	s_or_b32 s19, s19, s0
	s_and_not1_b32 s0, s15, exec_lo
	s_and_not1_b32 s22, s16, exec_lo
	s_and_b32 s18, s18, exec_lo
	s_or_b32 s20, s0, s20
	s_or_b32 s18, s22, s18
	s_or_not1_b32 s23, s1, exec_lo
.LBB66_795:
	s_or_b32 exec_lo, exec_lo, s21
	s_mov_b32 s1, 0
	s_mov_b32 s22, 0
	;; [unrolled: 1-line block ×3, first 2 shown]
                                        ; implicit-def: $vgpr2
                                        ; implicit-def: $vgpr0_vgpr1
                                        ; implicit-def: $vgpr6
	s_and_saveexec_b32 s21, s23
	s_cbranch_execz .LBB66_1282
; %bb.796:
	s_mov_b32 s27, -1
	s_mov_b32 s1, s18
	s_mov_b32 s23, s20
	s_mov_b32 s25, s19
	s_mov_b32 s22, exec_lo
	v_cmpx_gt_i32_e64 s14, v10
	s_cbranch_execz .LBB66_1198
; %bb.797:
	v_mul_lo_u32 v0, v10, s9
	v_and_b32_e32 v2, 0xff, v5
	s_delay_alu instid0(VALU_DEP_1) | instskip(NEXT) | instid1(VALU_DEP_3)
	v_cmp_gt_i16_e32 vcc_lo, 11, v2
	v_ashrrev_i32_e32 v1, 31, v0
	v_add_co_u32 v0, s0, s6, v0
	s_delay_alu instid0(VALU_DEP_1)
	v_add_co_ci_u32_e64 v1, s0, s7, v1, s0
	s_cbranch_vccnz .LBB66_804
; %bb.798:
	v_cmp_lt_i16_e32 vcc_lo, 25, v2
	s_cbranch_vccz .LBB66_805
; %bb.799:
	v_cmp_lt_i16_e32 vcc_lo, 28, v2
	s_cbranch_vccz .LBB66_806
	;; [unrolled: 3-line block ×4, first 2 shown]
; %bb.802:
	v_cmp_eq_u16_e32 vcc_lo, 46, v2
	s_mov_b32 s1, 0
	s_cbranch_vccz .LBB66_811
; %bb.803:
	global_load_b32 v3, v[0:1], off
	s_mov_b32 s0, -1
	s_mov_b32 s23, 0
	s_waitcnt vmcnt(0)
	v_lshlrev_b32_e32 v3, 16, v3
	s_branch .LBB66_813
.LBB66_804:
	s_mov_b32 s1, -1
	s_mov_b32 s0, 0
	s_mov_b32 s23, s18
                                        ; implicit-def: $vgpr3
	s_branch .LBB66_878
.LBB66_805:
	s_mov_b32 s1, -1
	s_mov_b32 s0, 0
	s_mov_b32 s23, s18
                                        ; implicit-def: $vgpr3
	s_branch .LBB66_842
.LBB66_806:
	s_mov_b32 s1, -1
	s_mov_b32 s0, 0
	s_mov_b32 s23, s18
                                        ; implicit-def: $vgpr3
	s_branch .LBB66_823
.LBB66_807:
	s_mov_b32 s1, -1
	s_mov_b32 s0, 0
	s_mov_b32 s23, s18
                                        ; implicit-def: $vgpr3
	s_branch .LBB66_818
.LBB66_808:
	s_mov_b32 s1, -1
	s_mov_b32 s0, 0
	s_mov_b32 s23, s18
	s_branch .LBB66_812
.LBB66_809:
	s_or_saveexec_b32 s22, s22
                                        ; implicit-def: $sgpr23
	s_delay_alu instid0(SALU_CYCLE_1)
	s_xor_b32 exec_lo, exec_lo, s22
	s_cbranch_execz .LBB66_703
.LBB66_810:
	v_add_f32_e64 v1, 0x46000000, |v0|
	s_and_not1_b32 s19, s19, exec_lo
	s_mov_b32 s23, 0
	s_delay_alu instid0(VALU_DEP_1) | instskip(NEXT) | instid1(VALU_DEP_1)
	v_and_b32_e32 v1, 0xff, v1
	v_cmp_ne_u32_e32 vcc_lo, 0, v1
	s_and_b32 s24, vcc_lo, exec_lo
	s_delay_alu instid0(SALU_CYCLE_1)
	s_or_b32 s19, s19, s24
	s_or_b32 exec_lo, exec_lo, s22
	v_mov_b32_e32 v7, s23
	s_and_saveexec_b32 s22, s19
	s_cbranch_execnz .LBB66_704
	s_branch .LBB66_705
.LBB66_811:
	s_mov_b32 s23, -1
	s_mov_b32 s0, 0
.LBB66_812:
                                        ; implicit-def: $vgpr3
.LBB66_813:
	s_and_b32 vcc_lo, exec_lo, s1
	s_cbranch_vccz .LBB66_817
; %bb.814:
	v_cmp_eq_u16_e32 vcc_lo, 44, v2
	s_cbranch_vccz .LBB66_816
; %bb.815:
	global_load_u8 v3, v[0:1], off
	s_mov_b32 s23, 0
	s_mov_b32 s0, -1
	s_waitcnt vmcnt(0)
	v_lshlrev_b32_e32 v6, 23, v3
	v_cmp_ne_u32_e32 vcc_lo, 0xff, v3
	s_delay_alu instid0(VALU_DEP_2) | instskip(SKIP_1) | instid1(VALU_DEP_2)
	v_cndmask_b32_e32 v6, 0x7f800001, v6, vcc_lo
	v_cmp_ne_u32_e32 vcc_lo, 0, v3
	v_cndmask_b32_e32 v3, 0x400000, v6, vcc_lo
	s_branch .LBB66_817
.LBB66_816:
	s_mov_b32 s23, -1
                                        ; implicit-def: $vgpr3
.LBB66_817:
	s_mov_b32 s1, 0
.LBB66_818:
	s_delay_alu instid0(SALU_CYCLE_1)
	s_and_b32 vcc_lo, exec_lo, s1
	s_cbranch_vccz .LBB66_822
; %bb.819:
	v_cmp_eq_u16_e32 vcc_lo, 29, v2
	s_cbranch_vccz .LBB66_821
; %bb.820:
	global_load_b64 v[6:7], v[0:1], off
	s_mov_b32 s0, -1
	s_mov_b32 s23, 0
	s_mov_b32 s1, 0
	s_waitcnt vmcnt(0)
	v_clz_i32_u32_e32 v3, v7
	s_delay_alu instid0(VALU_DEP_1) | instskip(NEXT) | instid1(VALU_DEP_1)
	v_min_u32_e32 v3, 32, v3
	v_lshlrev_b64 v[6:7], v3, v[6:7]
	v_sub_nc_u32_e32 v3, 32, v3
	s_delay_alu instid0(VALU_DEP_2) | instskip(NEXT) | instid1(VALU_DEP_1)
	v_min_u32_e32 v6, 1, v6
	v_or_b32_e32 v6, v7, v6
	s_delay_alu instid0(VALU_DEP_1) | instskip(NEXT) | instid1(VALU_DEP_1)
	v_cvt_f32_u32_e32 v6, v6
	v_ldexp_f32 v3, v6, v3
	s_branch .LBB66_823
.LBB66_821:
	s_mov_b32 s23, -1
                                        ; implicit-def: $vgpr3
.LBB66_822:
	s_mov_b32 s1, 0
.LBB66_823:
	s_delay_alu instid0(SALU_CYCLE_1)
	s_and_b32 vcc_lo, exec_lo, s1
	s_cbranch_vccz .LBB66_841
; %bb.824:
	v_cmp_gt_i16_e32 vcc_lo, 27, v2
	s_cbranch_vccnz .LBB66_827
; %bb.825:
	v_cmp_lt_i16_e32 vcc_lo, 27, v2
	s_cbranch_vccz .LBB66_828
; %bb.826:
	global_load_b32 v3, v[0:1], off
	s_mov_b32 s0, 0
	s_waitcnt vmcnt(0)
	v_cvt_f32_u32_e32 v3, v3
	s_branch .LBB66_829
.LBB66_827:
	s_mov_b32 s0, -1
                                        ; implicit-def: $vgpr3
	s_branch .LBB66_832
.LBB66_828:
	s_mov_b32 s0, -1
                                        ; implicit-def: $vgpr3
.LBB66_829:
	s_delay_alu instid0(SALU_CYCLE_1)
	s_and_not1_b32 vcc_lo, exec_lo, s0
	s_cbranch_vccnz .LBB66_831
; %bb.830:
	global_load_u16 v3, v[0:1], off
	s_waitcnt vmcnt(0)
	v_cvt_f32_u32_e32 v3, v3
.LBB66_831:
	s_mov_b32 s0, 0
.LBB66_832:
	s_delay_alu instid0(SALU_CYCLE_1)
	s_and_not1_b32 vcc_lo, exec_lo, s0
	s_cbranch_vccnz .LBB66_840
; %bb.833:
	global_load_u8 v6, v[0:1], off
	s_mov_b32 s0, 0
	s_mov_b32 s24, exec_lo
                                        ; implicit-def: $sgpr1
	s_waitcnt vmcnt(0)
	v_cmpx_lt_i16_e32 0x7f, v6
	s_xor_b32 s24, exec_lo, s24
	s_cbranch_execz .LBB66_854
; %bb.834:
	s_mov_b32 s0, -1
	s_mov_b32 s25, exec_lo
                                        ; implicit-def: $sgpr1
	v_cmpx_eq_u16_e32 0x80, v6
; %bb.835:
	s_mov_b32 s1, 0x7f800001
	s_xor_b32 s0, exec_lo, -1
; %bb.836:
	s_or_b32 exec_lo, exec_lo, s25
	s_delay_alu instid0(SALU_CYCLE_1)
	s_and_b32 s0, s0, exec_lo
	s_or_saveexec_b32 s24, s24
	v_mov_b32_e32 v3, s1
	s_xor_b32 exec_lo, exec_lo, s24
	s_cbranch_execnz .LBB66_855
.LBB66_837:
	s_or_b32 exec_lo, exec_lo, s24
	s_and_saveexec_b32 s1, s0
	s_cbranch_execz .LBB66_839
.LBB66_838:
	v_and_b32_e32 v3, 0xffff, v6
	s_delay_alu instid0(VALU_DEP_1) | instskip(NEXT) | instid1(VALU_DEP_1)
	v_and_b32_e32 v7, 7, v3
	v_clz_i32_u32_e32 v8, v7
	s_delay_alu instid0(VALU_DEP_1) | instskip(NEXT) | instid1(VALU_DEP_1)
	v_min_u32_e32 v8, 32, v8
	v_subrev_nc_u32_e32 v11, 28, v8
	v_sub_nc_u32_e32 v8, 29, v8
	s_delay_alu instid0(VALU_DEP_2) | instskip(SKIP_1) | instid1(VALU_DEP_2)
	v_lshlrev_b32_e32 v11, v11, v3
	v_bfe_u32 v3, v3, 3, 4
	v_and_b32_e32 v11, 7, v11
	s_delay_alu instid0(VALU_DEP_2) | instskip(SKIP_1) | instid1(VALU_DEP_1)
	v_cmp_eq_u32_e32 vcc_lo, 0, v3
	v_dual_cndmask_b32 v3, v3, v8 :: v_dual_lshlrev_b32 v6, 24, v6
	v_dual_cndmask_b32 v7, v7, v11 :: v_dual_and_b32 v6, 0x80000000, v6
	s_delay_alu instid0(VALU_DEP_2) | instskip(NEXT) | instid1(VALU_DEP_2)
	v_lshl_add_u32 v3, v3, 23, 0x3b800000
	v_lshlrev_b32_e32 v7, 20, v7
	s_delay_alu instid0(VALU_DEP_1)
	v_or3_b32 v3, v6, v3, v7
.LBB66_839:
	s_or_b32 exec_lo, exec_lo, s1
.LBB66_840:
	s_mov_b32 s0, -1
.LBB66_841:
	s_mov_b32 s1, 0
.LBB66_842:
	s_delay_alu instid0(SALU_CYCLE_1)
	s_and_b32 vcc_lo, exec_lo, s1
	s_cbranch_vccz .LBB66_877
; %bb.843:
	v_cmp_lt_i16_e32 vcc_lo, 22, v2
	s_cbranch_vccz .LBB66_853
; %bb.844:
	v_cmp_gt_i16_e32 vcc_lo, 24, v2
	s_cbranch_vccnz .LBB66_856
; %bb.845:
	v_cmp_lt_i16_e32 vcc_lo, 24, v2
	s_cbranch_vccz .LBB66_857
; %bb.846:
	global_load_u8 v6, v[0:1], off
	s_mov_b32 s0, 0
	s_mov_b32 s24, exec_lo
                                        ; implicit-def: $sgpr1
	s_waitcnt vmcnt(0)
	v_cmpx_lt_i16_e32 0x7f, v6
	s_xor_b32 s24, exec_lo, s24
	s_cbranch_execz .LBB66_869
; %bb.847:
	s_mov_b32 s0, -1
	s_mov_b32 s25, exec_lo
                                        ; implicit-def: $sgpr1
	v_cmpx_eq_u16_e32 0x80, v6
; %bb.848:
	s_mov_b32 s1, 0x7f800001
	s_xor_b32 s0, exec_lo, -1
; %bb.849:
	s_or_b32 exec_lo, exec_lo, s25
	s_delay_alu instid0(SALU_CYCLE_1)
	s_and_b32 s0, s0, exec_lo
	s_or_saveexec_b32 s24, s24
	v_mov_b32_e32 v3, s1
	s_xor_b32 exec_lo, exec_lo, s24
	s_cbranch_execnz .LBB66_870
.LBB66_850:
	s_or_b32 exec_lo, exec_lo, s24
	s_and_saveexec_b32 s1, s0
	s_cbranch_execz .LBB66_852
.LBB66_851:
	v_and_b32_e32 v3, 0xffff, v6
	s_delay_alu instid0(VALU_DEP_1) | instskip(NEXT) | instid1(VALU_DEP_1)
	v_and_b32_e32 v7, 3, v3
	v_clz_i32_u32_e32 v8, v7
	s_delay_alu instid0(VALU_DEP_1) | instskip(NEXT) | instid1(VALU_DEP_1)
	v_min_u32_e32 v8, 32, v8
	v_subrev_nc_u32_e32 v11, 29, v8
	v_sub_nc_u32_e32 v8, 30, v8
	s_delay_alu instid0(VALU_DEP_2) | instskip(SKIP_1) | instid1(VALU_DEP_2)
	v_lshlrev_b32_e32 v11, v11, v3
	v_bfe_u32 v3, v3, 2, 5
	v_and_b32_e32 v11, 3, v11
	s_delay_alu instid0(VALU_DEP_2) | instskip(SKIP_1) | instid1(VALU_DEP_1)
	v_cmp_eq_u32_e32 vcc_lo, 0, v3
	v_dual_cndmask_b32 v3, v3, v8 :: v_dual_lshlrev_b32 v6, 24, v6
	v_dual_cndmask_b32 v7, v7, v11 :: v_dual_and_b32 v6, 0x80000000, v6
	s_delay_alu instid0(VALU_DEP_2) | instskip(NEXT) | instid1(VALU_DEP_2)
	v_lshl_add_u32 v3, v3, 23, 0x37800000
	v_lshlrev_b32_e32 v7, 21, v7
	s_delay_alu instid0(VALU_DEP_1)
	v_or3_b32 v3, v6, v3, v7
.LBB66_852:
	s_or_b32 exec_lo, exec_lo, s1
	s_mov_b32 s0, 0
	s_branch .LBB66_858
.LBB66_853:
	s_mov_b32 s1, -1
                                        ; implicit-def: $vgpr3
	s_branch .LBB66_864
.LBB66_854:
	s_or_saveexec_b32 s24, s24
	v_mov_b32_e32 v3, s1
	s_xor_b32 exec_lo, exec_lo, s24
	s_cbranch_execz .LBB66_837
.LBB66_855:
	v_cmp_ne_u16_e32 vcc_lo, 0, v6
	v_mov_b32_e32 v3, 0
	s_and_not1_b32 s0, s0, exec_lo
	s_and_b32 s1, vcc_lo, exec_lo
	s_delay_alu instid0(SALU_CYCLE_1)
	s_or_b32 s0, s0, s1
	s_or_b32 exec_lo, exec_lo, s24
	s_and_saveexec_b32 s1, s0
	s_cbranch_execnz .LBB66_838
	s_branch .LBB66_839
.LBB66_856:
	s_mov_b32 s0, -1
                                        ; implicit-def: $vgpr3
	s_branch .LBB66_861
.LBB66_857:
	s_mov_b32 s0, -1
                                        ; implicit-def: $vgpr3
.LBB66_858:
	s_delay_alu instid0(SALU_CYCLE_1)
	s_and_b32 vcc_lo, exec_lo, s0
	s_cbranch_vccz .LBB66_860
; %bb.859:
	global_load_u8 v3, v[0:1], off
	s_waitcnt vmcnt(0)
	v_lshlrev_b32_e32 v3, 24, v3
	s_delay_alu instid0(VALU_DEP_1) | instskip(NEXT) | instid1(VALU_DEP_1)
	v_and_b32_e32 v6, 0x7f000000, v3
	v_clz_i32_u32_e32 v7, v6
	v_cmp_ne_u32_e32 vcc_lo, 0, v6
	v_add_nc_u32_e32 v11, 0x1000000, v6
	s_delay_alu instid0(VALU_DEP_3) | instskip(NEXT) | instid1(VALU_DEP_1)
	v_min_u32_e32 v7, 32, v7
	v_sub_nc_u32_e64 v7, v7, 4 clamp
	s_delay_alu instid0(VALU_DEP_1) | instskip(SKIP_1) | instid1(VALU_DEP_2)
	v_lshlrev_b32_e32 v8, v7, v6
	v_lshlrev_b32_e32 v7, 23, v7
	v_lshrrev_b32_e32 v8, 4, v8
	s_delay_alu instid0(VALU_DEP_1) | instskip(SKIP_1) | instid1(VALU_DEP_2)
	v_sub_nc_u32_e32 v7, v8, v7
	v_ashrrev_i32_e32 v8, 8, v11
	v_add_nc_u32_e32 v7, 0x3c000000, v7
	s_delay_alu instid0(VALU_DEP_1) | instskip(NEXT) | instid1(VALU_DEP_1)
	v_and_or_b32 v7, 0x7f800000, v8, v7
	v_cndmask_b32_e32 v6, 0, v7, vcc_lo
	s_delay_alu instid0(VALU_DEP_1)
	v_and_or_b32 v3, 0x80000000, v3, v6
.LBB66_860:
	s_mov_b32 s0, 0
.LBB66_861:
	s_delay_alu instid0(SALU_CYCLE_1)
	s_and_not1_b32 vcc_lo, exec_lo, s0
	s_cbranch_vccnz .LBB66_863
; %bb.862:
	global_load_u8 v3, v[0:1], off
	s_waitcnt vmcnt(0)
	v_lshlrev_b32_e32 v6, 25, v3
	v_lshlrev_b16 v3, 8, v3
	s_delay_alu instid0(VALU_DEP_2) | instskip(NEXT) | instid1(VALU_DEP_2)
	v_lshrrev_b32_e32 v7, 4, v6
	v_and_or_b32 v8, 0x7f00, v3, 0.5
	v_cmp_gt_u32_e32 vcc_lo, 0x8000000, v6
	v_bfe_i32 v3, v3, 0, 16
	s_delay_alu instid0(VALU_DEP_4) | instskip(NEXT) | instid1(VALU_DEP_1)
	v_or_b32_e32 v7, 0x70000000, v7
	v_dual_add_f32 v8, -0.5, v8 :: v_dual_mul_f32 v7, 0x7800000, v7
	s_delay_alu instid0(VALU_DEP_1) | instskip(NEXT) | instid1(VALU_DEP_1)
	v_cndmask_b32_e32 v6, v7, v8, vcc_lo
	v_and_or_b32 v3, 0x80000000, v3, v6
.LBB66_863:
	s_mov_b32 s1, 0
	s_mov_b32 s0, -1
.LBB66_864:
	s_and_not1_b32 vcc_lo, exec_lo, s1
	s_cbranch_vccnz .LBB66_877
; %bb.865:
	v_cmp_lt_i16_e32 vcc_lo, 14, v2
	s_cbranch_vccz .LBB66_868
; %bb.866:
	v_cmp_eq_u16_e32 vcc_lo, 15, v2
	s_cbranch_vccz .LBB66_871
; %bb.867:
	global_load_u16 v3, v[0:1], off
	s_mov_b32 s0, -1
	s_mov_b32 s23, 0
	s_waitcnt vmcnt(0)
	v_lshlrev_b32_e32 v3, 16, v3
	s_branch .LBB66_872
.LBB66_868:
	s_mov_b32 s1, -1
                                        ; implicit-def: $vgpr3
	s_branch .LBB66_873
.LBB66_869:
	s_or_saveexec_b32 s24, s24
	v_mov_b32_e32 v3, s1
	s_xor_b32 exec_lo, exec_lo, s24
	s_cbranch_execz .LBB66_850
.LBB66_870:
	v_cmp_ne_u16_e32 vcc_lo, 0, v6
	v_mov_b32_e32 v3, 0
	s_and_not1_b32 s0, s0, exec_lo
	s_and_b32 s1, vcc_lo, exec_lo
	s_delay_alu instid0(SALU_CYCLE_1)
	s_or_b32 s0, s0, s1
	s_or_b32 exec_lo, exec_lo, s24
	s_and_saveexec_b32 s1, s0
	s_cbranch_execnz .LBB66_851
	s_branch .LBB66_852
.LBB66_871:
	s_mov_b32 s23, -1
                                        ; implicit-def: $vgpr3
.LBB66_872:
	s_mov_b32 s1, 0
.LBB66_873:
	s_delay_alu instid0(SALU_CYCLE_1)
	s_and_b32 vcc_lo, exec_lo, s1
	s_cbranch_vccz .LBB66_877
; %bb.874:
	v_cmp_eq_u16_e32 vcc_lo, 11, v2
	s_cbranch_vccz .LBB66_876
; %bb.875:
	global_load_u8 v3, v[0:1], off
	s_mov_b32 s23, 0
	s_mov_b32 s0, -1
	s_waitcnt vmcnt(0)
	v_cmp_ne_u16_e32 vcc_lo, 0, v3
	v_cndmask_b32_e64 v3, 0, 1.0, vcc_lo
	s_branch .LBB66_877
.LBB66_876:
	s_mov_b32 s23, -1
                                        ; implicit-def: $vgpr3
.LBB66_877:
	s_mov_b32 s1, 0
.LBB66_878:
	s_delay_alu instid0(SALU_CYCLE_1)
	s_and_b32 vcc_lo, exec_lo, s1
	s_cbranch_vccz .LBB66_927
; %bb.879:
	v_cmp_gt_i16_e32 vcc_lo, 5, v2
	s_cbranch_vccnz .LBB66_884
; %bb.880:
	v_cmp_gt_i16_e32 vcc_lo, 8, v2
	s_cbranch_vccnz .LBB66_885
	;; [unrolled: 3-line block ×3, first 2 shown]
; %bb.882:
	v_cmp_lt_i16_e32 vcc_lo, 9, v2
	s_cbranch_vccz .LBB66_887
; %bb.883:
	global_load_b64 v[6:7], v[0:1], off
	s_mov_b32 s0, 0
	s_waitcnt vmcnt(0)
	v_cvt_f32_f64_e32 v3, v[6:7]
	s_branch .LBB66_888
.LBB66_884:
	s_mov_b32 s0, -1
                                        ; implicit-def: $vgpr3
	s_branch .LBB66_906
.LBB66_885:
	s_mov_b32 s0, -1
                                        ; implicit-def: $vgpr3
	s_branch .LBB66_894
.LBB66_886:
	s_mov_b32 s0, -1
                                        ; implicit-def: $vgpr3
	s_branch .LBB66_891
.LBB66_887:
	s_mov_b32 s0, -1
                                        ; implicit-def: $vgpr3
.LBB66_888:
	s_delay_alu instid0(SALU_CYCLE_1)
	s_and_not1_b32 vcc_lo, exec_lo, s0
	s_cbranch_vccnz .LBB66_890
; %bb.889:
	global_load_b32 v3, v[0:1], off
.LBB66_890:
	s_mov_b32 s0, 0
.LBB66_891:
	s_delay_alu instid0(SALU_CYCLE_1)
	s_and_not1_b32 vcc_lo, exec_lo, s0
	s_cbranch_vccnz .LBB66_893
; %bb.892:
	global_load_b32 v3, v[0:1], off
	s_waitcnt vmcnt(0)
	v_cvt_f32_f16_e32 v3, v3
.LBB66_893:
	s_mov_b32 s0, 0
.LBB66_894:
	s_delay_alu instid0(SALU_CYCLE_1)
	s_and_not1_b32 vcc_lo, exec_lo, s0
	s_cbranch_vccnz .LBB66_905
; %bb.895:
	v_cmp_gt_i16_e32 vcc_lo, 6, v2
	s_cbranch_vccnz .LBB66_898
; %bb.896:
	v_cmp_lt_i16_e32 vcc_lo, 6, v2
	s_cbranch_vccz .LBB66_899
; %bb.897:
	global_load_b64 v[6:7], v[0:1], off
	s_mov_b32 s0, 0
	s_waitcnt vmcnt(0)
	v_cvt_f32_f64_e32 v3, v[6:7]
	s_branch .LBB66_900
.LBB66_898:
	s_mov_b32 s0, -1
                                        ; implicit-def: $vgpr3
	s_branch .LBB66_903
.LBB66_899:
	s_mov_b32 s0, -1
                                        ; implicit-def: $vgpr3
.LBB66_900:
	s_delay_alu instid0(SALU_CYCLE_1)
	s_and_not1_b32 vcc_lo, exec_lo, s0
	s_cbranch_vccnz .LBB66_902
; %bb.901:
	global_load_b32 v3, v[0:1], off
.LBB66_902:
	s_mov_b32 s0, 0
.LBB66_903:
	s_delay_alu instid0(SALU_CYCLE_1)
	s_and_not1_b32 vcc_lo, exec_lo, s0
	s_cbranch_vccnz .LBB66_905
; %bb.904:
	global_load_u16 v3, v[0:1], off
	s_waitcnt vmcnt(0)
	v_cvt_f32_f16_e32 v3, v3
.LBB66_905:
	s_mov_b32 s0, 0
.LBB66_906:
	s_delay_alu instid0(SALU_CYCLE_1)
	s_and_not1_b32 vcc_lo, exec_lo, s0
	s_cbranch_vccnz .LBB66_926
; %bb.907:
	v_cmp_gt_i16_e32 vcc_lo, 2, v2
	s_cbranch_vccnz .LBB66_911
; %bb.908:
	v_cmp_gt_i16_e32 vcc_lo, 3, v2
	s_cbranch_vccnz .LBB66_912
; %bb.909:
	v_cmp_lt_i16_e32 vcc_lo, 3, v2
	s_cbranch_vccz .LBB66_913
; %bb.910:
	global_load_b64 v[6:7], v[0:1], off
	s_mov_b32 s0, 0
	s_waitcnt vmcnt(0)
	v_xor_b32_e32 v3, v6, v7
	v_cls_i32_e32 v8, v7
	s_delay_alu instid0(VALU_DEP_2) | instskip(NEXT) | instid1(VALU_DEP_2)
	v_ashrrev_i32_e32 v3, 31, v3
	v_add_nc_u32_e32 v8, -1, v8
	s_delay_alu instid0(VALU_DEP_2) | instskip(NEXT) | instid1(VALU_DEP_1)
	v_add_nc_u32_e32 v3, 32, v3
	v_min_u32_e32 v3, v8, v3
	s_delay_alu instid0(VALU_DEP_1) | instskip(SKIP_1) | instid1(VALU_DEP_2)
	v_lshlrev_b64 v[6:7], v3, v[6:7]
	v_sub_nc_u32_e32 v3, 32, v3
	v_min_u32_e32 v6, 1, v6
	s_delay_alu instid0(VALU_DEP_1) | instskip(NEXT) | instid1(VALU_DEP_1)
	v_or_b32_e32 v6, v7, v6
	v_cvt_f32_i32_e32 v6, v6
	s_delay_alu instid0(VALU_DEP_1)
	v_ldexp_f32 v3, v6, v3
	s_branch .LBB66_914
.LBB66_911:
	s_mov_b32 s0, -1
                                        ; implicit-def: $vgpr3
	s_branch .LBB66_920
.LBB66_912:
	s_mov_b32 s0, -1
                                        ; implicit-def: $vgpr3
	s_branch .LBB66_917
.LBB66_913:
	s_mov_b32 s0, -1
                                        ; implicit-def: $vgpr3
.LBB66_914:
	s_delay_alu instid0(SALU_CYCLE_1)
	s_and_not1_b32 vcc_lo, exec_lo, s0
	s_cbranch_vccnz .LBB66_916
; %bb.915:
	global_load_b32 v3, v[0:1], off
	s_waitcnt vmcnt(0)
	v_cvt_f32_i32_e32 v3, v3
.LBB66_916:
	s_mov_b32 s0, 0
.LBB66_917:
	s_delay_alu instid0(SALU_CYCLE_1)
	s_and_not1_b32 vcc_lo, exec_lo, s0
	s_cbranch_vccnz .LBB66_919
; %bb.918:
	global_load_i16 v3, v[0:1], off
	s_waitcnt vmcnt(0)
	v_cvt_f32_i32_e32 v3, v3
.LBB66_919:
	s_mov_b32 s0, 0
.LBB66_920:
	s_delay_alu instid0(SALU_CYCLE_1)
	s_and_not1_b32 vcc_lo, exec_lo, s0
	s_cbranch_vccnz .LBB66_926
; %bb.921:
	v_cmp_lt_i16_e32 vcc_lo, 0, v2
	s_mov_b32 s0, 0
	s_cbranch_vccz .LBB66_923
; %bb.922:
	global_load_i8 v2, v[0:1], off
	s_waitcnt vmcnt(0)
	v_cvt_f32_i32_e32 v3, v2
	s_branch .LBB66_924
.LBB66_923:
	s_mov_b32 s0, -1
                                        ; implicit-def: $vgpr3
.LBB66_924:
	s_delay_alu instid0(SALU_CYCLE_1)
	s_and_not1_b32 vcc_lo, exec_lo, s0
	s_cbranch_vccnz .LBB66_926
; %bb.925:
	global_load_u8 v0, v[0:1], off
	s_waitcnt vmcnt(0)
	v_cvt_f32_ubyte0_e32 v3, v0
.LBB66_926:
	s_mov_b32 s0, -1
.LBB66_927:
	s_delay_alu instid0(SALU_CYCLE_1)
	s_and_not1_b32 vcc_lo, exec_lo, s0
	s_cbranch_vccnz .LBB66_935
; %bb.928:
	v_mul_lo_u32 v0, v10, s10
	s_waitcnt vmcnt(0)
	v_and_b32_e32 v2, 0xff, v4
	s_delay_alu instid0(VALU_DEP_1) | instskip(NEXT) | instid1(VALU_DEP_3)
	v_cmp_gt_i16_e32 vcc_lo, 11, v2
	v_ashrrev_i32_e32 v1, 31, v0
	v_add_co_u32 v0, s0, s2, v0
	s_delay_alu instid0(VALU_DEP_1)
	v_add_co_ci_u32_e64 v1, s0, s3, v1, s0
	s_cbranch_vccnz .LBB66_936
; %bb.929:
	v_cmp_lt_i16_e32 vcc_lo, 25, v2
	s_cbranch_vccz .LBB66_937
; %bb.930:
	v_cmp_lt_i16_e32 vcc_lo, 28, v2
	s_cbranch_vccz .LBB66_938
	;; [unrolled: 3-line block ×4, first 2 shown]
; %bb.933:
	v_cmp_eq_u16_e32 vcc_lo, 46, v2
	s_mov_b32 s1, 0
	s_cbranch_vccz .LBB66_943
; %bb.934:
	global_load_b32 v6, v[0:1], off
	s_mov_b32 s0, -1
	s_mov_b32 s24, 0
	s_waitcnt vmcnt(0)
	v_lshlrev_b32_e32 v6, 16, v6
	s_branch .LBB66_945
.LBB66_935:
	s_mov_b32 s26, 0
	s_mov_b32 s0, s19
	;; [unrolled: 1-line block ×3, first 2 shown]
	s_branch .LBB66_1196
.LBB66_936:
	s_mov_b32 s1, -1
	s_mov_b32 s0, 0
	s_mov_b32 s24, s20
                                        ; implicit-def: $vgpr6
	s_branch .LBB66_1010
.LBB66_937:
	s_mov_b32 s1, -1
	s_mov_b32 s0, 0
	s_mov_b32 s24, s20
                                        ; implicit-def: $vgpr6
	s_branch .LBB66_974
.LBB66_938:
	s_mov_b32 s1, -1
	s_mov_b32 s0, 0
	s_mov_b32 s24, s20
                                        ; implicit-def: $vgpr6
	s_branch .LBB66_955
.LBB66_939:
	s_mov_b32 s1, -1
	s_mov_b32 s0, 0
	s_mov_b32 s24, s20
                                        ; implicit-def: $vgpr6
	s_branch .LBB66_950
.LBB66_940:
	s_mov_b32 s1, -1
	s_mov_b32 s0, 0
	s_mov_b32 s24, s20
	s_branch .LBB66_944
.LBB66_941:
	s_or_saveexec_b32 s22, s22
                                        ; implicit-def: $sgpr23
	s_delay_alu instid0(SALU_CYCLE_1)
	s_xor_b32 exec_lo, exec_lo, s22
	s_cbranch_execz .LBB66_716
.LBB66_942:
	v_add_f32_e64 v1, 0x42800000, |v0|
	s_and_not1_b32 s19, s19, exec_lo
	s_mov_b32 s23, 0
	s_delay_alu instid0(VALU_DEP_1) | instskip(NEXT) | instid1(VALU_DEP_1)
	v_and_b32_e32 v1, 0xff, v1
	v_cmp_ne_u32_e32 vcc_lo, 0, v1
	s_and_b32 s24, vcc_lo, exec_lo
	s_delay_alu instid0(SALU_CYCLE_1)
	s_or_b32 s19, s19, s24
	s_or_b32 exec_lo, exec_lo, s22
	v_mov_b32_e32 v7, s23
	s_and_saveexec_b32 s22, s19
	s_cbranch_execnz .LBB66_717
	s_branch .LBB66_718
.LBB66_943:
	s_mov_b32 s24, -1
	s_mov_b32 s0, 0
.LBB66_944:
                                        ; implicit-def: $vgpr6
.LBB66_945:
	s_and_b32 vcc_lo, exec_lo, s1
	s_cbranch_vccz .LBB66_949
; %bb.946:
	v_cmp_eq_u16_e32 vcc_lo, 44, v2
	s_cbranch_vccz .LBB66_948
; %bb.947:
	global_load_u8 v6, v[0:1], off
	s_mov_b32 s24, 0
	s_mov_b32 s0, -1
	s_waitcnt vmcnt(0)
	v_lshlrev_b32_e32 v7, 23, v6
	v_cmp_ne_u32_e32 vcc_lo, 0xff, v6
	s_delay_alu instid0(VALU_DEP_2) | instskip(SKIP_1) | instid1(VALU_DEP_2)
	v_cndmask_b32_e32 v7, 0x7f800001, v7, vcc_lo
	v_cmp_ne_u32_e32 vcc_lo, 0, v6
	v_cndmask_b32_e32 v6, 0x400000, v7, vcc_lo
	s_branch .LBB66_949
.LBB66_948:
	s_mov_b32 s24, -1
                                        ; implicit-def: $vgpr6
.LBB66_949:
	s_mov_b32 s1, 0
.LBB66_950:
	s_delay_alu instid0(SALU_CYCLE_1)
	s_and_b32 vcc_lo, exec_lo, s1
	s_cbranch_vccz .LBB66_954
; %bb.951:
	v_cmp_eq_u16_e32 vcc_lo, 29, v2
	s_cbranch_vccz .LBB66_953
; %bb.952:
	global_load_b64 v[6:7], v[0:1], off
	s_mov_b32 s0, -1
	s_mov_b32 s24, 0
	s_mov_b32 s1, 0
	s_waitcnt vmcnt(0)
	v_clz_i32_u32_e32 v8, v7
	s_delay_alu instid0(VALU_DEP_1) | instskip(NEXT) | instid1(VALU_DEP_1)
	v_min_u32_e32 v8, 32, v8
	v_lshlrev_b64 v[6:7], v8, v[6:7]
	s_delay_alu instid0(VALU_DEP_1) | instskip(NEXT) | instid1(VALU_DEP_1)
	v_min_u32_e32 v6, 1, v6
	v_or_b32_e32 v6, v7, v6
	v_sub_nc_u32_e32 v7, 32, v8
	s_delay_alu instid0(VALU_DEP_2) | instskip(NEXT) | instid1(VALU_DEP_1)
	v_cvt_f32_u32_e32 v6, v6
	v_ldexp_f32 v6, v6, v7
	s_branch .LBB66_955
.LBB66_953:
	s_mov_b32 s24, -1
                                        ; implicit-def: $vgpr6
.LBB66_954:
	s_mov_b32 s1, 0
.LBB66_955:
	s_delay_alu instid0(SALU_CYCLE_1)
	s_and_b32 vcc_lo, exec_lo, s1
	s_cbranch_vccz .LBB66_973
; %bb.956:
	v_cmp_gt_i16_e32 vcc_lo, 27, v2
	s_cbranch_vccnz .LBB66_959
; %bb.957:
	v_cmp_lt_i16_e32 vcc_lo, 27, v2
	s_cbranch_vccz .LBB66_960
; %bb.958:
	global_load_b32 v6, v[0:1], off
	s_mov_b32 s0, 0
	s_waitcnt vmcnt(0)
	v_cvt_f32_u32_e32 v6, v6
	s_branch .LBB66_961
.LBB66_959:
	s_mov_b32 s0, -1
                                        ; implicit-def: $vgpr6
	s_branch .LBB66_964
.LBB66_960:
	s_mov_b32 s0, -1
                                        ; implicit-def: $vgpr6
.LBB66_961:
	s_delay_alu instid0(SALU_CYCLE_1)
	s_and_not1_b32 vcc_lo, exec_lo, s0
	s_cbranch_vccnz .LBB66_963
; %bb.962:
	global_load_u16 v6, v[0:1], off
	s_waitcnt vmcnt(0)
	v_cvt_f32_u32_e32 v6, v6
.LBB66_963:
	s_mov_b32 s0, 0
.LBB66_964:
	s_delay_alu instid0(SALU_CYCLE_1)
	s_and_not1_b32 vcc_lo, exec_lo, s0
	s_cbranch_vccnz .LBB66_972
; %bb.965:
	global_load_u8 v7, v[0:1], off
	s_mov_b32 s0, 0
	s_mov_b32 s25, exec_lo
                                        ; implicit-def: $sgpr1
	s_waitcnt vmcnt(0)
	v_cmpx_lt_i16_e32 0x7f, v7
	s_xor_b32 s25, exec_lo, s25
	s_cbranch_execz .LBB66_986
; %bb.966:
	s_mov_b32 s0, -1
	s_mov_b32 s26, exec_lo
                                        ; implicit-def: $sgpr1
	v_cmpx_eq_u16_e32 0x80, v7
; %bb.967:
	s_mov_b32 s1, 0x7f800001
	s_xor_b32 s0, exec_lo, -1
; %bb.968:
	s_or_b32 exec_lo, exec_lo, s26
	s_delay_alu instid0(SALU_CYCLE_1)
	s_and_b32 s0, s0, exec_lo
	s_or_saveexec_b32 s25, s25
	v_mov_b32_e32 v6, s1
	s_xor_b32 exec_lo, exec_lo, s25
	s_cbranch_execnz .LBB66_987
.LBB66_969:
	s_or_b32 exec_lo, exec_lo, s25
	s_and_saveexec_b32 s1, s0
	s_cbranch_execz .LBB66_971
.LBB66_970:
	v_and_b32_e32 v6, 0xffff, v7
	s_delay_alu instid0(VALU_DEP_1) | instskip(NEXT) | instid1(VALU_DEP_1)
	v_and_b32_e32 v8, 7, v6
	v_clz_i32_u32_e32 v11, v8
	s_delay_alu instid0(VALU_DEP_1) | instskip(NEXT) | instid1(VALU_DEP_1)
	v_min_u32_e32 v11, 32, v11
	v_subrev_nc_u32_e32 v12, 28, v11
	v_sub_nc_u32_e32 v11, 29, v11
	s_delay_alu instid0(VALU_DEP_2) | instskip(SKIP_1) | instid1(VALU_DEP_2)
	v_lshlrev_b32_e32 v12, v12, v6
	v_bfe_u32 v6, v6, 3, 4
	v_and_b32_e32 v12, 7, v12
	s_delay_alu instid0(VALU_DEP_2) | instskip(NEXT) | instid1(VALU_DEP_2)
	v_cmp_eq_u32_e32 vcc_lo, 0, v6
	v_dual_cndmask_b32 v8, v8, v12 :: v_dual_lshlrev_b32 v7, 24, v7
	v_cndmask_b32_e32 v6, v6, v11, vcc_lo
	s_delay_alu instid0(VALU_DEP_2) | instskip(NEXT) | instid1(VALU_DEP_3)
	v_and_b32_e32 v7, 0x80000000, v7
	v_lshlrev_b32_e32 v8, 20, v8
	s_delay_alu instid0(VALU_DEP_3) | instskip(NEXT) | instid1(VALU_DEP_1)
	v_lshl_add_u32 v6, v6, 23, 0x3b800000
	v_or3_b32 v6, v7, v6, v8
.LBB66_971:
	s_or_b32 exec_lo, exec_lo, s1
.LBB66_972:
	s_mov_b32 s0, -1
.LBB66_973:
	s_mov_b32 s1, 0
.LBB66_974:
	s_delay_alu instid0(SALU_CYCLE_1)
	s_and_b32 vcc_lo, exec_lo, s1
	s_cbranch_vccz .LBB66_1009
; %bb.975:
	v_cmp_lt_i16_e32 vcc_lo, 22, v2
	s_cbranch_vccz .LBB66_985
; %bb.976:
	v_cmp_gt_i16_e32 vcc_lo, 24, v2
	s_cbranch_vccnz .LBB66_988
; %bb.977:
	v_cmp_lt_i16_e32 vcc_lo, 24, v2
	s_cbranch_vccz .LBB66_989
; %bb.978:
	global_load_u8 v7, v[0:1], off
	s_mov_b32 s0, 0
	s_mov_b32 s25, exec_lo
                                        ; implicit-def: $sgpr1
	s_waitcnt vmcnt(0)
	v_cmpx_lt_i16_e32 0x7f, v7
	s_xor_b32 s25, exec_lo, s25
	s_cbranch_execz .LBB66_1001
; %bb.979:
	s_mov_b32 s0, -1
	s_mov_b32 s26, exec_lo
                                        ; implicit-def: $sgpr1
	v_cmpx_eq_u16_e32 0x80, v7
; %bb.980:
	s_mov_b32 s1, 0x7f800001
	s_xor_b32 s0, exec_lo, -1
; %bb.981:
	s_or_b32 exec_lo, exec_lo, s26
	s_delay_alu instid0(SALU_CYCLE_1)
	s_and_b32 s0, s0, exec_lo
	s_or_saveexec_b32 s25, s25
	v_mov_b32_e32 v6, s1
	s_xor_b32 exec_lo, exec_lo, s25
	s_cbranch_execnz .LBB66_1002
.LBB66_982:
	s_or_b32 exec_lo, exec_lo, s25
	s_and_saveexec_b32 s1, s0
	s_cbranch_execz .LBB66_984
.LBB66_983:
	v_and_b32_e32 v6, 0xffff, v7
	s_delay_alu instid0(VALU_DEP_1) | instskip(NEXT) | instid1(VALU_DEP_1)
	v_and_b32_e32 v8, 3, v6
	v_clz_i32_u32_e32 v11, v8
	s_delay_alu instid0(VALU_DEP_1) | instskip(NEXT) | instid1(VALU_DEP_1)
	v_min_u32_e32 v11, 32, v11
	v_subrev_nc_u32_e32 v12, 29, v11
	v_sub_nc_u32_e32 v11, 30, v11
	s_delay_alu instid0(VALU_DEP_2) | instskip(SKIP_1) | instid1(VALU_DEP_2)
	v_lshlrev_b32_e32 v12, v12, v6
	v_bfe_u32 v6, v6, 2, 5
	v_and_b32_e32 v12, 3, v12
	s_delay_alu instid0(VALU_DEP_2) | instskip(NEXT) | instid1(VALU_DEP_2)
	v_cmp_eq_u32_e32 vcc_lo, 0, v6
	v_dual_cndmask_b32 v8, v8, v12 :: v_dual_lshlrev_b32 v7, 24, v7
	v_cndmask_b32_e32 v6, v6, v11, vcc_lo
	s_delay_alu instid0(VALU_DEP_2) | instskip(NEXT) | instid1(VALU_DEP_3)
	v_and_b32_e32 v7, 0x80000000, v7
	v_lshlrev_b32_e32 v8, 21, v8
	s_delay_alu instid0(VALU_DEP_3) | instskip(NEXT) | instid1(VALU_DEP_1)
	v_lshl_add_u32 v6, v6, 23, 0x37800000
	v_or3_b32 v6, v7, v6, v8
.LBB66_984:
	s_or_b32 exec_lo, exec_lo, s1
	s_mov_b32 s0, 0
	s_branch .LBB66_990
.LBB66_985:
	s_mov_b32 s1, -1
                                        ; implicit-def: $vgpr6
	s_branch .LBB66_996
.LBB66_986:
	s_or_saveexec_b32 s25, s25
	v_mov_b32_e32 v6, s1
	s_xor_b32 exec_lo, exec_lo, s25
	s_cbranch_execz .LBB66_969
.LBB66_987:
	v_cmp_ne_u16_e32 vcc_lo, 0, v7
	v_mov_b32_e32 v6, 0
	s_and_not1_b32 s0, s0, exec_lo
	s_and_b32 s1, vcc_lo, exec_lo
	s_delay_alu instid0(SALU_CYCLE_1)
	s_or_b32 s0, s0, s1
	s_or_b32 exec_lo, exec_lo, s25
	s_and_saveexec_b32 s1, s0
	s_cbranch_execnz .LBB66_970
	s_branch .LBB66_971
.LBB66_988:
	s_mov_b32 s0, -1
                                        ; implicit-def: $vgpr6
	s_branch .LBB66_993
.LBB66_989:
	s_mov_b32 s0, -1
                                        ; implicit-def: $vgpr6
.LBB66_990:
	s_delay_alu instid0(SALU_CYCLE_1)
	s_and_b32 vcc_lo, exec_lo, s0
	s_cbranch_vccz .LBB66_992
; %bb.991:
	global_load_u8 v6, v[0:1], off
	s_waitcnt vmcnt(0)
	v_lshlrev_b32_e32 v6, 24, v6
	s_delay_alu instid0(VALU_DEP_1) | instskip(NEXT) | instid1(VALU_DEP_1)
	v_and_b32_e32 v7, 0x7f000000, v6
	v_clz_i32_u32_e32 v8, v7
	v_add_nc_u32_e32 v12, 0x1000000, v7
	v_cmp_ne_u32_e32 vcc_lo, 0, v7
	s_delay_alu instid0(VALU_DEP_3) | instskip(NEXT) | instid1(VALU_DEP_1)
	v_min_u32_e32 v8, 32, v8
	v_sub_nc_u32_e64 v8, v8, 4 clamp
	s_delay_alu instid0(VALU_DEP_1) | instskip(SKIP_1) | instid1(VALU_DEP_2)
	v_lshlrev_b32_e32 v11, v8, v7
	v_lshlrev_b32_e32 v8, 23, v8
	v_lshrrev_b32_e32 v11, 4, v11
	s_delay_alu instid0(VALU_DEP_1) | instskip(SKIP_1) | instid1(VALU_DEP_2)
	v_sub_nc_u32_e32 v8, v11, v8
	v_ashrrev_i32_e32 v11, 8, v12
	v_add_nc_u32_e32 v8, 0x3c000000, v8
	s_delay_alu instid0(VALU_DEP_1) | instskip(NEXT) | instid1(VALU_DEP_1)
	v_and_or_b32 v8, 0x7f800000, v11, v8
	v_cndmask_b32_e32 v7, 0, v8, vcc_lo
	s_delay_alu instid0(VALU_DEP_1)
	v_and_or_b32 v6, 0x80000000, v6, v7
.LBB66_992:
	s_mov_b32 s0, 0
.LBB66_993:
	s_delay_alu instid0(SALU_CYCLE_1)
	s_and_not1_b32 vcc_lo, exec_lo, s0
	s_cbranch_vccnz .LBB66_995
; %bb.994:
	global_load_u8 v6, v[0:1], off
	s_waitcnt vmcnt(0)
	v_lshlrev_b32_e32 v7, 25, v6
	v_lshlrev_b16 v6, 8, v6
	s_delay_alu instid0(VALU_DEP_2) | instskip(NEXT) | instid1(VALU_DEP_2)
	v_lshrrev_b32_e32 v8, 4, v7
	v_and_or_b32 v11, 0x7f00, v6, 0.5
	v_bfe_i32 v6, v6, 0, 16
	s_delay_alu instid0(VALU_DEP_3) | instskip(NEXT) | instid1(VALU_DEP_1)
	v_or_b32_e32 v8, 0x70000000, v8
	v_dual_add_f32 v11, -0.5, v11 :: v_dual_mul_f32 v8, 0x7800000, v8
	v_cmp_gt_u32_e32 vcc_lo, 0x8000000, v7
	s_delay_alu instid0(VALU_DEP_2) | instskip(NEXT) | instid1(VALU_DEP_1)
	v_cndmask_b32_e32 v7, v8, v11, vcc_lo
	v_and_or_b32 v6, 0x80000000, v6, v7
.LBB66_995:
	s_mov_b32 s1, 0
	s_mov_b32 s0, -1
.LBB66_996:
	s_and_not1_b32 vcc_lo, exec_lo, s1
	s_cbranch_vccnz .LBB66_1009
; %bb.997:
	v_cmp_lt_i16_e32 vcc_lo, 14, v2
	s_cbranch_vccz .LBB66_1000
; %bb.998:
	v_cmp_eq_u16_e32 vcc_lo, 15, v2
	s_cbranch_vccz .LBB66_1003
; %bb.999:
	global_load_u16 v6, v[0:1], off
	s_mov_b32 s0, -1
	s_mov_b32 s24, 0
	s_waitcnt vmcnt(0)
	v_lshlrev_b32_e32 v6, 16, v6
	s_branch .LBB66_1004
.LBB66_1000:
	s_mov_b32 s1, -1
                                        ; implicit-def: $vgpr6
	s_branch .LBB66_1005
.LBB66_1001:
	s_or_saveexec_b32 s25, s25
	v_mov_b32_e32 v6, s1
	s_xor_b32 exec_lo, exec_lo, s25
	s_cbranch_execz .LBB66_982
.LBB66_1002:
	v_cmp_ne_u16_e32 vcc_lo, 0, v7
	v_mov_b32_e32 v6, 0
	s_and_not1_b32 s0, s0, exec_lo
	s_and_b32 s1, vcc_lo, exec_lo
	s_delay_alu instid0(SALU_CYCLE_1)
	s_or_b32 s0, s0, s1
	s_or_b32 exec_lo, exec_lo, s25
	s_and_saveexec_b32 s1, s0
	s_cbranch_execnz .LBB66_983
	s_branch .LBB66_984
.LBB66_1003:
	s_mov_b32 s24, -1
                                        ; implicit-def: $vgpr6
.LBB66_1004:
	s_mov_b32 s1, 0
.LBB66_1005:
	s_delay_alu instid0(SALU_CYCLE_1)
	s_and_b32 vcc_lo, exec_lo, s1
	s_cbranch_vccz .LBB66_1009
; %bb.1006:
	v_cmp_eq_u16_e32 vcc_lo, 11, v2
	s_cbranch_vccz .LBB66_1008
; %bb.1007:
	global_load_u8 v6, v[0:1], off
	s_mov_b32 s24, 0
	s_mov_b32 s0, -1
	s_waitcnt vmcnt(0)
	v_cmp_ne_u16_e32 vcc_lo, 0, v6
	v_cndmask_b32_e64 v6, 0, 1.0, vcc_lo
	s_branch .LBB66_1009
.LBB66_1008:
	s_mov_b32 s24, -1
                                        ; implicit-def: $vgpr6
.LBB66_1009:
	s_mov_b32 s1, 0
.LBB66_1010:
	s_delay_alu instid0(SALU_CYCLE_1)
	s_and_b32 vcc_lo, exec_lo, s1
	s_cbranch_vccz .LBB66_1059
; %bb.1011:
	v_cmp_gt_i16_e32 vcc_lo, 5, v2
	s_cbranch_vccnz .LBB66_1016
; %bb.1012:
	v_cmp_gt_i16_e32 vcc_lo, 8, v2
	s_cbranch_vccnz .LBB66_1017
	;; [unrolled: 3-line block ×3, first 2 shown]
; %bb.1014:
	v_cmp_lt_i16_e32 vcc_lo, 9, v2
	s_cbranch_vccz .LBB66_1019
; %bb.1015:
	global_load_b64 v[6:7], v[0:1], off
	s_mov_b32 s0, 0
	s_waitcnt vmcnt(0)
	v_cvt_f32_f64_e32 v6, v[6:7]
	s_branch .LBB66_1020
.LBB66_1016:
	s_mov_b32 s0, -1
                                        ; implicit-def: $vgpr6
	s_branch .LBB66_1038
.LBB66_1017:
	s_mov_b32 s0, -1
                                        ; implicit-def: $vgpr6
	s_branch .LBB66_1026
.LBB66_1018:
	s_mov_b32 s0, -1
                                        ; implicit-def: $vgpr6
	s_branch .LBB66_1023
.LBB66_1019:
	s_mov_b32 s0, -1
                                        ; implicit-def: $vgpr6
.LBB66_1020:
	s_delay_alu instid0(SALU_CYCLE_1)
	s_and_not1_b32 vcc_lo, exec_lo, s0
	s_cbranch_vccnz .LBB66_1022
; %bb.1021:
	global_load_b32 v6, v[0:1], off
.LBB66_1022:
	s_mov_b32 s0, 0
.LBB66_1023:
	s_delay_alu instid0(SALU_CYCLE_1)
	s_and_not1_b32 vcc_lo, exec_lo, s0
	s_cbranch_vccnz .LBB66_1025
; %bb.1024:
	global_load_b32 v6, v[0:1], off
	s_waitcnt vmcnt(0)
	v_cvt_f32_f16_e32 v6, v6
.LBB66_1025:
	s_mov_b32 s0, 0
.LBB66_1026:
	s_delay_alu instid0(SALU_CYCLE_1)
	s_and_not1_b32 vcc_lo, exec_lo, s0
	s_cbranch_vccnz .LBB66_1037
; %bb.1027:
	v_cmp_gt_i16_e32 vcc_lo, 6, v2
	s_cbranch_vccnz .LBB66_1030
; %bb.1028:
	v_cmp_lt_i16_e32 vcc_lo, 6, v2
	s_cbranch_vccz .LBB66_1031
; %bb.1029:
	global_load_b64 v[6:7], v[0:1], off
	s_mov_b32 s0, 0
	s_waitcnt vmcnt(0)
	v_cvt_f32_f64_e32 v6, v[6:7]
	s_branch .LBB66_1032
.LBB66_1030:
	s_mov_b32 s0, -1
                                        ; implicit-def: $vgpr6
	s_branch .LBB66_1035
.LBB66_1031:
	s_mov_b32 s0, -1
                                        ; implicit-def: $vgpr6
.LBB66_1032:
	s_delay_alu instid0(SALU_CYCLE_1)
	s_and_not1_b32 vcc_lo, exec_lo, s0
	s_cbranch_vccnz .LBB66_1034
; %bb.1033:
	global_load_b32 v6, v[0:1], off
.LBB66_1034:
	s_mov_b32 s0, 0
.LBB66_1035:
	s_delay_alu instid0(SALU_CYCLE_1)
	s_and_not1_b32 vcc_lo, exec_lo, s0
	s_cbranch_vccnz .LBB66_1037
; %bb.1036:
	global_load_u16 v6, v[0:1], off
	s_waitcnt vmcnt(0)
	v_cvt_f32_f16_e32 v6, v6
.LBB66_1037:
	s_mov_b32 s0, 0
.LBB66_1038:
	s_delay_alu instid0(SALU_CYCLE_1)
	s_and_not1_b32 vcc_lo, exec_lo, s0
	s_cbranch_vccnz .LBB66_1058
; %bb.1039:
	v_cmp_gt_i16_e32 vcc_lo, 2, v2
	s_cbranch_vccnz .LBB66_1043
; %bb.1040:
	v_cmp_gt_i16_e32 vcc_lo, 3, v2
	s_cbranch_vccnz .LBB66_1044
; %bb.1041:
	v_cmp_lt_i16_e32 vcc_lo, 3, v2
	s_cbranch_vccz .LBB66_1045
; %bb.1042:
	global_load_b64 v[6:7], v[0:1], off
	s_mov_b32 s0, 0
	s_waitcnt vmcnt(0)
	v_xor_b32_e32 v8, v6, v7
	v_cls_i32_e32 v11, v7
	s_delay_alu instid0(VALU_DEP_2) | instskip(NEXT) | instid1(VALU_DEP_2)
	v_ashrrev_i32_e32 v8, 31, v8
	v_add_nc_u32_e32 v11, -1, v11
	s_delay_alu instid0(VALU_DEP_2) | instskip(NEXT) | instid1(VALU_DEP_1)
	v_add_nc_u32_e32 v8, 32, v8
	v_min_u32_e32 v8, v11, v8
	s_delay_alu instid0(VALU_DEP_1) | instskip(NEXT) | instid1(VALU_DEP_1)
	v_lshlrev_b64 v[6:7], v8, v[6:7]
	v_min_u32_e32 v6, 1, v6
	s_delay_alu instid0(VALU_DEP_1) | instskip(SKIP_1) | instid1(VALU_DEP_2)
	v_or_b32_e32 v6, v7, v6
	v_sub_nc_u32_e32 v7, 32, v8
	v_cvt_f32_i32_e32 v6, v6
	s_delay_alu instid0(VALU_DEP_1)
	v_ldexp_f32 v6, v6, v7
	s_branch .LBB66_1046
.LBB66_1043:
	s_mov_b32 s0, -1
                                        ; implicit-def: $vgpr6
	s_branch .LBB66_1052
.LBB66_1044:
	s_mov_b32 s0, -1
                                        ; implicit-def: $vgpr6
	s_branch .LBB66_1049
.LBB66_1045:
	s_mov_b32 s0, -1
                                        ; implicit-def: $vgpr6
.LBB66_1046:
	s_delay_alu instid0(SALU_CYCLE_1)
	s_and_not1_b32 vcc_lo, exec_lo, s0
	s_cbranch_vccnz .LBB66_1048
; %bb.1047:
	global_load_b32 v6, v[0:1], off
	s_waitcnt vmcnt(0)
	v_cvt_f32_i32_e32 v6, v6
.LBB66_1048:
	s_mov_b32 s0, 0
.LBB66_1049:
	s_delay_alu instid0(SALU_CYCLE_1)
	s_and_not1_b32 vcc_lo, exec_lo, s0
	s_cbranch_vccnz .LBB66_1051
; %bb.1050:
	global_load_i16 v6, v[0:1], off
	s_waitcnt vmcnt(0)
	v_cvt_f32_i32_e32 v6, v6
.LBB66_1051:
	s_mov_b32 s0, 0
.LBB66_1052:
	s_delay_alu instid0(SALU_CYCLE_1)
	s_and_not1_b32 vcc_lo, exec_lo, s0
	s_cbranch_vccnz .LBB66_1058
; %bb.1053:
	v_cmp_lt_i16_e32 vcc_lo, 0, v2
	s_mov_b32 s0, 0
	s_cbranch_vccz .LBB66_1055
; %bb.1054:
	global_load_i8 v2, v[0:1], off
	s_waitcnt vmcnt(0)
	v_cvt_f32_i32_e32 v6, v2
	s_branch .LBB66_1056
.LBB66_1055:
	s_mov_b32 s0, -1
                                        ; implicit-def: $vgpr6
.LBB66_1056:
	s_delay_alu instid0(SALU_CYCLE_1)
	s_and_not1_b32 vcc_lo, exec_lo, s0
	s_cbranch_vccnz .LBB66_1058
; %bb.1057:
	global_load_u8 v0, v[0:1], off
	s_waitcnt vmcnt(0)
	v_cvt_f32_ubyte0_e32 v6, v0
.LBB66_1058:
	s_mov_b32 s0, -1
.LBB66_1059:
	s_delay_alu instid0(SALU_CYCLE_1)
	s_and_not1_b32 vcc_lo, exec_lo, s0
	s_cbranch_vccnz .LBB66_1079
; %bb.1060:
	s_waitcnt vmcnt(0)
	s_delay_alu instid0(VALU_DEP_1) | instskip(SKIP_1) | instid1(VALU_DEP_1)
	v_trunc_f32_e32 v0, v6
	s_mov_b32 s25, exec_lo
	v_mul_f32_e64 v1, 0x2f800000, |v0|
	s_delay_alu instid0(VALU_DEP_1) | instskip(NEXT) | instid1(VALU_DEP_1)
	v_floor_f32_e32 v1, v1
	v_fma_f32 v2, 0xcf800000, v1, |v0|
	v_ashrrev_i32_e32 v0, 31, v0
	v_cvt_u32_f32_e32 v1, v1
	s_delay_alu instid0(VALU_DEP_3) | instskip(NEXT) | instid1(VALU_DEP_2)
	v_cvt_u32_f32_e32 v2, v2
	v_xor_b32_e32 v1, v1, v0
	s_delay_alu instid0(VALU_DEP_2) | instskip(NEXT) | instid1(VALU_DEP_1)
	v_xor_b32_e32 v2, v2, v0
	v_sub_co_u32 v7, vcc_lo, v2, v0
	s_delay_alu instid0(VALU_DEP_3) | instskip(SKIP_1) | instid1(VALU_DEP_2)
	v_sub_co_ci_u32_e32 v0, vcc_lo, v1, v0, vcc_lo
	v_cmp_class_f32_e64 vcc_lo, v6, 0x1f8
	v_dual_cndmask_b32 v2, -1, v0 :: v_dual_cndmask_b32 v1, -1, v7
	v_mov_b32_e32 v0, 0
	s_delay_alu instid0(VALU_DEP_2)
	v_cmpx_lt_i64_e32 -1, v[1:2]
	s_cbranch_execz .LBB66_1072
; %bb.1061:
	v_mov_b32_e32 v0, 1.0
	s_mov_b32 s26, exec_lo
	v_cmpx_lt_i64_e32 0, v[1:2]
	s_cbranch_execz .LBB66_1071
; %bb.1062:
                                        ; implicit-def: $vgpr0
	s_mov_b32 s0, exec_lo
	v_cmpx_ne_u64_e32 1, v[1:2]
	s_xor_b32 s27, exec_lo, s0
	s_cbranch_execz .LBB66_1068
; %bb.1063:
	v_mov_b32_e32 v0, 0x7fc00000
	s_mov_b32 s28, exec_lo
	v_cmpx_gt_u64_e32 0x81, v[1:2]
	s_cbranch_execz .LBB66_1067
; %bb.1064:
	v_dual_add_f32 v3, v3, v3 :: v_dual_mov_b32 v6, 1.0
	v_lshlrev_b64 v[1:2], 1, v[1:2]
	s_mov_b64 s[0:1], 2
	s_mov_b32 s29, 0
	s_delay_alu instid0(VALU_DEP_2)
	v_mov_b32_e32 v0, v3
.LBB66_1065:                            ; =>This Inner Loop Header: Depth=1
	s_clz_i32_u32 s30, s1
	s_delay_alu instid0(SALU_CYCLE_1) | instskip(NEXT) | instid1(SALU_CYCLE_1)
	s_min_u32 s33, s30, 32
	s_lshl_b64 s[30:31], s[0:1], s33
	s_delay_alu instid0(SALU_CYCLE_1) | instskip(NEXT) | instid1(SALU_CYCLE_1)
	s_min_u32 s30, s30, 1
	s_or_b32 s30, s31, s30
	s_delay_alu instid0(SALU_CYCLE_1) | instskip(SKIP_3) | instid1(SALU_CYCLE_1)
	v_cvt_f32_u32_e32 v7, s30
	s_sub_i32 s30, 32, s33
	s_add_u32 s0, s0, 2
	s_addc_u32 s1, s1, 0
	v_cmp_ge_u64_e32 vcc_lo, s[0:1], v[1:2]
	v_ldexp_f32 v7, v7, s30
	s_delay_alu instid0(VALU_DEP_1) | instskip(SKIP_1) | instid1(VALU_DEP_1)
	v_dual_mul_f32 v7, v6, v7 :: v_dual_mov_b32 v6, v0
	s_or_b32 s29, vcc_lo, s29
	v_fma_f32 v0, v3, v0, -v7
	s_and_not1_b32 exec_lo, exec_lo, s29
	s_cbranch_execnz .LBB66_1065
; %bb.1066:
	s_or_b32 exec_lo, exec_lo, s29
.LBB66_1067:
	s_delay_alu instid0(SALU_CYCLE_1)
	s_or_b32 exec_lo, exec_lo, s28
                                        ; implicit-def: $vgpr3
.LBB66_1068:
	s_and_not1_saveexec_b32 s0, s27
; %bb.1069:
	v_add_f32_e32 v0, v3, v3
; %bb.1070:
	s_or_b32 exec_lo, exec_lo, s0
.LBB66_1071:
	s_delay_alu instid0(SALU_CYCLE_1)
	s_or_b32 exec_lo, exec_lo, s26
.LBB66_1072:
	s_delay_alu instid0(SALU_CYCLE_1) | instskip(SKIP_2) | instid1(VALU_DEP_1)
	s_or_b32 exec_lo, exec_lo, s25
	v_mul_lo_u32 v1, v10, s8
	v_and_b32_e32 v6, 0xff, v9
	v_cmp_gt_i16_e32 vcc_lo, 11, v6
	s_delay_alu instid0(VALU_DEP_3) | instskip(SKIP_1) | instid1(VALU_DEP_1)
	v_ashrrev_i32_e32 v3, 31, v1
	v_add_co_u32 v2, s0, s4, v1
	v_add_co_ci_u32_e64 v3, s0, s5, v3, s0
	s_cbranch_vccnz .LBB66_1080
; %bb.1073:
	v_cmp_lt_i16_e32 vcc_lo, 25, v6
	s_cbranch_vccz .LBB66_1081
; %bb.1074:
	v_cmp_lt_i16_e32 vcc_lo, 28, v6
	s_cbranch_vccz .LBB66_1082
	;; [unrolled: 3-line block ×4, first 2 shown]
; %bb.1077:
	v_cmp_eq_u16_e32 vcc_lo, 46, v6
	s_mov_b32 s25, 0
	s_mov_b32 s0, -1
	s_mov_b32 s1, 0
	s_cbranch_vccz .LBB66_1085
; %bb.1078:
	v_bfe_u32 v1, v0, 16, 1
	v_cmp_o_f32_e32 vcc_lo, v0, v0
	s_mov_b32 s1, -1
	s_mov_b32 s0, 0
	s_delay_alu instid0(VALU_DEP_2) | instskip(NEXT) | instid1(VALU_DEP_1)
	v_add3_u32 v1, v0, v1, 0x7fff
	v_lshrrev_b32_e32 v1, 16, v1
	s_delay_alu instid0(VALU_DEP_1)
	v_cndmask_b32_e32 v1, 0x7fc0, v1, vcc_lo
	global_store_b32 v[2:3], v1, off
	s_branch .LBB66_1085
.LBB66_1079:
	s_mov_b32 s26, 0
	s_mov_b32 s0, s19
	s_branch .LBB66_1196
.LBB66_1080:
	s_mov_b32 s25, -1
	s_mov_b32 s1, 0
	s_mov_b32 s0, s19
	s_branch .LBB66_1154
.LBB66_1081:
	s_mov_b32 s25, -1
	s_mov_b32 s1, 0
	s_mov_b32 s0, s19
	s_branch .LBB66_1112
.LBB66_1082:
	s_mov_b32 s25, -1
	s_mov_b32 s1, 0
	s_mov_b32 s0, s19
	s_branch .LBB66_1095
.LBB66_1083:
	s_mov_b32 s25, -1
	s_mov_b32 s1, 0
	s_mov_b32 s0, s19
	s_branch .LBB66_1091
.LBB66_1084:
	s_mov_b32 s25, -1
	s_mov_b32 s1, 0
	s_mov_b32 s0, s19
.LBB66_1085:
	s_and_b32 vcc_lo, exec_lo, s25
	s_cbranch_vccz .LBB66_1090
; %bb.1086:
	v_cmp_eq_u16_e32 vcc_lo, 44, v6
	s_mov_b32 s0, -1
	s_cbranch_vccz .LBB66_1090
; %bb.1087:
	v_bfe_u32 v7, v0, 23, 8
	v_mov_b32_e32 v1, 0xff
	s_mov_b32 s1, exec_lo
	s_delay_alu instid0(VALU_DEP_2)
	v_cmpx_ne_u32_e32 0xff, v7
; %bb.1088:
	v_and_b32_e32 v1, 0x400000, v0
	v_and_or_b32 v7, 0x3fffff, v0, v7
	s_delay_alu instid0(VALU_DEP_2) | instskip(NEXT) | instid1(VALU_DEP_2)
	v_cmp_ne_u32_e32 vcc_lo, 0, v1
	v_cmp_ne_u32_e64 s0, 0, v7
	v_lshrrev_b32_e32 v1, 23, v0
	s_delay_alu instid0(VALU_DEP_2) | instskip(NEXT) | instid1(SALU_CYCLE_1)
	s_and_b32 s0, vcc_lo, s0
	v_cndmask_b32_e64 v7, 0, 1, s0
	s_delay_alu instid0(VALU_DEP_1)
	v_add_nc_u32_e32 v1, v1, v7
; %bb.1089:
	s_or_b32 exec_lo, exec_lo, s1
	s_mov_b32 s1, -1
	s_mov_b32 s0, 0
	global_store_b8 v[2:3], v1, off
.LBB66_1090:
	s_mov_b32 s25, 0
.LBB66_1091:
	s_delay_alu instid0(SALU_CYCLE_1)
	s_and_b32 vcc_lo, exec_lo, s25
	s_cbranch_vccz .LBB66_1094
; %bb.1092:
	v_cmp_eq_u16_e32 vcc_lo, 29, v6
	s_mov_b32 s0, -1
	s_cbranch_vccz .LBB66_1094
; %bb.1093:
	v_trunc_f32_e32 v1, v0
	s_mov_b32 s1, -1
	s_mov_b32 s0, 0
	s_mov_b32 s25, 0
	s_delay_alu instid0(VALU_DEP_1) | instskip(NEXT) | instid1(VALU_DEP_1)
	v_mul_f32_e32 v7, 0x2f800000, v1
	v_floor_f32_e32 v7, v7
	s_delay_alu instid0(VALU_DEP_1) | instskip(SKIP_1) | instid1(VALU_DEP_2)
	v_fmamk_f32 v1, v7, 0xcf800000, v1
	v_cvt_u32_f32_e32 v8, v7
	v_cvt_u32_f32_e32 v7, v1
	global_store_b64 v[2:3], v[7:8], off
	s_branch .LBB66_1095
.LBB66_1094:
	s_mov_b32 s25, 0
.LBB66_1095:
	s_delay_alu instid0(SALU_CYCLE_1)
	s_and_b32 vcc_lo, exec_lo, s25
	s_cbranch_vccz .LBB66_1111
; %bb.1096:
	v_cmp_gt_i16_e32 vcc_lo, 27, v6
	s_mov_b32 s1, -1
	s_cbranch_vccnz .LBB66_1102
; %bb.1097:
	v_cmp_lt_i16_e32 vcc_lo, 27, v6
	v_cvt_u32_f32_e32 v1, v0
	s_cbranch_vccz .LBB66_1099
; %bb.1098:
	s_mov_b32 s1, 0
	global_store_b32 v[2:3], v1, off
.LBB66_1099:
	s_and_not1_b32 vcc_lo, exec_lo, s1
	s_cbranch_vccnz .LBB66_1101
; %bb.1100:
	global_store_b16 v[2:3], v1, off
.LBB66_1101:
	s_mov_b32 s1, 0
.LBB66_1102:
	s_delay_alu instid0(SALU_CYCLE_1)
	s_and_not1_b32 vcc_lo, exec_lo, s1
	s_cbranch_vccnz .LBB66_1110
; %bb.1103:
	v_and_b32_e32 v1, 0x7fffffff, v0
	v_mov_b32_e32 v7, 0x80
	s_mov_b32 s1, exec_lo
	s_delay_alu instid0(VALU_DEP_2)
	v_cmpx_gt_u32_e32 0x43800000, v1
	s_cbranch_execz .LBB66_1109
; %bb.1104:
	v_cmp_lt_u32_e32 vcc_lo, 0x3bffffff, v1
	s_mov_b32 s25, 0
                                        ; implicit-def: $vgpr1
	s_and_saveexec_b32 s26, vcc_lo
	s_delay_alu instid0(SALU_CYCLE_1)
	s_xor_b32 s26, exec_lo, s26
	s_cbranch_execz .LBB66_1212
; %bb.1105:
	v_bfe_u32 v1, v0, 20, 1
	s_mov_b32 s25, exec_lo
	s_delay_alu instid0(VALU_DEP_1) | instskip(NEXT) | instid1(VALU_DEP_1)
	v_add3_u32 v1, v0, v1, 0x487ffff
	v_lshrrev_b32_e32 v1, 20, v1
	s_or_saveexec_b32 s26, s26
                                        ; implicit-def: $sgpr27
	s_delay_alu instid0(SALU_CYCLE_1)
	s_xor_b32 exec_lo, exec_lo, s26
	s_cbranch_execnz .LBB66_1213
.LBB66_1106:
	s_or_b32 exec_lo, exec_lo, s26
	v_mov_b32_e32 v7, s27
	s_and_saveexec_b32 s26, s25
.LBB66_1107:
	v_lshrrev_b32_e32 v7, 24, v0
	s_delay_alu instid0(VALU_DEP_1)
	v_and_or_b32 v7, 0x80, v7, v1
.LBB66_1108:
	s_or_b32 exec_lo, exec_lo, s26
.LBB66_1109:
	s_delay_alu instid0(SALU_CYCLE_1)
	s_or_b32 exec_lo, exec_lo, s1
	global_store_b8 v[2:3], v7, off
.LBB66_1110:
	s_mov_b32 s1, -1
.LBB66_1111:
	s_mov_b32 s25, 0
.LBB66_1112:
	s_delay_alu instid0(SALU_CYCLE_1)
	s_and_b32 vcc_lo, exec_lo, s25
	s_cbranch_vccz .LBB66_1153
; %bb.1113:
	v_cmp_lt_i16_e32 vcc_lo, 22, v6
	s_mov_b32 s25, -1
	s_cbranch_vccz .LBB66_1145
; %bb.1114:
	v_cmp_gt_i16_e32 vcc_lo, 24, v6
	s_mov_b32 s1, -1
	s_cbranch_vccnz .LBB66_1134
; %bb.1115:
	v_cmp_lt_i16_e32 vcc_lo, 24, v6
	s_cbranch_vccz .LBB66_1123
; %bb.1116:
	v_and_b32_e32 v1, 0x7fffffff, v0
	v_mov_b32_e32 v7, 0x80
	s_mov_b32 s1, exec_lo
	s_delay_alu instid0(VALU_DEP_2)
	v_cmpx_gt_u32_e32 0x47800000, v1
	s_cbranch_execz .LBB66_1122
; %bb.1117:
	v_cmp_lt_u32_e32 vcc_lo, 0x37ffffff, v1
	s_mov_b32 s25, 0
                                        ; implicit-def: $vgpr1
	s_and_saveexec_b32 s26, vcc_lo
	s_delay_alu instid0(SALU_CYCLE_1)
	s_xor_b32 s26, exec_lo, s26
	s_cbranch_execz .LBB66_2303
; %bb.1118:
	v_bfe_u32 v1, v0, 21, 1
	s_mov_b32 s25, exec_lo
	s_delay_alu instid0(VALU_DEP_1) | instskip(NEXT) | instid1(VALU_DEP_1)
	v_add3_u32 v1, v0, v1, 0x88fffff
	v_lshrrev_b32_e32 v1, 21, v1
	s_or_saveexec_b32 s26, s26
                                        ; implicit-def: $sgpr27
	s_delay_alu instid0(SALU_CYCLE_1)
	s_xor_b32 exec_lo, exec_lo, s26
	s_cbranch_execnz .LBB66_2304
.LBB66_1119:
	s_or_b32 exec_lo, exec_lo, s26
	v_mov_b32_e32 v7, s27
	s_and_saveexec_b32 s26, s25
.LBB66_1120:
	v_lshrrev_b32_e32 v7, 24, v0
	s_delay_alu instid0(VALU_DEP_1)
	v_and_or_b32 v7, 0x80, v7, v1
.LBB66_1121:
	s_or_b32 exec_lo, exec_lo, s26
.LBB66_1122:
	s_delay_alu instid0(SALU_CYCLE_1)
	s_or_b32 exec_lo, exec_lo, s1
	s_mov_b32 s1, 0
	global_store_b8 v[2:3], v7, off
.LBB66_1123:
	s_and_b32 vcc_lo, exec_lo, s1
	s_cbranch_vccz .LBB66_1133
; %bb.1124:
	v_and_b32_e32 v7, 0x7fffffff, v0
	s_mov_b32 s1, exec_lo
                                        ; implicit-def: $vgpr1
	s_delay_alu instid0(VALU_DEP_1)
	v_cmpx_gt_u32_e32 0x43f00000, v7
	s_xor_b32 s1, exec_lo, s1
	s_cbranch_execz .LBB66_1130
; %bb.1125:
	s_mov_b32 s25, exec_lo
                                        ; implicit-def: $vgpr1
	v_cmpx_lt_u32_e32 0x3c7fffff, v7
	s_xor_b32 s25, exec_lo, s25
; %bb.1126:
	v_bfe_u32 v1, v0, 20, 1
	s_delay_alu instid0(VALU_DEP_1) | instskip(NEXT) | instid1(VALU_DEP_1)
	v_add3_u32 v1, v0, v1, 0x407ffff
	v_and_b32_e32 v7, 0xff00000, v1
	v_lshrrev_b32_e32 v1, 20, v1
	s_delay_alu instid0(VALU_DEP_2) | instskip(NEXT) | instid1(VALU_DEP_2)
	v_cmp_ne_u32_e32 vcc_lo, 0x7f00000, v7
	v_cndmask_b32_e32 v1, 0x7e, v1, vcc_lo
; %bb.1127:
	s_and_not1_saveexec_b32 s25, s25
; %bb.1128:
	v_add_f32_e64 v1, 0x46800000, |v0|
; %bb.1129:
	s_or_b32 exec_lo, exec_lo, s25
                                        ; implicit-def: $vgpr7
.LBB66_1130:
	s_and_not1_saveexec_b32 s1, s1
; %bb.1131:
	v_mov_b32_e32 v1, 0x7f
	v_cmp_lt_u32_e32 vcc_lo, 0x7f800000, v7
	s_delay_alu instid0(VALU_DEP_2)
	v_cndmask_b32_e32 v1, 0x7e, v1, vcc_lo
; %bb.1132:
	s_or_b32 exec_lo, exec_lo, s1
	v_lshrrev_b32_e32 v7, 24, v0
	s_delay_alu instid0(VALU_DEP_1)
	v_and_or_b32 v1, 0x80, v7, v1
	global_store_b8 v[2:3], v1, off
.LBB66_1133:
	s_mov_b32 s1, 0
.LBB66_1134:
	s_delay_alu instid0(SALU_CYCLE_1)
	s_and_not1_b32 vcc_lo, exec_lo, s1
	s_cbranch_vccnz .LBB66_1144
; %bb.1135:
	v_and_b32_e32 v7, 0x7fffffff, v0
	s_mov_b32 s1, exec_lo
                                        ; implicit-def: $vgpr1
	s_delay_alu instid0(VALU_DEP_1)
	v_cmpx_gt_u32_e32 0x47800000, v7
	s_xor_b32 s1, exec_lo, s1
	s_cbranch_execz .LBB66_1141
; %bb.1136:
	s_mov_b32 s25, exec_lo
                                        ; implicit-def: $vgpr1
	v_cmpx_lt_u32_e32 0x387fffff, v7
	s_xor_b32 s25, exec_lo, s25
; %bb.1137:
	v_bfe_u32 v1, v0, 21, 1
	s_delay_alu instid0(VALU_DEP_1) | instskip(NEXT) | instid1(VALU_DEP_1)
	v_add3_u32 v1, v0, v1, 0x80fffff
	v_lshrrev_b32_e32 v1, 21, v1
; %bb.1138:
	s_and_not1_saveexec_b32 s25, s25
; %bb.1139:
	v_add_f32_e64 v1, 0x43000000, |v0|
; %bb.1140:
	s_or_b32 exec_lo, exec_lo, s25
                                        ; implicit-def: $vgpr7
.LBB66_1141:
	s_and_not1_saveexec_b32 s1, s1
; %bb.1142:
	v_mov_b32_e32 v1, 0x7f
	v_cmp_lt_u32_e32 vcc_lo, 0x7f800000, v7
	s_delay_alu instid0(VALU_DEP_2)
	v_cndmask_b32_e32 v1, 0x7c, v1, vcc_lo
; %bb.1143:
	s_or_b32 exec_lo, exec_lo, s1
	v_lshrrev_b32_e32 v7, 24, v0
	s_delay_alu instid0(VALU_DEP_1)
	v_and_or_b32 v1, 0x80, v7, v1
	global_store_b8 v[2:3], v1, off
.LBB66_1144:
	s_mov_b32 s25, 0
	s_mov_b32 s1, -1
.LBB66_1145:
	s_and_not1_b32 vcc_lo, exec_lo, s25
	s_cbranch_vccnz .LBB66_1153
; %bb.1146:
	v_cmp_lt_i16_e32 vcc_lo, 14, v6
	s_mov_b32 s25, -1
	s_cbranch_vccz .LBB66_1150
; %bb.1147:
	v_cmp_eq_u16_e32 vcc_lo, 15, v6
	s_mov_b32 s0, -1
	s_cbranch_vccz .LBB66_1149
; %bb.1148:
	v_bfe_u32 v1, v0, 16, 1
	v_cmp_o_f32_e32 vcc_lo, v0, v0
	s_mov_b32 s1, -1
	s_mov_b32 s0, 0
	s_delay_alu instid0(VALU_DEP_2) | instskip(NEXT) | instid1(VALU_DEP_1)
	v_add3_u32 v1, v0, v1, 0x7fff
	v_lshrrev_b32_e32 v1, 16, v1
	s_delay_alu instid0(VALU_DEP_1)
	v_cndmask_b32_e32 v1, 0x7fc0, v1, vcc_lo
	global_store_b16 v[2:3], v1, off
.LBB66_1149:
	s_mov_b32 s25, 0
.LBB66_1150:
	s_delay_alu instid0(SALU_CYCLE_1)
	s_and_b32 vcc_lo, exec_lo, s25
	s_cbranch_vccz .LBB66_1153
; %bb.1151:
	v_cmp_eq_u16_e32 vcc_lo, 11, v6
	s_mov_b32 s0, -1
	s_cbranch_vccz .LBB66_1153
; %bb.1152:
	v_cmp_neq_f32_e32 vcc_lo, 0, v0
	s_mov_b32 s0, 0
	s_mov_b32 s1, -1
	v_cndmask_b32_e64 v1, 0, 1, vcc_lo
	global_store_b8 v[2:3], v1, off
.LBB66_1153:
	s_mov_b32 s25, 0
.LBB66_1154:
	s_delay_alu instid0(SALU_CYCLE_1)
	s_and_b32 vcc_lo, exec_lo, s25
	s_cbranch_vccz .LBB66_1193
; %bb.1155:
	v_cmp_gt_i16_e32 vcc_lo, 5, v6
	s_mov_b32 s1, -1
	s_cbranch_vccnz .LBB66_1176
; %bb.1156:
	v_cmp_gt_i16_e32 vcc_lo, 8, v6
	s_cbranch_vccnz .LBB66_1166
; %bb.1157:
	v_cmp_gt_i16_e32 vcc_lo, 9, v6
	s_cbranch_vccnz .LBB66_1163
; %bb.1158:
	v_cmp_lt_i16_e32 vcc_lo, 9, v6
	s_cbranch_vccz .LBB66_1160
; %bb.1159:
	v_cvt_f64_f32_e32 v[11:12], v0
	v_mov_b32_e32 v13, 0
	s_mov_b32 s1, 0
	s_delay_alu instid0(VALU_DEP_1)
	v_mov_b32_e32 v14, v13
	global_store_b128 v[2:3], v[11:14], off
.LBB66_1160:
	s_and_not1_b32 vcc_lo, exec_lo, s1
	s_cbranch_vccnz .LBB66_1162
; %bb.1161:
	v_mov_b32_e32 v1, 0
	global_store_b64 v[2:3], v[0:1], off
.LBB66_1162:
	s_mov_b32 s1, 0
.LBB66_1163:
	s_delay_alu instid0(SALU_CYCLE_1)
	s_and_not1_b32 vcc_lo, exec_lo, s1
	s_cbranch_vccnz .LBB66_1165
; %bb.1164:
	v_cvt_f16_f32_e32 v1, v0
	s_delay_alu instid0(VALU_DEP_1)
	v_and_b32_e32 v1, 0xffff, v1
	global_store_b32 v[2:3], v1, off
.LBB66_1165:
	s_mov_b32 s1, 0
.LBB66_1166:
	s_delay_alu instid0(SALU_CYCLE_1)
	s_and_not1_b32 vcc_lo, exec_lo, s1
	s_cbranch_vccnz .LBB66_1175
; %bb.1167:
	v_cmp_gt_i16_e32 vcc_lo, 6, v6
	s_mov_b32 s1, -1
	s_cbranch_vccnz .LBB66_1173
; %bb.1168:
	v_cmp_lt_i16_e32 vcc_lo, 6, v6
	s_cbranch_vccz .LBB66_1170
; %bb.1169:
	v_cvt_f64_f32_e32 v[7:8], v0
	s_mov_b32 s1, 0
	global_store_b64 v[2:3], v[7:8], off
.LBB66_1170:
	s_and_not1_b32 vcc_lo, exec_lo, s1
	s_cbranch_vccnz .LBB66_1172
; %bb.1171:
	global_store_b32 v[2:3], v0, off
.LBB66_1172:
	s_mov_b32 s1, 0
.LBB66_1173:
	s_delay_alu instid0(SALU_CYCLE_1)
	s_and_not1_b32 vcc_lo, exec_lo, s1
	s_cbranch_vccnz .LBB66_1175
; %bb.1174:
	v_cvt_f16_f32_e32 v1, v0
	global_store_b16 v[2:3], v1, off
.LBB66_1175:
	s_mov_b32 s1, 0
.LBB66_1176:
	s_delay_alu instid0(SALU_CYCLE_1)
	s_and_not1_b32 vcc_lo, exec_lo, s1
	s_cbranch_vccnz .LBB66_1192
; %bb.1177:
	v_cmp_gt_i16_e32 vcc_lo, 2, v6
	s_mov_b32 s1, -1
	s_cbranch_vccnz .LBB66_1187
; %bb.1178:
	v_cmp_gt_i16_e32 vcc_lo, 3, v6
	s_cbranch_vccnz .LBB66_1184
; %bb.1179:
	v_cmp_lt_i16_e32 vcc_lo, 3, v6
	s_cbranch_vccz .LBB66_1181
; %bb.1180:
	v_trunc_f32_e32 v1, v0
	s_mov_b32 s1, 0
	s_delay_alu instid0(VALU_DEP_1) | instskip(NEXT) | instid1(VALU_DEP_1)
	v_mul_f32_e64 v7, 0x2f800000, |v1|
	v_floor_f32_e32 v7, v7
	s_delay_alu instid0(VALU_DEP_1) | instskip(SKIP_2) | instid1(VALU_DEP_3)
	v_fma_f32 v8, 0xcf800000, v7, |v1|
	v_ashrrev_i32_e32 v1, 31, v1
	v_cvt_u32_f32_e32 v7, v7
	v_cvt_u32_f32_e32 v8, v8
	s_delay_alu instid0(VALU_DEP_2) | instskip(NEXT) | instid1(VALU_DEP_2)
	v_xor_b32_e32 v11, v7, v1
	v_xor_b32_e32 v8, v8, v1
	s_delay_alu instid0(VALU_DEP_1) | instskip(NEXT) | instid1(VALU_DEP_3)
	v_sub_co_u32 v7, vcc_lo, v8, v1
	v_sub_co_ci_u32_e32 v8, vcc_lo, v11, v1, vcc_lo
	global_store_b64 v[2:3], v[7:8], off
.LBB66_1181:
	s_and_not1_b32 vcc_lo, exec_lo, s1
	s_cbranch_vccnz .LBB66_1183
; %bb.1182:
	v_cvt_i32_f32_e32 v1, v0
	global_store_b32 v[2:3], v1, off
.LBB66_1183:
	s_mov_b32 s1, 0
.LBB66_1184:
	s_delay_alu instid0(SALU_CYCLE_1)
	s_and_not1_b32 vcc_lo, exec_lo, s1
	s_cbranch_vccnz .LBB66_1186
; %bb.1185:
	v_cvt_i32_f32_e32 v1, v0
	global_store_b16 v[2:3], v1, off
.LBB66_1186:
	s_mov_b32 s1, 0
.LBB66_1187:
	s_delay_alu instid0(SALU_CYCLE_1)
	s_and_not1_b32 vcc_lo, exec_lo, s1
	s_cbranch_vccnz .LBB66_1192
; %bb.1188:
	v_cmp_lt_i16_e32 vcc_lo, 0, v6
	s_mov_b32 s1, -1
	s_cbranch_vccz .LBB66_1190
; %bb.1189:
	v_cvt_i32_f32_e32 v1, v0
	s_mov_b32 s1, 0
	global_store_b8 v[2:3], v1, off
.LBB66_1190:
	s_and_not1_b32 vcc_lo, exec_lo, s1
	s_cbranch_vccnz .LBB66_1192
; %bb.1191:
	v_trunc_f32_e32 v0, v0
	s_delay_alu instid0(VALU_DEP_1) | instskip(NEXT) | instid1(VALU_DEP_1)
	v_mul_f32_e64 v1, 0x2f800000, |v0|
	v_floor_f32_e32 v1, v1
	s_delay_alu instid0(VALU_DEP_1) | instskip(SKIP_1) | instid1(VALU_DEP_2)
	v_fma_f32 v1, 0xcf800000, v1, |v0|
	v_ashrrev_i32_e32 v0, 31, v0
	v_cvt_u32_f32_e32 v1, v1
	s_delay_alu instid0(VALU_DEP_1) | instskip(NEXT) | instid1(VALU_DEP_1)
	v_xor_b32_e32 v1, v1, v0
	v_sub_nc_u32_e32 v0, v1, v0
	global_store_b8 v[2:3], v0, off
.LBB66_1192:
	s_mov_b32 s1, -1
.LBB66_1193:
	s_delay_alu instid0(SALU_CYCLE_1)
	s_and_not1_b32 vcc_lo, exec_lo, s1
	s_cbranch_vccnz .LBB66_1195
; %bb.1194:
	v_add_nc_u32_e32 v10, 0x80, v10
	s_mov_b32 s26, -1
	s_branch .LBB66_1197
.LBB66_1195:
	s_mov_b32 s26, 0
.LBB66_1196:
                                        ; implicit-def: $vgpr10
.LBB66_1197:
	s_and_not1_b32 s1, s19, exec_lo
	s_and_b32 s0, s0, exec_lo
	s_and_b32 s27, s23, exec_lo
	s_or_b32 s25, s1, s0
	s_and_not1_b32 s0, s20, exec_lo
	s_and_b32 s1, s24, exec_lo
	s_and_not1_b32 s24, s18, exec_lo
	s_or_b32 s23, s0, s1
	s_or_b32 s1, s24, s27
	s_or_not1_b32 s27, s26, exec_lo
.LBB66_1198:
	s_or_b32 exec_lo, exec_lo, s22
	s_mov_b32 s24, 0
	s_mov_b32 s26, 0
	;; [unrolled: 1-line block ×3, first 2 shown]
                                        ; implicit-def: $vgpr2
                                        ; implicit-def: $vgpr0_vgpr1
                                        ; implicit-def: $vgpr6
	s_and_saveexec_b32 s22, s27
	s_cbranch_execz .LBB66_1281
; %bb.1199:
	v_cmp_gt_i32_e32 vcc_lo, s14, v10
	s_mov_b32 s27, s1
	s_mov_b32 s28, 0
                                        ; implicit-def: $vgpr2
                                        ; implicit-def: $vgpr0_vgpr1
                                        ; implicit-def: $vgpr6
	s_and_saveexec_b32 s14, vcc_lo
	s_cbranch_execz .LBB66_1280
; %bb.1200:
	v_mul_lo_u32 v0, v10, s9
	v_and_b32_e32 v2, 0xff, v5
	s_delay_alu instid0(VALU_DEP_1) | instskip(NEXT) | instid1(VALU_DEP_3)
	v_cmp_gt_i16_e32 vcc_lo, 11, v2
	v_ashrrev_i32_e32 v1, 31, v0
	v_add_co_u32 v0, s0, s6, v0
	s_delay_alu instid0(VALU_DEP_1)
	v_add_co_ci_u32_e64 v1, s0, s7, v1, s0
	s_cbranch_vccnz .LBB66_1207
; %bb.1201:
	v_cmp_lt_i16_e32 vcc_lo, 25, v2
	s_cbranch_vccz .LBB66_1208
; %bb.1202:
	v_cmp_lt_i16_e32 vcc_lo, 28, v2
	s_cbranch_vccz .LBB66_1209
	;; [unrolled: 3-line block ×4, first 2 shown]
; %bb.1205:
	v_cmp_eq_u16_e32 vcc_lo, 46, v2
	s_mov_b32 s27, 0
	s_cbranch_vccz .LBB66_1214
; %bb.1206:
	global_load_b32 v3, v[0:1], off
	s_mov_b32 s0, 0
	s_mov_b32 s26, -1
	s_waitcnt vmcnt(0)
	v_lshlrev_b32_e32 v6, 16, v3
	s_branch .LBB66_1216
.LBB66_1207:
	s_mov_b32 s27, -1
	s_mov_b32 s0, s1
                                        ; implicit-def: $vgpr6
	s_branch .LBB66_1279
.LBB66_1208:
	s_mov_b32 s27, -1
	s_mov_b32 s0, s1
                                        ; implicit-def: $vgpr6
	s_branch .LBB66_1245
.LBB66_1209:
	s_mov_b32 s27, -1
	s_mov_b32 s0, s1
                                        ; implicit-def: $vgpr6
	s_branch .LBB66_1226
.LBB66_1210:
	s_mov_b32 s27, -1
	s_mov_b32 s0, s1
                                        ; implicit-def: $vgpr6
	s_branch .LBB66_1221
.LBB66_1211:
	s_mov_b32 s27, -1
	s_mov_b32 s0, s1
	s_branch .LBB66_1215
.LBB66_1212:
	s_or_saveexec_b32 s26, s26
                                        ; implicit-def: $sgpr27
	s_delay_alu instid0(SALU_CYCLE_1)
	s_xor_b32 exec_lo, exec_lo, s26
	s_cbranch_execz .LBB66_1106
.LBB66_1213:
	v_add_f32_e64 v1, 0x46000000, |v0|
	s_and_not1_b32 s25, s25, exec_lo
	s_mov_b32 s27, 0
	s_delay_alu instid0(VALU_DEP_1) | instskip(NEXT) | instid1(VALU_DEP_1)
	v_and_b32_e32 v1, 0xff, v1
	v_cmp_ne_u32_e32 vcc_lo, 0, v1
	s_and_b32 s28, vcc_lo, exec_lo
	s_delay_alu instid0(SALU_CYCLE_1)
	s_or_b32 s25, s25, s28
	s_or_b32 exec_lo, exec_lo, s26
	v_mov_b32_e32 v7, s27
	s_and_saveexec_b32 s26, s25
	s_cbranch_execnz .LBB66_1107
	s_branch .LBB66_1108
.LBB66_1214:
	s_mov_b32 s0, -1
.LBB66_1215:
                                        ; implicit-def: $vgpr6
.LBB66_1216:
	s_and_b32 vcc_lo, exec_lo, s27
	s_cbranch_vccz .LBB66_1220
; %bb.1217:
	v_cmp_eq_u16_e32 vcc_lo, 44, v2
	s_cbranch_vccz .LBB66_1219
; %bb.1218:
	global_load_u8 v3, v[0:1], off
	s_mov_b32 s0, 0
	s_mov_b32 s26, -1
	s_waitcnt vmcnt(0)
	v_lshlrev_b32_e32 v5, 23, v3
	v_cmp_ne_u32_e32 vcc_lo, 0xff, v3
	s_delay_alu instid0(VALU_DEP_2) | instskip(SKIP_1) | instid1(VALU_DEP_2)
	v_cndmask_b32_e32 v5, 0x7f800001, v5, vcc_lo
	v_cmp_ne_u32_e32 vcc_lo, 0, v3
	v_cndmask_b32_e32 v6, 0x400000, v5, vcc_lo
	s_branch .LBB66_1220
.LBB66_1219:
	s_mov_b32 s0, -1
                                        ; implicit-def: $vgpr6
.LBB66_1220:
	s_mov_b32 s27, 0
.LBB66_1221:
	s_delay_alu instid0(SALU_CYCLE_1)
	s_and_b32 vcc_lo, exec_lo, s27
	s_cbranch_vccz .LBB66_1225
; %bb.1222:
	v_cmp_eq_u16_e32 vcc_lo, 29, v2
	s_cbranch_vccz .LBB66_1224
; %bb.1223:
	global_load_b64 v[5:6], v[0:1], off
	s_mov_b32 s0, 0
	s_mov_b32 s26, -1
	s_mov_b32 s27, 0
	s_waitcnt vmcnt(0)
	v_clz_i32_u32_e32 v3, v6
	s_delay_alu instid0(VALU_DEP_1) | instskip(NEXT) | instid1(VALU_DEP_1)
	v_min_u32_e32 v3, 32, v3
	v_lshlrev_b64 v[5:6], v3, v[5:6]
	v_sub_nc_u32_e32 v3, 32, v3
	s_delay_alu instid0(VALU_DEP_2) | instskip(NEXT) | instid1(VALU_DEP_1)
	v_min_u32_e32 v5, 1, v5
	v_or_b32_e32 v5, v6, v5
	s_delay_alu instid0(VALU_DEP_1) | instskip(NEXT) | instid1(VALU_DEP_1)
	v_cvt_f32_u32_e32 v5, v5
	v_ldexp_f32 v6, v5, v3
	s_branch .LBB66_1226
.LBB66_1224:
	s_mov_b32 s0, -1
                                        ; implicit-def: $vgpr6
.LBB66_1225:
	s_mov_b32 s27, 0
.LBB66_1226:
	s_delay_alu instid0(SALU_CYCLE_1)
	s_and_b32 vcc_lo, exec_lo, s27
	s_cbranch_vccz .LBB66_1244
; %bb.1227:
	v_cmp_gt_i16_e32 vcc_lo, 27, v2
	s_cbranch_vccnz .LBB66_1230
; %bb.1228:
	v_cmp_lt_i16_e32 vcc_lo, 27, v2
	s_cbranch_vccz .LBB66_1231
; %bb.1229:
	global_load_b32 v3, v[0:1], off
	s_mov_b32 s26, 0
	s_waitcnt vmcnt(0)
	v_cvt_f32_u32_e32 v6, v3
	s_branch .LBB66_1232
.LBB66_1230:
	s_mov_b32 s26, -1
                                        ; implicit-def: $vgpr6
	s_branch .LBB66_1235
.LBB66_1231:
	s_mov_b32 s26, -1
                                        ; implicit-def: $vgpr6
.LBB66_1232:
	s_delay_alu instid0(SALU_CYCLE_1)
	s_and_not1_b32 vcc_lo, exec_lo, s26
	s_cbranch_vccnz .LBB66_1234
; %bb.1233:
	global_load_u16 v3, v[0:1], off
	s_waitcnt vmcnt(0)
	v_cvt_f32_u32_e32 v6, v3
.LBB66_1234:
	s_mov_b32 s26, 0
.LBB66_1235:
	s_delay_alu instid0(SALU_CYCLE_1)
	s_and_not1_b32 vcc_lo, exec_lo, s26
	s_cbranch_vccnz .LBB66_1243
; %bb.1236:
	global_load_u8 v3, v[0:1], off
	s_mov_b32 s26, 0
	s_mov_b32 s28, exec_lo
                                        ; implicit-def: $sgpr27
	s_waitcnt vmcnt(0)
	v_cmpx_lt_i16_e32 0x7f, v3
	s_xor_b32 s28, exec_lo, s28
	s_cbranch_execz .LBB66_1257
; %bb.1237:
	s_mov_b32 s26, -1
	s_mov_b32 s29, exec_lo
                                        ; implicit-def: $sgpr27
	v_cmpx_eq_u16_e32 0x80, v3
; %bb.1238:
	s_mov_b32 s27, 0x7f800001
	s_xor_b32 s26, exec_lo, -1
; %bb.1239:
	s_or_b32 exec_lo, exec_lo, s29
	s_delay_alu instid0(SALU_CYCLE_1)
	s_and_b32 s26, s26, exec_lo
	s_or_saveexec_b32 s28, s28
	v_mov_b32_e32 v6, s27
	s_xor_b32 exec_lo, exec_lo, s28
	s_cbranch_execnz .LBB66_1258
.LBB66_1240:
	s_or_b32 exec_lo, exec_lo, s28
	s_and_saveexec_b32 s27, s26
	s_cbranch_execz .LBB66_1242
.LBB66_1241:
	v_and_b32_e32 v5, 0xffff, v3
	v_lshlrev_b32_e32 v3, 24, v3
	s_delay_alu instid0(VALU_DEP_2) | instskip(NEXT) | instid1(VALU_DEP_2)
	v_and_b32_e32 v6, 7, v5
	v_and_b32_e32 v3, 0x80000000, v3
	s_delay_alu instid0(VALU_DEP_2) | instskip(NEXT) | instid1(VALU_DEP_1)
	v_clz_i32_u32_e32 v7, v6
	v_min_u32_e32 v7, 32, v7
	s_delay_alu instid0(VALU_DEP_1) | instskip(SKIP_1) | instid1(VALU_DEP_2)
	v_subrev_nc_u32_e32 v8, 28, v7
	v_sub_nc_u32_e32 v7, 29, v7
	v_lshlrev_b32_e32 v8, v8, v5
	v_bfe_u32 v5, v5, 3, 4
	s_delay_alu instid0(VALU_DEP_2) | instskip(NEXT) | instid1(VALU_DEP_2)
	v_and_b32_e32 v8, 7, v8
	v_cmp_eq_u32_e32 vcc_lo, 0, v5
	s_delay_alu instid0(VALU_DEP_2) | instskip(NEXT) | instid1(VALU_DEP_1)
	v_dual_cndmask_b32 v5, v5, v7 :: v_dual_cndmask_b32 v6, v6, v8
	v_lshl_add_u32 v5, v5, 23, 0x3b800000
	s_delay_alu instid0(VALU_DEP_2) | instskip(NEXT) | instid1(VALU_DEP_1)
	v_lshlrev_b32_e32 v6, 20, v6
	v_or3_b32 v6, v3, v5, v6
.LBB66_1242:
	s_or_b32 exec_lo, exec_lo, s27
.LBB66_1243:
	s_mov_b32 s26, -1
.LBB66_1244:
	s_mov_b32 s27, 0
.LBB66_1245:
	s_delay_alu instid0(SALU_CYCLE_1)
	s_and_b32 vcc_lo, exec_lo, s27
	s_cbranch_vccz .LBB66_1278
; %bb.1246:
	v_cmp_lt_i16_e32 vcc_lo, 22, v2
	s_cbranch_vccz .LBB66_1256
; %bb.1247:
	v_cmp_gt_i16_e32 vcc_lo, 24, v2
	s_cbranch_vccnz .LBB66_1259
; %bb.1248:
	v_cmp_lt_i16_e32 vcc_lo, 24, v2
	s_cbranch_vccz .LBB66_1260
; %bb.1249:
	global_load_u8 v3, v[0:1], off
	s_mov_b32 s27, exec_lo
                                        ; implicit-def: $sgpr26
	s_waitcnt vmcnt(0)
	v_cmpx_lt_i16_e32 0x7f, v3
	s_xor_b32 s27, exec_lo, s27
	s_cbranch_execz .LBB66_1272
; %bb.1250:
	s_mov_b32 s24, -1
	s_mov_b32 s28, exec_lo
                                        ; implicit-def: $sgpr26
	v_cmpx_eq_u16_e32 0x80, v3
; %bb.1251:
	s_mov_b32 s26, 0x7f800001
	s_xor_b32 s24, exec_lo, -1
; %bb.1252:
	s_or_b32 exec_lo, exec_lo, s28
	s_delay_alu instid0(SALU_CYCLE_1)
	s_and_b32 s24, s24, exec_lo
	s_or_saveexec_b32 s27, s27
	v_mov_b32_e32 v6, s26
	s_xor_b32 exec_lo, exec_lo, s27
	s_cbranch_execnz .LBB66_1273
.LBB66_1253:
	s_or_b32 exec_lo, exec_lo, s27
	s_and_saveexec_b32 s26, s24
	s_cbranch_execz .LBB66_1255
.LBB66_1254:
	v_and_b32_e32 v5, 0xffff, v3
	v_lshlrev_b32_e32 v3, 24, v3
	s_delay_alu instid0(VALU_DEP_2) | instskip(NEXT) | instid1(VALU_DEP_2)
	v_and_b32_e32 v6, 3, v5
	v_and_b32_e32 v3, 0x80000000, v3
	s_delay_alu instid0(VALU_DEP_2) | instskip(NEXT) | instid1(VALU_DEP_1)
	v_clz_i32_u32_e32 v7, v6
	v_min_u32_e32 v7, 32, v7
	s_delay_alu instid0(VALU_DEP_1) | instskip(SKIP_1) | instid1(VALU_DEP_2)
	v_subrev_nc_u32_e32 v8, 29, v7
	v_sub_nc_u32_e32 v7, 30, v7
	v_lshlrev_b32_e32 v8, v8, v5
	v_bfe_u32 v5, v5, 2, 5
	s_delay_alu instid0(VALU_DEP_2) | instskip(NEXT) | instid1(VALU_DEP_2)
	v_and_b32_e32 v8, 3, v8
	v_cmp_eq_u32_e32 vcc_lo, 0, v5
	s_delay_alu instid0(VALU_DEP_2) | instskip(NEXT) | instid1(VALU_DEP_1)
	v_dual_cndmask_b32 v5, v5, v7 :: v_dual_cndmask_b32 v6, v6, v8
	v_lshl_add_u32 v5, v5, 23, 0x37800000
	s_delay_alu instid0(VALU_DEP_2) | instskip(NEXT) | instid1(VALU_DEP_1)
	v_lshlrev_b32_e32 v6, 21, v6
	v_or3_b32 v6, v3, v5, v6
.LBB66_1255:
	s_or_b32 exec_lo, exec_lo, s26
	s_mov_b32 s24, 0
	s_branch .LBB66_1261
.LBB66_1256:
	s_mov_b32 s24, -1
                                        ; implicit-def: $vgpr6
	s_branch .LBB66_1267
.LBB66_1257:
	s_or_saveexec_b32 s28, s28
	v_mov_b32_e32 v6, s27
	s_xor_b32 exec_lo, exec_lo, s28
	s_cbranch_execz .LBB66_1240
.LBB66_1258:
	v_cmp_ne_u16_e32 vcc_lo, 0, v3
	v_mov_b32_e32 v6, 0
	s_and_not1_b32 s26, s26, exec_lo
	s_and_b32 s27, vcc_lo, exec_lo
	s_delay_alu instid0(SALU_CYCLE_1)
	s_or_b32 s26, s26, s27
	s_or_b32 exec_lo, exec_lo, s28
	s_and_saveexec_b32 s27, s26
	s_cbranch_execnz .LBB66_1241
	s_branch .LBB66_1242
.LBB66_1259:
	s_mov_b32 s24, -1
                                        ; implicit-def: $vgpr6
	s_branch .LBB66_1264
.LBB66_1260:
	s_mov_b32 s24, -1
                                        ; implicit-def: $vgpr6
.LBB66_1261:
	s_delay_alu instid0(SALU_CYCLE_1)
	s_and_b32 vcc_lo, exec_lo, s24
	s_cbranch_vccz .LBB66_1263
; %bb.1262:
	global_load_u8 v3, v[0:1], off
	s_waitcnt vmcnt(0)
	v_lshlrev_b32_e32 v3, 24, v3
	s_delay_alu instid0(VALU_DEP_1) | instskip(NEXT) | instid1(VALU_DEP_1)
	v_and_b32_e32 v5, 0x7f000000, v3
	v_clz_i32_u32_e32 v6, v5
	v_cmp_ne_u32_e32 vcc_lo, 0, v5
	v_add_nc_u32_e32 v8, 0x1000000, v5
	s_delay_alu instid0(VALU_DEP_3) | instskip(NEXT) | instid1(VALU_DEP_1)
	v_min_u32_e32 v6, 32, v6
	v_sub_nc_u32_e64 v6, v6, 4 clamp
	s_delay_alu instid0(VALU_DEP_1) | instskip(SKIP_1) | instid1(VALU_DEP_2)
	v_lshlrev_b32_e32 v7, v6, v5
	v_lshlrev_b32_e32 v6, 23, v6
	v_lshrrev_b32_e32 v7, 4, v7
	s_delay_alu instid0(VALU_DEP_1) | instskip(SKIP_1) | instid1(VALU_DEP_2)
	v_sub_nc_u32_e32 v6, v7, v6
	v_ashrrev_i32_e32 v7, 8, v8
	v_add_nc_u32_e32 v6, 0x3c000000, v6
	s_delay_alu instid0(VALU_DEP_1) | instskip(NEXT) | instid1(VALU_DEP_1)
	v_and_or_b32 v6, 0x7f800000, v7, v6
	v_cndmask_b32_e32 v5, 0, v6, vcc_lo
	s_delay_alu instid0(VALU_DEP_1)
	v_and_or_b32 v6, 0x80000000, v3, v5
.LBB66_1263:
	s_mov_b32 s24, 0
.LBB66_1264:
	s_delay_alu instid0(SALU_CYCLE_1)
	s_and_not1_b32 vcc_lo, exec_lo, s24
	s_cbranch_vccnz .LBB66_1266
; %bb.1265:
	global_load_u8 v3, v[0:1], off
	s_waitcnt vmcnt(0)
	v_lshlrev_b32_e32 v5, 25, v3
	v_lshlrev_b16 v3, 8, v3
	s_delay_alu instid0(VALU_DEP_2) | instskip(NEXT) | instid1(VALU_DEP_2)
	v_lshrrev_b32_e32 v6, 4, v5
	v_and_or_b32 v7, 0x7f00, v3, 0.5
	v_bfe_i32 v3, v3, 0, 16
	s_delay_alu instid0(VALU_DEP_3) | instskip(NEXT) | instid1(VALU_DEP_1)
	v_or_b32_e32 v6, 0x70000000, v6
	v_dual_add_f32 v7, -0.5, v7 :: v_dual_mul_f32 v6, 0x7800000, v6
	v_cmp_gt_u32_e32 vcc_lo, 0x8000000, v5
	s_delay_alu instid0(VALU_DEP_2) | instskip(NEXT) | instid1(VALU_DEP_1)
	v_cndmask_b32_e32 v5, v6, v7, vcc_lo
	v_and_or_b32 v6, 0x80000000, v3, v5
.LBB66_1266:
	s_mov_b32 s24, 0
	s_mov_b32 s26, -1
.LBB66_1267:
	s_and_not1_b32 vcc_lo, exec_lo, s24
	s_mov_b32 s24, 0
	s_cbranch_vccnz .LBB66_1278
; %bb.1268:
	v_cmp_lt_i16_e32 vcc_lo, 14, v2
	s_cbranch_vccz .LBB66_1271
; %bb.1269:
	v_cmp_eq_u16_e32 vcc_lo, 15, v2
	s_cbranch_vccz .LBB66_1274
; %bb.1270:
	global_load_u16 v3, v[0:1], off
	s_mov_b32 s0, 0
	s_mov_b32 s26, -1
	s_waitcnt vmcnt(0)
	v_lshlrev_b32_e32 v6, 16, v3
	s_branch .LBB66_1276
.LBB66_1271:
	s_mov_b32 s24, -1
	s_branch .LBB66_1275
.LBB66_1272:
	s_or_saveexec_b32 s27, s27
	v_mov_b32_e32 v6, s26
	s_xor_b32 exec_lo, exec_lo, s27
	s_cbranch_execz .LBB66_1253
.LBB66_1273:
	v_cmp_ne_u16_e32 vcc_lo, 0, v3
	v_mov_b32_e32 v6, 0
	s_and_not1_b32 s24, s24, exec_lo
	s_and_b32 s26, vcc_lo, exec_lo
	s_delay_alu instid0(SALU_CYCLE_1)
	s_or_b32 s24, s24, s26
	s_or_b32 exec_lo, exec_lo, s27
	s_and_saveexec_b32 s26, s24
	s_cbranch_execnz .LBB66_1254
	s_branch .LBB66_1255
.LBB66_1274:
	s_mov_b32 s0, -1
.LBB66_1275:
                                        ; implicit-def: $vgpr6
.LBB66_1276:
	s_and_b32 vcc_lo, exec_lo, s24
	s_mov_b32 s24, 0
	s_cbranch_vccz .LBB66_1278
; %bb.1277:
	v_cmp_ne_u16_e32 vcc_lo, 11, v2
	s_and_not1_b32 s0, s0, exec_lo
	s_mov_b32 s24, -1
                                        ; implicit-def: $vgpr6
	s_and_b32 s27, vcc_lo, exec_lo
	s_delay_alu instid0(SALU_CYCLE_1)
	s_or_b32 s0, s0, s27
.LBB66_1278:
	s_mov_b32 s27, 0
.LBB66_1279:
	s_and_b32 s28, s26, exec_lo
	s_and_b32 s26, s27, exec_lo
	s_and_not1_b32 s27, s1, exec_lo
	s_and_b32 s0, s0, exec_lo
	s_and_b32 s24, s24, exec_lo
	s_or_b32 s27, s27, s0
.LBB66_1280:
	s_or_b32 exec_lo, exec_lo, s14
	s_delay_alu instid0(SALU_CYCLE_1)
	s_and_not1_b32 s1, s1, exec_lo
	s_and_b32 s14, s27, exec_lo
	s_and_b32 s0, s28, exec_lo
	;; [unrolled: 1-line block ×4, first 2 shown]
	s_or_b32 s1, s1, s14
.LBB66_1281:
	s_or_b32 exec_lo, exec_lo, s22
	s_delay_alu instid0(SALU_CYCLE_1)
	s_and_not1_b32 s14, s19, exec_lo
	s_and_b32 s19, s25, exec_lo
	s_and_not1_b32 s20, s20, exec_lo
	s_and_b32 s22, s23, exec_lo
	s_or_b32 s19, s14, s19
	s_and_not1_b32 s14, s18, exec_lo
	s_and_b32 s18, s1, exec_lo
	s_or_b32 s20, s20, s22
	s_and_b32 s0, s0, exec_lo
	s_and_b32 s22, s26, exec_lo
	;; [unrolled: 1-line block ×3, first 2 shown]
	s_or_b32 s18, s14, s18
.LBB66_1282:
	s_or_b32 exec_lo, exec_lo, s21
	s_delay_alu instid0(SALU_CYCLE_1)
	s_and_not1_b32 s13, s13, exec_lo
	s_and_b32 s14, s19, exec_lo
	s_and_not1_b32 s15, s15, exec_lo
	s_and_b32 s19, s20, exec_lo
	s_or_b32 s13, s13, s14
	s_and_not1_b32 s14, s16, exec_lo
	s_and_b32 s16, s18, exec_lo
	s_or_b32 s15, s15, s19
	s_and_b32 s0, s0, exec_lo
	s_and_b32 s19, s22, exec_lo
	;; [unrolled: 1-line block ×3, first 2 shown]
	s_or_b32 s16, s14, s16
.LBB66_1283:
	s_or_b32 exec_lo, exec_lo, s17
	s_mov_b32 s14, 0
	s_and_saveexec_b32 s1, s16
	s_cbranch_execnz .LBB66_1295
; %bb.1284:
	s_or_b32 exec_lo, exec_lo, s1
	s_and_saveexec_b32 s1, s18
	s_delay_alu instid0(SALU_CYCLE_1)
	s_xor_b32 s1, exec_lo, s1
	s_cbranch_execz .LBB66_1286
.LBB66_1285:
	global_load_u8 v3, v[0:1], off
	s_or_b32 s0, s0, exec_lo
	s_waitcnt vmcnt(0)
	v_cmp_ne_u16_e32 vcc_lo, 0, v3
	v_cndmask_b32_e64 v6, 0, 1.0, vcc_lo
.LBB66_1286:
	s_or_b32 exec_lo, exec_lo, s1
	s_and_saveexec_b32 s1, s19
	s_cbranch_execz .LBB66_1334
; %bb.1287:
	v_cmp_gt_i16_e32 vcc_lo, 5, v2
	s_cbranch_vccnz .LBB66_1292
; %bb.1288:
	v_cmp_gt_i16_e32 vcc_lo, 8, v2
	s_cbranch_vccnz .LBB66_1293
	;; [unrolled: 3-line block ×3, first 2 shown]
; %bb.1290:
	v_cmp_lt_i16_e32 vcc_lo, 9, v2
	s_cbranch_vccz .LBB66_1297
; %bb.1291:
	global_load_b64 v[5:6], v[0:1], off
	s_mov_b32 s16, 0
	s_waitcnt vmcnt(0)
	v_cvt_f32_f64_e32 v6, v[5:6]
	s_branch .LBB66_1298
.LBB66_1292:
                                        ; implicit-def: $vgpr6
	s_branch .LBB66_1315
.LBB66_1293:
                                        ; implicit-def: $vgpr6
	s_branch .LBB66_1304
.LBB66_1294:
	s_mov_b32 s16, -1
                                        ; implicit-def: $vgpr6
	s_branch .LBB66_1301
.LBB66_1295:
	s_cbranch_execnz .LBB66_1346
; %bb.1296:
	s_mov_b32 s14, exec_lo
	s_and_not1_b32 s18, s18, exec_lo
                                        ; implicit-def: $vgpr6
	s_or_b32 exec_lo, exec_lo, s1
	s_and_saveexec_b32 s1, s18
	s_delay_alu instid0(SALU_CYCLE_1)
	s_xor_b32 s1, exec_lo, s1
	s_cbranch_execnz .LBB66_1285
	s_branch .LBB66_1286
.LBB66_1297:
	s_mov_b32 s16, -1
                                        ; implicit-def: $vgpr6
.LBB66_1298:
	s_delay_alu instid0(SALU_CYCLE_1)
	s_and_not1_b32 vcc_lo, exec_lo, s16
	s_cbranch_vccnz .LBB66_1300
; %bb.1299:
	global_load_b32 v6, v[0:1], off
.LBB66_1300:
	s_mov_b32 s16, 0
.LBB66_1301:
	s_delay_alu instid0(SALU_CYCLE_1)
	s_and_not1_b32 vcc_lo, exec_lo, s16
	s_cbranch_vccnz .LBB66_1303
; %bb.1302:
	global_load_b32 v3, v[0:1], off
	s_waitcnt vmcnt(0)
	v_cvt_f32_f16_e32 v6, v3
.LBB66_1303:
	s_cbranch_execnz .LBB66_1314
.LBB66_1304:
	v_cmp_gt_i16_e32 vcc_lo, 6, v2
	s_cbranch_vccnz .LBB66_1307
; %bb.1305:
	v_cmp_lt_i16_e32 vcc_lo, 6, v2
	s_cbranch_vccz .LBB66_1308
; %bb.1306:
	global_load_b64 v[5:6], v[0:1], off
	s_mov_b32 s16, 0
	s_waitcnt vmcnt(0)
	v_cvt_f32_f64_e32 v6, v[5:6]
	s_branch .LBB66_1309
.LBB66_1307:
	s_mov_b32 s16, -1
                                        ; implicit-def: $vgpr6
	s_branch .LBB66_1312
.LBB66_1308:
	s_mov_b32 s16, -1
                                        ; implicit-def: $vgpr6
.LBB66_1309:
	s_delay_alu instid0(SALU_CYCLE_1)
	s_and_not1_b32 vcc_lo, exec_lo, s16
	s_cbranch_vccnz .LBB66_1311
; %bb.1310:
	global_load_b32 v6, v[0:1], off
.LBB66_1311:
	s_mov_b32 s16, 0
.LBB66_1312:
	s_delay_alu instid0(SALU_CYCLE_1)
	s_and_not1_b32 vcc_lo, exec_lo, s16
	s_cbranch_vccnz .LBB66_1314
; %bb.1313:
	global_load_u16 v3, v[0:1], off
	s_waitcnt vmcnt(0)
	v_cvt_f32_f16_e32 v6, v3
.LBB66_1314:
	s_cbranch_execnz .LBB66_1333
.LBB66_1315:
	v_cmp_gt_i16_e32 vcc_lo, 2, v2
	s_cbranch_vccnz .LBB66_1319
; %bb.1316:
	v_cmp_gt_i16_e32 vcc_lo, 3, v2
	s_cbranch_vccnz .LBB66_1320
; %bb.1317:
	v_cmp_lt_i16_e32 vcc_lo, 3, v2
	s_cbranch_vccz .LBB66_1321
; %bb.1318:
	global_load_b64 v[5:6], v[0:1], off
	s_mov_b32 s16, 0
	s_waitcnt vmcnt(0)
	v_xor_b32_e32 v3, v5, v6
	v_cls_i32_e32 v7, v6
	s_delay_alu instid0(VALU_DEP_2) | instskip(NEXT) | instid1(VALU_DEP_2)
	v_ashrrev_i32_e32 v3, 31, v3
	v_add_nc_u32_e32 v7, -1, v7
	s_delay_alu instid0(VALU_DEP_2) | instskip(NEXT) | instid1(VALU_DEP_1)
	v_add_nc_u32_e32 v3, 32, v3
	v_min_u32_e32 v3, v7, v3
	s_delay_alu instid0(VALU_DEP_1) | instskip(SKIP_1) | instid1(VALU_DEP_2)
	v_lshlrev_b64 v[5:6], v3, v[5:6]
	v_sub_nc_u32_e32 v3, 32, v3
	v_min_u32_e32 v5, 1, v5
	s_delay_alu instid0(VALU_DEP_1) | instskip(NEXT) | instid1(VALU_DEP_1)
	v_or_b32_e32 v5, v6, v5
	v_cvt_f32_i32_e32 v5, v5
	s_delay_alu instid0(VALU_DEP_1)
	v_ldexp_f32 v6, v5, v3
	s_branch .LBB66_1322
.LBB66_1319:
                                        ; implicit-def: $vgpr6
	s_branch .LBB66_1328
.LBB66_1320:
	s_mov_b32 s16, -1
                                        ; implicit-def: $vgpr6
	s_branch .LBB66_1325
.LBB66_1321:
	s_mov_b32 s16, -1
                                        ; implicit-def: $vgpr6
.LBB66_1322:
	s_delay_alu instid0(SALU_CYCLE_1)
	s_and_not1_b32 vcc_lo, exec_lo, s16
	s_cbranch_vccnz .LBB66_1324
; %bb.1323:
	global_load_b32 v3, v[0:1], off
	s_waitcnt vmcnt(0)
	v_cvt_f32_i32_e32 v6, v3
.LBB66_1324:
	s_mov_b32 s16, 0
.LBB66_1325:
	s_delay_alu instid0(SALU_CYCLE_1)
	s_and_not1_b32 vcc_lo, exec_lo, s16
	s_cbranch_vccnz .LBB66_1327
; %bb.1326:
	global_load_i16 v3, v[0:1], off
	s_waitcnt vmcnt(0)
	v_cvt_f32_i32_e32 v6, v3
.LBB66_1327:
	s_cbranch_execnz .LBB66_1333
.LBB66_1328:
	v_cmp_lt_i16_e32 vcc_lo, 0, v2
	s_mov_b32 s16, 0
	s_cbranch_vccz .LBB66_1330
; %bb.1329:
	global_load_i8 v2, v[0:1], off
	s_waitcnt vmcnt(0)
	v_cvt_f32_i32_e32 v6, v2
	s_branch .LBB66_1331
.LBB66_1330:
	s_mov_b32 s16, -1
                                        ; implicit-def: $vgpr6
.LBB66_1331:
	s_delay_alu instid0(SALU_CYCLE_1)
	s_and_not1_b32 vcc_lo, exec_lo, s16
	s_cbranch_vccnz .LBB66_1333
; %bb.1332:
	global_load_u8 v0, v[0:1], off
	s_waitcnt vmcnt(0)
	v_cvt_f32_ubyte0_e32 v6, v0
.LBB66_1333:
	s_or_b32 s0, s0, exec_lo
.LBB66_1334:
	s_or_b32 exec_lo, exec_lo, s1
	s_mov_b32 s16, 0
	s_mov_b32 s18, 0
	;; [unrolled: 1-line block ×3, first 2 shown]
                                        ; implicit-def: $vgpr2
                                        ; implicit-def: $vgpr0_vgpr1
                                        ; implicit-def: $vgpr5
	s_and_saveexec_b32 s1, s0
	s_cbranch_execz .LBB66_1414
; %bb.1335:
	v_mul_lo_u32 v0, v10, s10
	s_waitcnt vmcnt(0)
	v_and_b32_e32 v2, 0xff, v4
	s_delay_alu instid0(VALU_DEP_1) | instskip(NEXT) | instid1(VALU_DEP_3)
	v_cmp_gt_i16_e32 vcc_lo, 11, v2
	v_ashrrev_i32_e32 v1, 31, v0
	v_add_co_u32 v0, s0, s2, v0
	s_delay_alu instid0(VALU_DEP_1)
	v_add_co_ci_u32_e64 v1, s0, s3, v1, s0
	s_cbranch_vccnz .LBB66_1342
; %bb.1336:
	v_cmp_lt_i16_e32 vcc_lo, 25, v2
	s_cbranch_vccz .LBB66_1343
; %bb.1337:
	v_cmp_lt_i16_e32 vcc_lo, 28, v2
	s_cbranch_vccz .LBB66_1344
	;; [unrolled: 3-line block ×4, first 2 shown]
; %bb.1340:
	v_cmp_eq_u16_e32 vcc_lo, 46, v2
	s_cbranch_vccz .LBB66_1349
; %bb.1341:
	global_load_b32 v3, v[0:1], off
	s_mov_b32 s0, 0
	s_mov_b32 s17, -1
	s_waitcnt vmcnt(0)
	v_lshlrev_b32_e32 v5, 16, v3
	s_branch .LBB66_1351
.LBB66_1342:
	s_mov_b32 s18, -1
	s_mov_b32 s0, s15
                                        ; implicit-def: $vgpr5
	s_branch .LBB66_1413
.LBB66_1343:
	s_mov_b32 s0, s15
                                        ; implicit-def: $vgpr5
	s_cbranch_execnz .LBB66_1380
	s_branch .LBB66_1412
.LBB66_1344:
	s_mov_b32 s18, -1
	s_mov_b32 s0, s15
                                        ; implicit-def: $vgpr5
	s_branch .LBB66_1361
.LBB66_1345:
	s_mov_b32 s18, -1
	s_mov_b32 s0, s15
                                        ; implicit-def: $vgpr5
	s_branch .LBB66_1356
.LBB66_1346:
	s_trap 2
	s_sendmsg_rtn_b32 s0, sendmsg(MSG_RTN_GET_DOORBELL)
	s_mov_b32 ttmp2, m0
	s_waitcnt lgkmcnt(0)
	s_and_b32 s0, s0, 0x3ff
	s_delay_alu instid0(SALU_CYCLE_1) | instskip(NEXT) | instid1(SALU_CYCLE_1)
	s_bitset1_b32 s0, 10
	s_mov_b32 m0, s0
	s_sendmsg sendmsg(MSG_INTERRUPT)
	s_mov_b32 m0, ttmp2
.LBB66_1347:                            ; =>This Inner Loop Header: Depth=1
	s_sethalt 5
	s_branch .LBB66_1347
.LBB66_1348:
	s_mov_b32 s18, -1
	s_mov_b32 s0, s15
	s_branch .LBB66_1350
.LBB66_1349:
	s_mov_b32 s0, -1
.LBB66_1350:
                                        ; implicit-def: $vgpr5
.LBB66_1351:
	s_and_b32 vcc_lo, exec_lo, s18
	s_cbranch_vccz .LBB66_1355
; %bb.1352:
	v_cmp_eq_u16_e32 vcc_lo, 44, v2
	s_cbranch_vccz .LBB66_1354
; %bb.1353:
	global_load_u8 v3, v[0:1], off
	s_mov_b32 s0, 0
	s_mov_b32 s17, -1
	s_waitcnt vmcnt(0)
	v_lshlrev_b32_e32 v4, 23, v3
	v_cmp_ne_u32_e32 vcc_lo, 0xff, v3
	s_delay_alu instid0(VALU_DEP_2) | instskip(SKIP_1) | instid1(VALU_DEP_2)
	v_cndmask_b32_e32 v4, 0x7f800001, v4, vcc_lo
	v_cmp_ne_u32_e32 vcc_lo, 0, v3
	v_cndmask_b32_e32 v5, 0x400000, v4, vcc_lo
	s_branch .LBB66_1355
.LBB66_1354:
	s_mov_b32 s0, -1
                                        ; implicit-def: $vgpr5
.LBB66_1355:
	s_mov_b32 s18, 0
.LBB66_1356:
	s_delay_alu instid0(SALU_CYCLE_1)
	s_and_b32 vcc_lo, exec_lo, s18
	s_cbranch_vccz .LBB66_1360
; %bb.1357:
	v_cmp_eq_u16_e32 vcc_lo, 29, v2
	s_cbranch_vccz .LBB66_1359
; %bb.1358:
	global_load_b64 v[3:4], v[0:1], off
	s_mov_b32 s0, 0
	s_mov_b32 s17, -1
	s_mov_b32 s18, 0
	s_waitcnt vmcnt(0)
	v_clz_i32_u32_e32 v5, v4
	s_delay_alu instid0(VALU_DEP_1) | instskip(NEXT) | instid1(VALU_DEP_1)
	v_min_u32_e32 v5, 32, v5
	v_lshlrev_b64 v[3:4], v5, v[3:4]
	s_delay_alu instid0(VALU_DEP_1) | instskip(NEXT) | instid1(VALU_DEP_1)
	v_min_u32_e32 v3, 1, v3
	v_or_b32_e32 v3, v4, v3
	v_sub_nc_u32_e32 v4, 32, v5
	s_delay_alu instid0(VALU_DEP_2) | instskip(NEXT) | instid1(VALU_DEP_1)
	v_cvt_f32_u32_e32 v3, v3
	v_ldexp_f32 v5, v3, v4
	s_branch .LBB66_1361
.LBB66_1359:
	s_mov_b32 s0, -1
                                        ; implicit-def: $vgpr5
.LBB66_1360:
	s_mov_b32 s18, 0
.LBB66_1361:
	s_delay_alu instid0(SALU_CYCLE_1)
	s_and_b32 vcc_lo, exec_lo, s18
	s_cbranch_vccz .LBB66_1379
; %bb.1362:
	v_cmp_gt_i16_e32 vcc_lo, 27, v2
	s_cbranch_vccnz .LBB66_1365
; %bb.1363:
	v_cmp_lt_i16_e32 vcc_lo, 27, v2
	s_cbranch_vccz .LBB66_1366
; %bb.1364:
	global_load_b32 v3, v[0:1], off
	s_mov_b32 s17, 0
	s_waitcnt vmcnt(0)
	v_cvt_f32_u32_e32 v5, v3
	s_branch .LBB66_1367
.LBB66_1365:
	s_mov_b32 s17, -1
                                        ; implicit-def: $vgpr5
	s_branch .LBB66_1370
.LBB66_1366:
	s_mov_b32 s17, -1
                                        ; implicit-def: $vgpr5
.LBB66_1367:
	s_delay_alu instid0(SALU_CYCLE_1)
	s_and_not1_b32 vcc_lo, exec_lo, s17
	s_cbranch_vccnz .LBB66_1369
; %bb.1368:
	global_load_u16 v3, v[0:1], off
	s_waitcnt vmcnt(0)
	v_cvt_f32_u32_e32 v5, v3
.LBB66_1369:
	s_mov_b32 s17, 0
.LBB66_1370:
	s_delay_alu instid0(SALU_CYCLE_1)
	s_and_not1_b32 vcc_lo, exec_lo, s17
	s_cbranch_vccnz .LBB66_1378
; %bb.1371:
	global_load_u8 v3, v[0:1], off
	s_mov_b32 s17, 0
	s_mov_b32 s19, exec_lo
                                        ; implicit-def: $sgpr18
	s_waitcnt vmcnt(0)
	v_cmpx_lt_i16_e32 0x7f, v3
	s_xor_b32 s19, exec_lo, s19
	s_cbranch_execz .LBB66_1391
; %bb.1372:
	s_mov_b32 s17, -1
	s_mov_b32 s20, exec_lo
                                        ; implicit-def: $sgpr18
	v_cmpx_eq_u16_e32 0x80, v3
; %bb.1373:
	s_mov_b32 s18, 0x7f800001
	s_xor_b32 s17, exec_lo, -1
; %bb.1374:
	s_or_b32 exec_lo, exec_lo, s20
	s_delay_alu instid0(SALU_CYCLE_1)
	s_and_b32 s17, s17, exec_lo
	s_or_saveexec_b32 s19, s19
	v_mov_b32_e32 v5, s18
	s_xor_b32 exec_lo, exec_lo, s19
	s_cbranch_execnz .LBB66_1392
.LBB66_1375:
	s_or_b32 exec_lo, exec_lo, s19
	s_and_saveexec_b32 s18, s17
	s_cbranch_execz .LBB66_1377
.LBB66_1376:
	v_and_b32_e32 v4, 0xffff, v3
	v_lshlrev_b32_e32 v3, 24, v3
	s_delay_alu instid0(VALU_DEP_2) | instskip(NEXT) | instid1(VALU_DEP_2)
	v_and_b32_e32 v5, 7, v4
	v_and_b32_e32 v3, 0x80000000, v3
	s_delay_alu instid0(VALU_DEP_2) | instskip(NEXT) | instid1(VALU_DEP_1)
	v_clz_i32_u32_e32 v7, v5
	v_min_u32_e32 v7, 32, v7
	s_delay_alu instid0(VALU_DEP_1) | instskip(SKIP_1) | instid1(VALU_DEP_2)
	v_subrev_nc_u32_e32 v8, 28, v7
	v_sub_nc_u32_e32 v7, 29, v7
	v_lshlrev_b32_e32 v8, v8, v4
	v_bfe_u32 v4, v4, 3, 4
	s_delay_alu instid0(VALU_DEP_2) | instskip(NEXT) | instid1(VALU_DEP_2)
	v_and_b32_e32 v8, 7, v8
	v_cmp_eq_u32_e32 vcc_lo, 0, v4
	s_delay_alu instid0(VALU_DEP_2) | instskip(NEXT) | instid1(VALU_DEP_1)
	v_dual_cndmask_b32 v4, v4, v7 :: v_dual_cndmask_b32 v5, v5, v8
	v_lshl_add_u32 v4, v4, 23, 0x3b800000
	s_delay_alu instid0(VALU_DEP_2) | instskip(NEXT) | instid1(VALU_DEP_1)
	v_lshlrev_b32_e32 v5, 20, v5
	v_or3_b32 v5, v3, v4, v5
.LBB66_1377:
	s_or_b32 exec_lo, exec_lo, s18
.LBB66_1378:
	s_mov_b32 s17, -1
.LBB66_1379:
	s_branch .LBB66_1412
.LBB66_1380:
	v_cmp_lt_i16_e32 vcc_lo, 22, v2
	s_cbranch_vccz .LBB66_1390
; %bb.1381:
	v_cmp_gt_i16_e32 vcc_lo, 24, v2
	s_cbranch_vccnz .LBB66_1393
; %bb.1382:
	v_cmp_lt_i16_e32 vcc_lo, 24, v2
	s_cbranch_vccz .LBB66_1394
; %bb.1383:
	global_load_u8 v3, v[0:1], off
	s_mov_b32 s18, exec_lo
                                        ; implicit-def: $sgpr17
	s_waitcnt vmcnt(0)
	v_cmpx_lt_i16_e32 0x7f, v3
	s_xor_b32 s18, exec_lo, s18
	s_cbranch_execz .LBB66_1406
; %bb.1384:
	s_mov_b32 s16, -1
	s_mov_b32 s19, exec_lo
                                        ; implicit-def: $sgpr17
	v_cmpx_eq_u16_e32 0x80, v3
; %bb.1385:
	s_mov_b32 s17, 0x7f800001
	s_xor_b32 s16, exec_lo, -1
; %bb.1386:
	s_or_b32 exec_lo, exec_lo, s19
	s_delay_alu instid0(SALU_CYCLE_1)
	s_and_b32 s16, s16, exec_lo
	s_or_saveexec_b32 s18, s18
	v_mov_b32_e32 v5, s17
	s_xor_b32 exec_lo, exec_lo, s18
	s_cbranch_execnz .LBB66_1407
.LBB66_1387:
	s_or_b32 exec_lo, exec_lo, s18
	s_and_saveexec_b32 s17, s16
	s_cbranch_execz .LBB66_1389
.LBB66_1388:
	v_and_b32_e32 v4, 0xffff, v3
	v_lshlrev_b32_e32 v3, 24, v3
	s_delay_alu instid0(VALU_DEP_2) | instskip(NEXT) | instid1(VALU_DEP_2)
	v_and_b32_e32 v5, 3, v4
	v_and_b32_e32 v3, 0x80000000, v3
	s_delay_alu instid0(VALU_DEP_2) | instskip(NEXT) | instid1(VALU_DEP_1)
	v_clz_i32_u32_e32 v7, v5
	v_min_u32_e32 v7, 32, v7
	s_delay_alu instid0(VALU_DEP_1) | instskip(SKIP_1) | instid1(VALU_DEP_2)
	v_subrev_nc_u32_e32 v8, 29, v7
	v_sub_nc_u32_e32 v7, 30, v7
	v_lshlrev_b32_e32 v8, v8, v4
	v_bfe_u32 v4, v4, 2, 5
	s_delay_alu instid0(VALU_DEP_2) | instskip(NEXT) | instid1(VALU_DEP_2)
	v_and_b32_e32 v8, 3, v8
	v_cmp_eq_u32_e32 vcc_lo, 0, v4
	s_delay_alu instid0(VALU_DEP_2) | instskip(NEXT) | instid1(VALU_DEP_1)
	v_dual_cndmask_b32 v4, v4, v7 :: v_dual_cndmask_b32 v5, v5, v8
	v_lshl_add_u32 v4, v4, 23, 0x37800000
	s_delay_alu instid0(VALU_DEP_2) | instskip(NEXT) | instid1(VALU_DEP_1)
	v_lshlrev_b32_e32 v5, 21, v5
	v_or3_b32 v5, v3, v4, v5
.LBB66_1389:
	s_or_b32 exec_lo, exec_lo, s17
	s_mov_b32 s16, 0
	s_branch .LBB66_1395
.LBB66_1390:
	s_mov_b32 s16, -1
                                        ; implicit-def: $vgpr5
	s_branch .LBB66_1401
.LBB66_1391:
	s_or_saveexec_b32 s19, s19
	v_mov_b32_e32 v5, s18
	s_xor_b32 exec_lo, exec_lo, s19
	s_cbranch_execz .LBB66_1375
.LBB66_1392:
	v_cmp_ne_u16_e32 vcc_lo, 0, v3
	v_mov_b32_e32 v5, 0
	s_and_not1_b32 s17, s17, exec_lo
	s_and_b32 s18, vcc_lo, exec_lo
	s_delay_alu instid0(SALU_CYCLE_1)
	s_or_b32 s17, s17, s18
	s_or_b32 exec_lo, exec_lo, s19
	s_and_saveexec_b32 s18, s17
	s_cbranch_execnz .LBB66_1376
	s_branch .LBB66_1377
.LBB66_1393:
	s_mov_b32 s16, -1
                                        ; implicit-def: $vgpr5
	s_branch .LBB66_1398
.LBB66_1394:
	s_mov_b32 s16, -1
                                        ; implicit-def: $vgpr5
.LBB66_1395:
	s_delay_alu instid0(SALU_CYCLE_1)
	s_and_b32 vcc_lo, exec_lo, s16
	s_cbranch_vccz .LBB66_1397
; %bb.1396:
	global_load_u8 v3, v[0:1], off
	s_waitcnt vmcnt(0)
	v_lshlrev_b32_e32 v3, 24, v3
	s_delay_alu instid0(VALU_DEP_1) | instskip(NEXT) | instid1(VALU_DEP_1)
	v_and_b32_e32 v4, 0x7f000000, v3
	v_clz_i32_u32_e32 v5, v4
	v_add_nc_u32_e32 v8, 0x1000000, v4
	v_cmp_ne_u32_e32 vcc_lo, 0, v4
	s_delay_alu instid0(VALU_DEP_3) | instskip(NEXT) | instid1(VALU_DEP_1)
	v_min_u32_e32 v5, 32, v5
	v_sub_nc_u32_e64 v5, v5, 4 clamp
	s_delay_alu instid0(VALU_DEP_1) | instskip(SKIP_1) | instid1(VALU_DEP_2)
	v_lshlrev_b32_e32 v7, v5, v4
	v_lshlrev_b32_e32 v5, 23, v5
	v_lshrrev_b32_e32 v7, 4, v7
	s_delay_alu instid0(VALU_DEP_1) | instskip(SKIP_1) | instid1(VALU_DEP_2)
	v_sub_nc_u32_e32 v5, v7, v5
	v_ashrrev_i32_e32 v7, 8, v8
	v_add_nc_u32_e32 v5, 0x3c000000, v5
	s_delay_alu instid0(VALU_DEP_1) | instskip(NEXT) | instid1(VALU_DEP_1)
	v_and_or_b32 v5, 0x7f800000, v7, v5
	v_cndmask_b32_e32 v4, 0, v5, vcc_lo
	s_delay_alu instid0(VALU_DEP_1)
	v_and_or_b32 v5, 0x80000000, v3, v4
.LBB66_1397:
	s_mov_b32 s16, 0
.LBB66_1398:
	s_delay_alu instid0(SALU_CYCLE_1)
	s_and_not1_b32 vcc_lo, exec_lo, s16
	s_cbranch_vccnz .LBB66_1400
; %bb.1399:
	global_load_u8 v3, v[0:1], off
	s_waitcnt vmcnt(0)
	v_lshlrev_b32_e32 v4, 25, v3
	v_lshlrev_b16 v3, 8, v3
	s_delay_alu instid0(VALU_DEP_2) | instskip(NEXT) | instid1(VALU_DEP_2)
	v_lshrrev_b32_e32 v5, 4, v4
	v_and_or_b32 v7, 0x7f00, v3, 0.5
	v_bfe_i32 v3, v3, 0, 16
	s_delay_alu instid0(VALU_DEP_3) | instskip(NEXT) | instid1(VALU_DEP_3)
	v_or_b32_e32 v5, 0x70000000, v5
	v_add_f32_e32 v7, -0.5, v7
	s_delay_alu instid0(VALU_DEP_2) | instskip(SKIP_1) | instid1(VALU_DEP_2)
	v_mul_f32_e32 v5, 0x7800000, v5
	v_cmp_gt_u32_e32 vcc_lo, 0x8000000, v4
	v_cndmask_b32_e32 v4, v5, v7, vcc_lo
	s_delay_alu instid0(VALU_DEP_1)
	v_and_or_b32 v5, 0x80000000, v3, v4
.LBB66_1400:
	s_mov_b32 s16, 0
	s_mov_b32 s17, -1
.LBB66_1401:
	s_and_not1_b32 vcc_lo, exec_lo, s16
	s_mov_b32 s16, 0
	s_cbranch_vccnz .LBB66_1412
; %bb.1402:
	v_cmp_lt_i16_e32 vcc_lo, 14, v2
	s_cbranch_vccz .LBB66_1405
; %bb.1403:
	v_cmp_eq_u16_e32 vcc_lo, 15, v2
	s_cbranch_vccz .LBB66_1408
; %bb.1404:
	global_load_u16 v3, v[0:1], off
	s_mov_b32 s0, 0
	s_mov_b32 s17, -1
	s_waitcnt vmcnt(0)
	v_lshlrev_b32_e32 v5, 16, v3
	s_branch .LBB66_1410
.LBB66_1405:
	s_mov_b32 s16, -1
	s_branch .LBB66_1409
.LBB66_1406:
	s_or_saveexec_b32 s18, s18
	v_mov_b32_e32 v5, s17
	s_xor_b32 exec_lo, exec_lo, s18
	s_cbranch_execz .LBB66_1387
.LBB66_1407:
	v_cmp_ne_u16_e32 vcc_lo, 0, v3
	v_mov_b32_e32 v5, 0
	s_and_not1_b32 s16, s16, exec_lo
	s_and_b32 s17, vcc_lo, exec_lo
	s_delay_alu instid0(SALU_CYCLE_1)
	s_or_b32 s16, s16, s17
	s_or_b32 exec_lo, exec_lo, s18
	s_and_saveexec_b32 s17, s16
	s_cbranch_execnz .LBB66_1388
	s_branch .LBB66_1389
.LBB66_1408:
	s_mov_b32 s0, -1
.LBB66_1409:
                                        ; implicit-def: $vgpr5
.LBB66_1410:
	s_and_b32 vcc_lo, exec_lo, s16
	s_mov_b32 s16, 0
	s_cbranch_vccz .LBB66_1412
; %bb.1411:
	v_cmp_ne_u16_e32 vcc_lo, 11, v2
	s_and_not1_b32 s0, s0, exec_lo
	s_mov_b32 s16, -1
                                        ; implicit-def: $vgpr5
	s_and_b32 s18, vcc_lo, exec_lo
	s_delay_alu instid0(SALU_CYCLE_1)
	s_or_b32 s0, s0, s18
.LBB66_1412:
	s_mov_b32 s18, 0
.LBB66_1413:
	s_and_not1_b32 s15, s15, exec_lo
	s_and_b32 s0, s0, exec_lo
	s_and_b32 s17, s17, exec_lo
	;; [unrolled: 1-line block ×4, first 2 shown]
	s_or_b32 s15, s15, s0
.LBB66_1414:
	s_or_b32 exec_lo, exec_lo, s1
	s_and_saveexec_b32 s0, s15
	s_cbranch_execnz .LBB66_1426
; %bb.1415:
	s_or_b32 exec_lo, exec_lo, s0
	s_and_saveexec_b32 s0, s16
	s_delay_alu instid0(SALU_CYCLE_1)
	s_xor_b32 s0, exec_lo, s0
	s_cbranch_execz .LBB66_1417
.LBB66_1416:
	global_load_u8 v3, v[0:1], off
	s_or_b32 s17, s17, exec_lo
	s_waitcnt vmcnt(0)
	v_cmp_ne_u16_e32 vcc_lo, 0, v3
	v_cndmask_b32_e64 v5, 0, 1.0, vcc_lo
.LBB66_1417:
	s_or_b32 exec_lo, exec_lo, s0
	s_and_saveexec_b32 s0, s18
	s_cbranch_execz .LBB66_1465
; %bb.1418:
	v_cmp_gt_i16_e32 vcc_lo, 5, v2
	s_cbranch_vccnz .LBB66_1423
; %bb.1419:
	v_cmp_gt_i16_e32 vcc_lo, 8, v2
	s_cbranch_vccnz .LBB66_1424
	;; [unrolled: 3-line block ×3, first 2 shown]
; %bb.1421:
	v_cmp_lt_i16_e32 vcc_lo, 9, v2
	s_cbranch_vccz .LBB66_1428
; %bb.1422:
	global_load_b64 v[3:4], v[0:1], off
	s_mov_b32 s1, 0
	s_waitcnt vmcnt(0)
	v_cvt_f32_f64_e32 v5, v[3:4]
	s_branch .LBB66_1429
.LBB66_1423:
                                        ; implicit-def: $vgpr5
	s_branch .LBB66_1446
.LBB66_1424:
                                        ; implicit-def: $vgpr5
	s_branch .LBB66_1435
.LBB66_1425:
	s_mov_b32 s1, -1
                                        ; implicit-def: $vgpr5
	s_branch .LBB66_1432
.LBB66_1426:
	s_cbranch_execnz .LBB66_1486
; %bb.1427:
	s_or_b32 s14, s14, exec_lo
	s_and_not1_b32 s16, s16, exec_lo
                                        ; implicit-def: $vgpr5
	s_or_b32 exec_lo, exec_lo, s0
	s_and_saveexec_b32 s0, s16
	s_delay_alu instid0(SALU_CYCLE_1)
	s_xor_b32 s0, exec_lo, s0
	s_cbranch_execnz .LBB66_1416
	s_branch .LBB66_1417
.LBB66_1428:
	s_mov_b32 s1, -1
                                        ; implicit-def: $vgpr5
.LBB66_1429:
	s_delay_alu instid0(SALU_CYCLE_1)
	s_and_not1_b32 vcc_lo, exec_lo, s1
	s_cbranch_vccnz .LBB66_1431
; %bb.1430:
	global_load_b32 v5, v[0:1], off
.LBB66_1431:
	s_mov_b32 s1, 0
.LBB66_1432:
	s_delay_alu instid0(SALU_CYCLE_1)
	s_and_not1_b32 vcc_lo, exec_lo, s1
	s_cbranch_vccnz .LBB66_1434
; %bb.1433:
	global_load_b32 v3, v[0:1], off
	s_waitcnt vmcnt(0)
	v_cvt_f32_f16_e32 v5, v3
.LBB66_1434:
	s_cbranch_execnz .LBB66_1445
.LBB66_1435:
	v_cmp_gt_i16_e32 vcc_lo, 6, v2
	s_cbranch_vccnz .LBB66_1438
; %bb.1436:
	v_cmp_lt_i16_e32 vcc_lo, 6, v2
	s_cbranch_vccz .LBB66_1439
; %bb.1437:
	global_load_b64 v[3:4], v[0:1], off
	s_mov_b32 s1, 0
	s_waitcnt vmcnt(0)
	v_cvt_f32_f64_e32 v5, v[3:4]
	s_branch .LBB66_1440
.LBB66_1438:
	s_mov_b32 s1, -1
                                        ; implicit-def: $vgpr5
	s_branch .LBB66_1443
.LBB66_1439:
	s_mov_b32 s1, -1
                                        ; implicit-def: $vgpr5
.LBB66_1440:
	s_delay_alu instid0(SALU_CYCLE_1)
	s_and_not1_b32 vcc_lo, exec_lo, s1
	s_cbranch_vccnz .LBB66_1442
; %bb.1441:
	global_load_b32 v5, v[0:1], off
.LBB66_1442:
	s_mov_b32 s1, 0
.LBB66_1443:
	s_delay_alu instid0(SALU_CYCLE_1)
	s_and_not1_b32 vcc_lo, exec_lo, s1
	s_cbranch_vccnz .LBB66_1445
; %bb.1444:
	global_load_u16 v3, v[0:1], off
	s_waitcnt vmcnt(0)
	v_cvt_f32_f16_e32 v5, v3
.LBB66_1445:
	s_cbranch_execnz .LBB66_1464
.LBB66_1446:
	v_cmp_gt_i16_e32 vcc_lo, 2, v2
	s_cbranch_vccnz .LBB66_1450
; %bb.1447:
	v_cmp_gt_i16_e32 vcc_lo, 3, v2
	s_cbranch_vccnz .LBB66_1451
; %bb.1448:
	v_cmp_lt_i16_e32 vcc_lo, 3, v2
	s_cbranch_vccz .LBB66_1452
; %bb.1449:
	global_load_b64 v[3:4], v[0:1], off
	s_mov_b32 s1, 0
	s_waitcnt vmcnt(0)
	v_xor_b32_e32 v5, v3, v4
	v_cls_i32_e32 v7, v4
	s_delay_alu instid0(VALU_DEP_2) | instskip(NEXT) | instid1(VALU_DEP_2)
	v_ashrrev_i32_e32 v5, 31, v5
	v_add_nc_u32_e32 v7, -1, v7
	s_delay_alu instid0(VALU_DEP_2) | instskip(NEXT) | instid1(VALU_DEP_1)
	v_add_nc_u32_e32 v5, 32, v5
	v_min_u32_e32 v5, v7, v5
	s_delay_alu instid0(VALU_DEP_1) | instskip(NEXT) | instid1(VALU_DEP_1)
	v_lshlrev_b64 v[3:4], v5, v[3:4]
	v_min_u32_e32 v3, 1, v3
	s_delay_alu instid0(VALU_DEP_1) | instskip(SKIP_1) | instid1(VALU_DEP_2)
	v_or_b32_e32 v3, v4, v3
	v_sub_nc_u32_e32 v4, 32, v5
	v_cvt_f32_i32_e32 v3, v3
	s_delay_alu instid0(VALU_DEP_1)
	v_ldexp_f32 v5, v3, v4
	s_branch .LBB66_1453
.LBB66_1450:
                                        ; implicit-def: $vgpr5
	s_branch .LBB66_1459
.LBB66_1451:
	s_mov_b32 s1, -1
                                        ; implicit-def: $vgpr5
	s_branch .LBB66_1456
.LBB66_1452:
	s_mov_b32 s1, -1
                                        ; implicit-def: $vgpr5
.LBB66_1453:
	s_delay_alu instid0(SALU_CYCLE_1)
	s_and_not1_b32 vcc_lo, exec_lo, s1
	s_cbranch_vccnz .LBB66_1455
; %bb.1454:
	global_load_b32 v3, v[0:1], off
	s_waitcnt vmcnt(0)
	v_cvt_f32_i32_e32 v5, v3
.LBB66_1455:
	s_mov_b32 s1, 0
.LBB66_1456:
	s_delay_alu instid0(SALU_CYCLE_1)
	s_and_not1_b32 vcc_lo, exec_lo, s1
	s_cbranch_vccnz .LBB66_1458
; %bb.1457:
	global_load_i16 v3, v[0:1], off
	s_waitcnt vmcnt(0)
	v_cvt_f32_i32_e32 v5, v3
.LBB66_1458:
	s_cbranch_execnz .LBB66_1464
.LBB66_1459:
	v_cmp_lt_i16_e32 vcc_lo, 0, v2
	s_mov_b32 s1, 0
	s_cbranch_vccz .LBB66_1461
; %bb.1460:
	global_load_i8 v2, v[0:1], off
	s_waitcnt vmcnt(0)
	v_cvt_f32_i32_e32 v5, v2
	s_branch .LBB66_1462
.LBB66_1461:
	s_mov_b32 s1, -1
                                        ; implicit-def: $vgpr5
.LBB66_1462:
	s_delay_alu instid0(SALU_CYCLE_1)
	s_and_not1_b32 vcc_lo, exec_lo, s1
	s_cbranch_vccnz .LBB66_1464
; %bb.1463:
	global_load_u8 v0, v[0:1], off
	s_waitcnt vmcnt(0)
	v_cvt_f32_ubyte0_e32 v5, v0
.LBB66_1464:
	s_or_b32 s17, s17, exec_lo
.LBB66_1465:
	s_or_b32 exec_lo, exec_lo, s0
	s_mov_b32 s0, 0
	s_mov_b32 s1, 0
                                        ; implicit-def: $vgpr4
                                        ; implicit-def: $vgpr2_vgpr3
                                        ; implicit-def: $vgpr0
	s_and_saveexec_b32 s15, s17
	s_cbranch_execz .LBB66_1557
; %bb.1466:
	s_waitcnt vmcnt(0)
	s_delay_alu instid0(VALU_DEP_1) | instskip(SKIP_1) | instid1(VALU_DEP_1)
	v_trunc_f32_e32 v0, v5
	s_mov_b32 s16, exec_lo
	v_mul_f32_e64 v1, 0x2f800000, |v0|
	s_delay_alu instid0(VALU_DEP_1) | instskip(NEXT) | instid1(VALU_DEP_1)
	v_floor_f32_e32 v1, v1
	v_fma_f32 v2, 0xcf800000, v1, |v0|
	v_ashrrev_i32_e32 v0, 31, v0
	v_cvt_u32_f32_e32 v1, v1
	s_delay_alu instid0(VALU_DEP_3) | instskip(NEXT) | instid1(VALU_DEP_2)
	v_cvt_u32_f32_e32 v2, v2
	v_xor_b32_e32 v1, v1, v0
	s_delay_alu instid0(VALU_DEP_2) | instskip(NEXT) | instid1(VALU_DEP_1)
	v_xor_b32_e32 v2, v2, v0
	v_sub_co_u32 v3, vcc_lo, v2, v0
	s_delay_alu instid0(VALU_DEP_3) | instskip(SKIP_1) | instid1(VALU_DEP_2)
	v_sub_co_ci_u32_e32 v0, vcc_lo, v1, v0, vcc_lo
	v_cmp_class_f32_e64 vcc_lo, v5, 0x1f8
	v_dual_cndmask_b32 v2, -1, v0 :: v_dual_cndmask_b32 v1, -1, v3
	v_mov_b32_e32 v0, 0
	s_delay_alu instid0(VALU_DEP_2)
	v_cmpx_lt_i64_e32 -1, v[1:2]
	s_cbranch_execz .LBB66_1478
; %bb.1467:
	v_mov_b32_e32 v0, 1.0
	s_mov_b32 s17, exec_lo
	v_cmpx_lt_i64_e32 0, v[1:2]
	s_cbranch_execz .LBB66_1477
; %bb.1468:
                                        ; implicit-def: $vgpr0
	s_mov_b32 s0, exec_lo
	v_cmpx_ne_u64_e32 1, v[1:2]
	s_xor_b32 s18, exec_lo, s0
	s_cbranch_execz .LBB66_1474
; %bb.1469:
	v_mov_b32_e32 v0, 0x7fc00000
	s_mov_b32 s19, exec_lo
	v_cmpx_gt_u64_e32 0x81, v[1:2]
	s_cbranch_execz .LBB66_1473
; %bb.1470:
	v_dual_add_f32 v3, v6, v6 :: v_dual_mov_b32 v4, 1.0
	v_lshlrev_b64 v[1:2], 1, v[1:2]
	s_mov_b64 s[0:1], 2
	s_mov_b32 s20, 0
	s_delay_alu instid0(VALU_DEP_2)
	v_mov_b32_e32 v0, v3
	.p2align	6
.LBB66_1471:                            ; =>This Inner Loop Header: Depth=1
	s_clz_i32_u32 s21, s1
	s_delay_alu instid0(SALU_CYCLE_1) | instskip(NEXT) | instid1(SALU_CYCLE_1)
	s_min_u32 s21, s21, 32
	s_lshl_b64 s[22:23], s[0:1], s21
	s_sub_i32 s21, 32, s21
	s_min_u32 s22, s22, 1
	s_delay_alu instid0(SALU_CYCLE_1) | instskip(SKIP_3) | instid1(SALU_CYCLE_1)
	s_or_b32 s22, s23, s22
	s_add_u32 s0, s0, 2
	v_cvt_f32_u32_e32 v5, s22
	s_addc_u32 s1, s1, 0
	v_cmp_ge_u64_e32 vcc_lo, s[0:1], v[1:2]
	s_delay_alu instid0(VALU_DEP_2) | instskip(SKIP_1) | instid1(VALU_DEP_1)
	v_ldexp_f32 v5, v5, s21
	s_or_b32 s20, vcc_lo, s20
	v_mul_f32_e32 v5, v4, v5
	v_mov_b32_e32 v4, v0
	s_delay_alu instid0(VALU_DEP_2)
	v_fma_f32 v0, v3, v0, -v5
	s_and_not1_b32 exec_lo, exec_lo, s20
	s_cbranch_execnz .LBB66_1471
; %bb.1472:
	s_or_b32 exec_lo, exec_lo, s20
.LBB66_1473:
	s_delay_alu instid0(SALU_CYCLE_1)
	s_or_b32 exec_lo, exec_lo, s19
                                        ; implicit-def: $vgpr6
.LBB66_1474:
	s_and_not1_saveexec_b32 s0, s18
; %bb.1475:
	v_add_f32_e32 v0, v6, v6
; %bb.1476:
	s_or_b32 exec_lo, exec_lo, s0
.LBB66_1477:
	s_delay_alu instid0(SALU_CYCLE_1)
	s_or_b32 exec_lo, exec_lo, s17
.LBB66_1478:
	s_delay_alu instid0(SALU_CYCLE_1) | instskip(SKIP_2) | instid1(VALU_DEP_1)
	s_or_b32 exec_lo, exec_lo, s16
	v_mul_lo_u32 v1, v10, s8
	v_and_b32_e32 v4, 0xff, v9
	v_cmp_gt_i16_e32 vcc_lo, 11, v4
	s_delay_alu instid0(VALU_DEP_3) | instskip(SKIP_1) | instid1(VALU_DEP_1)
	v_ashrrev_i32_e32 v3, 31, v1
	v_add_co_u32 v2, s0, s4, v1
	v_add_co_ci_u32_e64 v3, s0, s5, v3, s0
	s_cbranch_vccnz .LBB66_1485
; %bb.1479:
	v_cmp_lt_i16_e32 vcc_lo, 25, v4
	s_mov_b32 s1, -1
	s_mov_b32 s0, s13
	s_cbranch_vccz .LBB66_1515
; %bb.1480:
	v_cmp_lt_i16_e32 vcc_lo, 28, v4
	s_mov_b32 s0, s13
	s_cbranch_vccz .LBB66_1499
; %bb.1481:
	v_cmp_lt_i16_e32 vcc_lo, 43, v4
	;; [unrolled: 4-line block ×3, first 2 shown]
	s_mov_b32 s0, s13
	s_cbranch_vccz .LBB66_1489
; %bb.1483:
	v_cmp_eq_u16_e32 vcc_lo, 46, v4
	s_mov_b32 s0, -1
	s_cbranch_vccz .LBB66_1488
; %bb.1484:
	v_bfe_u32 v1, v0, 16, 1
	v_cmp_o_f32_e32 vcc_lo, v0, v0
	s_mov_b32 s0, 0
	s_mov_b32 s1, 0
	s_delay_alu instid0(VALU_DEP_2) | instskip(NEXT) | instid1(VALU_DEP_1)
	v_add3_u32 v1, v0, v1, 0x7fff
	v_lshrrev_b32_e32 v1, 16, v1
	s_delay_alu instid0(VALU_DEP_1)
	v_cndmask_b32_e32 v1, 0x7fc0, v1, vcc_lo
	global_store_b32 v[2:3], v1, off
	s_branch .LBB66_1489
.LBB66_1485:
	s_mov_b32 s16, 0
	s_mov_b32 s1, -1
	s_mov_b32 s0, s13
	s_branch .LBB66_1556
.LBB66_1486:
	s_trap 2
	s_sendmsg_rtn_b32 s0, sendmsg(MSG_RTN_GET_DOORBELL)
	s_mov_b32 ttmp2, m0
	s_waitcnt lgkmcnt(0)
	s_and_b32 s0, s0, 0x3ff
	s_delay_alu instid0(SALU_CYCLE_1) | instskip(NEXT) | instid1(SALU_CYCLE_1)
	s_bitset1_b32 s0, 10
	s_mov_b32 m0, s0
	s_sendmsg sendmsg(MSG_INTERRUPT)
	s_mov_b32 m0, ttmp2
.LBB66_1487:                            ; =>This Inner Loop Header: Depth=1
	s_sethalt 5
	s_branch .LBB66_1487
.LBB66_1488:
	s_mov_b32 s1, 0
.LBB66_1489:
	s_delay_alu instid0(SALU_CYCLE_1)
	s_and_b32 vcc_lo, exec_lo, s1
	s_cbranch_vccz .LBB66_1494
; %bb.1490:
	v_cmp_eq_u16_e32 vcc_lo, 44, v4
	s_mov_b32 s0, -1
	s_cbranch_vccz .LBB66_1494
; %bb.1491:
	v_bfe_u32 v5, v0, 23, 8
	v_mov_b32_e32 v1, 0xff
	s_mov_b32 s1, exec_lo
	s_delay_alu instid0(VALU_DEP_2)
	v_cmpx_ne_u32_e32 0xff, v5
; %bb.1492:
	v_and_b32_e32 v1, 0x400000, v0
	v_and_or_b32 v5, 0x3fffff, v0, v5
	s_delay_alu instid0(VALU_DEP_2) | instskip(NEXT) | instid1(VALU_DEP_2)
	v_cmp_ne_u32_e32 vcc_lo, 0, v1
	v_cmp_ne_u32_e64 s0, 0, v5
	v_lshrrev_b32_e32 v1, 23, v0
	s_delay_alu instid0(VALU_DEP_2) | instskip(NEXT) | instid1(SALU_CYCLE_1)
	s_and_b32 s0, vcc_lo, s0
	v_cndmask_b32_e64 v5, 0, 1, s0
	s_delay_alu instid0(VALU_DEP_1)
	v_add_nc_u32_e32 v1, v1, v5
; %bb.1493:
	s_or_b32 exec_lo, exec_lo, s1
	s_mov_b32 s0, 0
	global_store_b8 v[2:3], v1, off
.LBB66_1494:
	s_mov_b32 s1, 0
.LBB66_1495:
	s_delay_alu instid0(SALU_CYCLE_1)
	s_and_b32 vcc_lo, exec_lo, s1
	s_cbranch_vccz .LBB66_1498
; %bb.1496:
	v_cmp_eq_u16_e32 vcc_lo, 29, v4
	s_mov_b32 s0, -1
	s_cbranch_vccz .LBB66_1498
; %bb.1497:
	v_trunc_f32_e32 v1, v0
	s_mov_b32 s0, 0
	s_mov_b32 s1, 0
	s_delay_alu instid0(VALU_DEP_1) | instskip(NEXT) | instid1(VALU_DEP_1)
	v_mul_f32_e32 v5, 0x2f800000, v1
	v_floor_f32_e32 v5, v5
	s_delay_alu instid0(VALU_DEP_1) | instskip(SKIP_1) | instid1(VALU_DEP_2)
	v_fmamk_f32 v1, v5, 0xcf800000, v1
	v_cvt_u32_f32_e32 v6, v5
	v_cvt_u32_f32_e32 v5, v1
	global_store_b64 v[2:3], v[5:6], off
	s_branch .LBB66_1499
.LBB66_1498:
	s_mov_b32 s1, 0
.LBB66_1499:
	s_delay_alu instid0(SALU_CYCLE_1)
	s_and_b32 vcc_lo, exec_lo, s1
	s_cbranch_vccz .LBB66_1514
; %bb.1500:
	v_cmp_gt_i16_e32 vcc_lo, 27, v4
	s_mov_b32 s1, -1
	s_cbranch_vccnz .LBB66_1506
; %bb.1501:
	v_cmp_lt_i16_e32 vcc_lo, 27, v4
	v_cvt_u32_f32_e32 v1, v0
	s_cbranch_vccz .LBB66_1503
; %bb.1502:
	s_mov_b32 s1, 0
	global_store_b32 v[2:3], v1, off
.LBB66_1503:
	s_and_not1_b32 vcc_lo, exec_lo, s1
	s_cbranch_vccnz .LBB66_1505
; %bb.1504:
	global_store_b16 v[2:3], v1, off
.LBB66_1505:
	s_mov_b32 s1, 0
.LBB66_1506:
	s_delay_alu instid0(SALU_CYCLE_1)
	s_and_not1_b32 vcc_lo, exec_lo, s1
	s_cbranch_vccnz .LBB66_1514
; %bb.1507:
	v_and_b32_e32 v1, 0x7fffffff, v0
	v_mov_b32_e32 v5, 0x80
	s_mov_b32 s1, exec_lo
	s_delay_alu instid0(VALU_DEP_2)
	v_cmpx_gt_u32_e32 0x43800000, v1
	s_cbranch_execz .LBB66_1513
; %bb.1508:
	v_cmp_lt_u32_e32 vcc_lo, 0x3bffffff, v1
	s_mov_b32 s16, 0
                                        ; implicit-def: $vgpr1
	s_and_saveexec_b32 s17, vcc_lo
	s_delay_alu instid0(SALU_CYCLE_1)
	s_xor_b32 s17, exec_lo, s17
	s_cbranch_execz .LBB66_1749
; %bb.1509:
	v_bfe_u32 v1, v0, 20, 1
	s_mov_b32 s16, exec_lo
	s_delay_alu instid0(VALU_DEP_1) | instskip(NEXT) | instid1(VALU_DEP_1)
	v_add3_u32 v1, v0, v1, 0x487ffff
	v_lshrrev_b32_e32 v1, 20, v1
	s_or_saveexec_b32 s17, s17
                                        ; implicit-def: $sgpr18
	s_delay_alu instid0(SALU_CYCLE_1)
	s_xor_b32 exec_lo, exec_lo, s17
	s_cbranch_execnz .LBB66_1750
.LBB66_1510:
	s_or_b32 exec_lo, exec_lo, s17
	v_mov_b32_e32 v5, s18
	s_and_saveexec_b32 s17, s16
.LBB66_1511:
	v_lshrrev_b32_e32 v5, 24, v0
	s_delay_alu instid0(VALU_DEP_1)
	v_and_or_b32 v5, 0x80, v5, v1
.LBB66_1512:
	s_or_b32 exec_lo, exec_lo, s17
.LBB66_1513:
	s_delay_alu instid0(SALU_CYCLE_1)
	s_or_b32 exec_lo, exec_lo, s1
	global_store_b8 v[2:3], v5, off
.LBB66_1514:
	s_mov_b32 s1, 0
.LBB66_1515:
	s_delay_alu instid0(SALU_CYCLE_1)
	s_and_b32 vcc_lo, exec_lo, s1
	s_mov_b32 s1, 0
	s_cbranch_vccz .LBB66_1555
; %bb.1516:
	v_cmp_lt_i16_e32 vcc_lo, 22, v4
	s_mov_b32 s16, -1
	s_cbranch_vccz .LBB66_1548
; %bb.1517:
	v_cmp_gt_i16_e32 vcc_lo, 24, v4
	s_cbranch_vccnz .LBB66_1537
; %bb.1518:
	v_cmp_lt_i16_e32 vcc_lo, 24, v4
	s_cbranch_vccz .LBB66_1526
; %bb.1519:
	v_and_b32_e32 v1, 0x7fffffff, v0
	v_mov_b32_e32 v5, 0x80
	s_mov_b32 s16, exec_lo
	s_delay_alu instid0(VALU_DEP_2)
	v_cmpx_gt_u32_e32 0x47800000, v1
	s_cbranch_execz .LBB66_1525
; %bb.1520:
	v_cmp_lt_u32_e32 vcc_lo, 0x37ffffff, v1
	s_mov_b32 s17, 0
                                        ; implicit-def: $vgpr1
	s_and_saveexec_b32 s18, vcc_lo
	s_delay_alu instid0(SALU_CYCLE_1)
	s_xor_b32 s18, exec_lo, s18
	s_cbranch_execz .LBB66_1893
; %bb.1521:
	v_bfe_u32 v1, v0, 21, 1
	s_mov_b32 s17, exec_lo
	s_delay_alu instid0(VALU_DEP_1) | instskip(NEXT) | instid1(VALU_DEP_1)
	v_add3_u32 v1, v0, v1, 0x88fffff
	v_lshrrev_b32_e32 v1, 21, v1
	s_or_saveexec_b32 s18, s18
                                        ; implicit-def: $sgpr19
	s_delay_alu instid0(SALU_CYCLE_1)
	s_xor_b32 exec_lo, exec_lo, s18
	s_cbranch_execnz .LBB66_1894
.LBB66_1522:
	s_or_b32 exec_lo, exec_lo, s18
	v_mov_b32_e32 v5, s19
	s_and_saveexec_b32 s18, s17
.LBB66_1523:
	v_lshrrev_b32_e32 v5, 24, v0
	s_delay_alu instid0(VALU_DEP_1)
	v_and_or_b32 v5, 0x80, v5, v1
.LBB66_1524:
	s_or_b32 exec_lo, exec_lo, s18
.LBB66_1525:
	s_delay_alu instid0(SALU_CYCLE_1)
	s_or_b32 exec_lo, exec_lo, s16
	s_mov_b32 s16, 0
	global_store_b8 v[2:3], v5, off
.LBB66_1526:
	s_and_b32 vcc_lo, exec_lo, s16
	s_cbranch_vccz .LBB66_1536
; %bb.1527:
	v_and_b32_e32 v5, 0x7fffffff, v0
	s_mov_b32 s16, exec_lo
                                        ; implicit-def: $vgpr1
	s_delay_alu instid0(VALU_DEP_1)
	v_cmpx_gt_u32_e32 0x43f00000, v5
	s_xor_b32 s16, exec_lo, s16
	s_cbranch_execz .LBB66_1533
; %bb.1528:
	s_mov_b32 s17, exec_lo
                                        ; implicit-def: $vgpr1
	v_cmpx_lt_u32_e32 0x3c7fffff, v5
	s_xor_b32 s17, exec_lo, s17
; %bb.1529:
	v_bfe_u32 v1, v0, 20, 1
	s_delay_alu instid0(VALU_DEP_1) | instskip(NEXT) | instid1(VALU_DEP_1)
	v_add3_u32 v1, v0, v1, 0x407ffff
	v_and_b32_e32 v5, 0xff00000, v1
	v_lshrrev_b32_e32 v1, 20, v1
	s_delay_alu instid0(VALU_DEP_2) | instskip(NEXT) | instid1(VALU_DEP_2)
	v_cmp_ne_u32_e32 vcc_lo, 0x7f00000, v5
	v_cndmask_b32_e32 v1, 0x7e, v1, vcc_lo
; %bb.1530:
	s_and_not1_saveexec_b32 s17, s17
; %bb.1531:
	v_add_f32_e64 v1, 0x46800000, |v0|
; %bb.1532:
	s_or_b32 exec_lo, exec_lo, s17
                                        ; implicit-def: $vgpr5
.LBB66_1533:
	s_and_not1_saveexec_b32 s16, s16
; %bb.1534:
	v_mov_b32_e32 v1, 0x7f
	v_cmp_lt_u32_e32 vcc_lo, 0x7f800000, v5
	s_delay_alu instid0(VALU_DEP_2)
	v_cndmask_b32_e32 v1, 0x7e, v1, vcc_lo
; %bb.1535:
	s_or_b32 exec_lo, exec_lo, s16
	v_lshrrev_b32_e32 v5, 24, v0
	s_delay_alu instid0(VALU_DEP_1)
	v_and_or_b32 v1, 0x80, v5, v1
	global_store_b8 v[2:3], v1, off
.LBB66_1536:
	s_mov_b32 s16, 0
.LBB66_1537:
	s_delay_alu instid0(SALU_CYCLE_1)
	s_and_not1_b32 vcc_lo, exec_lo, s16
	s_cbranch_vccnz .LBB66_1547
; %bb.1538:
	v_and_b32_e32 v5, 0x7fffffff, v0
	s_mov_b32 s16, exec_lo
                                        ; implicit-def: $vgpr1
	s_delay_alu instid0(VALU_DEP_1)
	v_cmpx_gt_u32_e32 0x47800000, v5
	s_xor_b32 s16, exec_lo, s16
	s_cbranch_execz .LBB66_1544
; %bb.1539:
	s_mov_b32 s17, exec_lo
                                        ; implicit-def: $vgpr1
	v_cmpx_lt_u32_e32 0x387fffff, v5
	s_xor_b32 s17, exec_lo, s17
; %bb.1540:
	v_bfe_u32 v1, v0, 21, 1
	s_delay_alu instid0(VALU_DEP_1) | instskip(NEXT) | instid1(VALU_DEP_1)
	v_add3_u32 v1, v0, v1, 0x80fffff
	v_lshrrev_b32_e32 v1, 21, v1
; %bb.1541:
	s_and_not1_saveexec_b32 s17, s17
; %bb.1542:
	v_add_f32_e64 v1, 0x43000000, |v0|
; %bb.1543:
	s_or_b32 exec_lo, exec_lo, s17
                                        ; implicit-def: $vgpr5
.LBB66_1544:
	s_and_not1_saveexec_b32 s16, s16
; %bb.1545:
	v_mov_b32_e32 v1, 0x7f
	v_cmp_lt_u32_e32 vcc_lo, 0x7f800000, v5
	s_delay_alu instid0(VALU_DEP_2)
	v_cndmask_b32_e32 v1, 0x7c, v1, vcc_lo
; %bb.1546:
	s_or_b32 exec_lo, exec_lo, s16
	v_lshrrev_b32_e32 v5, 24, v0
	s_delay_alu instid0(VALU_DEP_1)
	v_and_or_b32 v1, 0x80, v5, v1
	global_store_b8 v[2:3], v1, off
.LBB66_1547:
	s_mov_b32 s16, 0
.LBB66_1548:
	s_delay_alu instid0(SALU_CYCLE_1)
	s_and_not1_b32 vcc_lo, exec_lo, s16
	s_mov_b32 s16, 0
	s_cbranch_vccnz .LBB66_1556
; %bb.1549:
	v_cmp_lt_i16_e32 vcc_lo, 14, v4
	s_mov_b32 s16, -1
	s_cbranch_vccz .LBB66_1553
; %bb.1550:
	v_cmp_eq_u16_e32 vcc_lo, 15, v4
	s_mov_b32 s0, -1
	s_cbranch_vccz .LBB66_1552
; %bb.1551:
	v_bfe_u32 v1, v0, 16, 1
	v_cmp_o_f32_e32 vcc_lo, v0, v0
	s_mov_b32 s0, 0
	s_delay_alu instid0(VALU_DEP_2) | instskip(NEXT) | instid1(VALU_DEP_1)
	v_add3_u32 v1, v0, v1, 0x7fff
	v_lshrrev_b32_e32 v1, 16, v1
	s_delay_alu instid0(VALU_DEP_1)
	v_cndmask_b32_e32 v1, 0x7fc0, v1, vcc_lo
	global_store_b16 v[2:3], v1, off
.LBB66_1552:
	s_mov_b32 s16, 0
.LBB66_1553:
	s_delay_alu instid0(SALU_CYCLE_1)
	s_and_b32 vcc_lo, exec_lo, s16
	s_mov_b32 s16, 0
	s_cbranch_vccz .LBB66_1556
; %bb.1554:
	v_cmp_ne_u16_e32 vcc_lo, 11, v4
	s_and_not1_b32 s0, s0, exec_lo
	s_mov_b32 s16, -1
	s_and_b32 s17, vcc_lo, exec_lo
	s_delay_alu instid0(SALU_CYCLE_1)
	s_or_b32 s0, s0, s17
	s_branch .LBB66_1556
.LBB66_1555:
	s_mov_b32 s16, 0
.LBB66_1556:
	s_and_not1_b32 s13, s13, exec_lo
	s_and_b32 s17, s0, exec_lo
	s_and_b32 s1, s1, exec_lo
	s_and_b32 s0, s16, exec_lo
	s_or_b32 s13, s13, s17
.LBB66_1557:
	s_or_b32 exec_lo, exec_lo, s15
	s_and_saveexec_b32 s15, s13
	s_cbranch_execnz .LBB66_1619
; %bb.1558:
	s_or_b32 exec_lo, exec_lo, s15
	s_and_saveexec_b32 s13, s0
	s_delay_alu instid0(SALU_CYCLE_1)
	s_xor_b32 s0, exec_lo, s13
	s_cbranch_execz .LBB66_1560
.LBB66_1559:
	v_cmp_neq_f32_e32 vcc_lo, 0, v0
	v_cndmask_b32_e64 v1, 0, 1, vcc_lo
	s_waitcnt vmcnt(0)
	global_store_b8 v[2:3], v1, off
.LBB66_1560:
	s_or_b32 exec_lo, exec_lo, s0
	s_and_saveexec_b32 s0, s1
	s_delay_alu instid0(SALU_CYCLE_1)
	s_xor_b32 s0, exec_lo, s0
	s_cbranch_execz .LBB66_1598
; %bb.1561:
	s_waitcnt vmcnt(0)
	v_cmp_gt_i16_e32 vcc_lo, 5, v4
	s_mov_b32 s1, -1
	s_cbranch_vccnz .LBB66_1582
; %bb.1562:
	v_cmp_gt_i16_e32 vcc_lo, 8, v4
	s_cbranch_vccnz .LBB66_1572
; %bb.1563:
	v_cmp_gt_i16_e32 vcc_lo, 9, v4
	s_cbranch_vccnz .LBB66_1569
; %bb.1564:
	v_cmp_lt_i16_e32 vcc_lo, 9, v4
	s_cbranch_vccz .LBB66_1566
; %bb.1565:
	v_cvt_f64_f32_e32 v[5:6], v0
	v_mov_b32_e32 v7, 0
	s_mov_b32 s1, 0
	s_delay_alu instid0(VALU_DEP_1)
	v_mov_b32_e32 v8, v7
	global_store_b128 v[2:3], v[5:8], off
.LBB66_1566:
	s_and_not1_b32 vcc_lo, exec_lo, s1
	s_cbranch_vccnz .LBB66_1568
; %bb.1567:
	v_mov_b32_e32 v1, 0
	global_store_b64 v[2:3], v[0:1], off
.LBB66_1568:
	s_mov_b32 s1, 0
.LBB66_1569:
	s_delay_alu instid0(SALU_CYCLE_1)
	s_and_not1_b32 vcc_lo, exec_lo, s1
	s_cbranch_vccnz .LBB66_1571
; %bb.1570:
	v_cvt_f16_f32_e32 v1, v0
	s_delay_alu instid0(VALU_DEP_1)
	v_and_b32_e32 v1, 0xffff, v1
	global_store_b32 v[2:3], v1, off
.LBB66_1571:
	s_mov_b32 s1, 0
.LBB66_1572:
	s_delay_alu instid0(SALU_CYCLE_1)
	s_and_not1_b32 vcc_lo, exec_lo, s1
	s_cbranch_vccnz .LBB66_1581
; %bb.1573:
	v_cmp_gt_i16_e32 vcc_lo, 6, v4
	s_mov_b32 s1, -1
	s_cbranch_vccnz .LBB66_1579
; %bb.1574:
	v_cmp_lt_i16_e32 vcc_lo, 6, v4
	s_cbranch_vccz .LBB66_1576
; %bb.1575:
	v_cvt_f64_f32_e32 v[5:6], v0
	s_mov_b32 s1, 0
	global_store_b64 v[2:3], v[5:6], off
.LBB66_1576:
	s_and_not1_b32 vcc_lo, exec_lo, s1
	s_cbranch_vccnz .LBB66_1578
; %bb.1577:
	global_store_b32 v[2:3], v0, off
.LBB66_1578:
	s_mov_b32 s1, 0
.LBB66_1579:
	s_delay_alu instid0(SALU_CYCLE_1)
	s_and_not1_b32 vcc_lo, exec_lo, s1
	s_cbranch_vccnz .LBB66_1581
; %bb.1580:
	v_cvt_f16_f32_e32 v1, v0
	global_store_b16 v[2:3], v1, off
.LBB66_1581:
	s_mov_b32 s1, 0
.LBB66_1582:
	s_delay_alu instid0(SALU_CYCLE_1)
	s_and_not1_b32 vcc_lo, exec_lo, s1
	s_cbranch_vccnz .LBB66_1598
; %bb.1583:
	v_cmp_gt_i16_e32 vcc_lo, 2, v4
	s_mov_b32 s1, -1
	s_cbranch_vccnz .LBB66_1593
; %bb.1584:
	v_cmp_gt_i16_e32 vcc_lo, 3, v4
	s_cbranch_vccnz .LBB66_1590
; %bb.1585:
	v_cmp_lt_i16_e32 vcc_lo, 3, v4
	s_cbranch_vccz .LBB66_1587
; %bb.1586:
	v_trunc_f32_e32 v1, v0
	s_mov_b32 s1, 0
	s_delay_alu instid0(VALU_DEP_1) | instskip(NEXT) | instid1(VALU_DEP_1)
	v_mul_f32_e64 v5, 0x2f800000, |v1|
	v_floor_f32_e32 v5, v5
	s_delay_alu instid0(VALU_DEP_1) | instskip(SKIP_2) | instid1(VALU_DEP_3)
	v_fma_f32 v6, 0xcf800000, v5, |v1|
	v_ashrrev_i32_e32 v1, 31, v1
	v_cvt_u32_f32_e32 v5, v5
	v_cvt_u32_f32_e32 v6, v6
	s_delay_alu instid0(VALU_DEP_2) | instskip(NEXT) | instid1(VALU_DEP_2)
	v_xor_b32_e32 v7, v5, v1
	v_xor_b32_e32 v6, v6, v1
	s_delay_alu instid0(VALU_DEP_1) | instskip(NEXT) | instid1(VALU_DEP_3)
	v_sub_co_u32 v5, vcc_lo, v6, v1
	v_sub_co_ci_u32_e32 v6, vcc_lo, v7, v1, vcc_lo
	global_store_b64 v[2:3], v[5:6], off
.LBB66_1587:
	s_and_not1_b32 vcc_lo, exec_lo, s1
	s_cbranch_vccnz .LBB66_1589
; %bb.1588:
	v_cvt_i32_f32_e32 v1, v0
	global_store_b32 v[2:3], v1, off
.LBB66_1589:
	s_mov_b32 s1, 0
.LBB66_1590:
	s_delay_alu instid0(SALU_CYCLE_1)
	s_and_not1_b32 vcc_lo, exec_lo, s1
	s_cbranch_vccnz .LBB66_1592
; %bb.1591:
	v_cvt_i32_f32_e32 v1, v0
	global_store_b16 v[2:3], v1, off
.LBB66_1592:
	s_mov_b32 s1, 0
.LBB66_1593:
	s_delay_alu instid0(SALU_CYCLE_1)
	s_and_not1_b32 vcc_lo, exec_lo, s1
	s_cbranch_vccnz .LBB66_1598
; %bb.1594:
	v_cmp_lt_i16_e32 vcc_lo, 0, v4
	s_mov_b32 s1, -1
	s_cbranch_vccz .LBB66_1596
; %bb.1595:
	v_cvt_i32_f32_e32 v1, v0
	s_mov_b32 s1, 0
	global_store_b8 v[2:3], v1, off
.LBB66_1596:
	s_and_not1_b32 vcc_lo, exec_lo, s1
	s_cbranch_vccnz .LBB66_1598
; %bb.1597:
	v_trunc_f32_e32 v0, v0
	s_delay_alu instid0(VALU_DEP_1) | instskip(NEXT) | instid1(VALU_DEP_1)
	v_mul_f32_e64 v1, 0x2f800000, |v0|
	v_floor_f32_e32 v1, v1
	s_delay_alu instid0(VALU_DEP_1) | instskip(SKIP_1) | instid1(VALU_DEP_2)
	v_fma_f32 v1, 0xcf800000, v1, |v0|
	v_ashrrev_i32_e32 v0, 31, v0
	v_cvt_u32_f32_e32 v1, v1
	s_delay_alu instid0(VALU_DEP_1) | instskip(NEXT) | instid1(VALU_DEP_1)
	v_xor_b32_e32 v1, v1, v0
	v_sub_nc_u32_e32 v0, v1, v0
	global_store_b8 v[2:3], v0, off
.LBB66_1598:
	s_or_b32 exec_lo, exec_lo, s0
	s_delay_alu instid0(SALU_CYCLE_1)
	s_and_b32 s13, s14, exec_lo
                                        ; implicit-def: $vgpr10
                                        ; implicit-def: $vgpr5
                                        ; implicit-def: $vgpr4
                                        ; implicit-def: $vgpr9
.LBB66_1599:
	s_or_saveexec_b32 s12, s12
	s_mov_b32 s0, 0
                                        ; implicit-def: $vgpr11
                                        ; implicit-def: $vgpr0_vgpr1
                                        ; implicit-def: $vgpr6
	s_xor_b32 exec_lo, exec_lo, s12
	s_cbranch_execz .LBB66_2795
; %bb.1600:
	s_waitcnt vmcnt(0)
	v_mul_lo_u32 v3, s9, v10
	s_delay_alu instid0(VALU_DEP_2) | instskip(NEXT) | instid1(VALU_DEP_1)
	v_and_b32_e32 v7, 0xff, v5
	v_cmp_gt_i16_e32 vcc_lo, 11, v7
	s_delay_alu instid0(VALU_DEP_3) | instskip(SKIP_1) | instid1(VALU_DEP_1)
	v_ashrrev_i32_e32 v1, 31, v3
	v_add_co_u32 v0, s0, s6, v3
	v_add_co_ci_u32_e64 v1, s0, s7, v1, s0
	s_cbranch_vccnz .LBB66_1607
; %bb.1601:
	v_cmp_lt_i16_e32 vcc_lo, 25, v7
	s_mov_b32 s1, 0
	s_cbranch_vccz .LBB66_1613
; %bb.1602:
	v_cmp_lt_i16_e32 vcc_lo, 28, v7
	s_cbranch_vccz .LBB66_1615
; %bb.1603:
	v_cmp_lt_i16_e32 vcc_lo, 43, v7
	;; [unrolled: 3-line block ×3, first 2 shown]
	s_cbranch_vccz .LBB66_1621
; %bb.1605:
	v_cmp_eq_u16_e32 vcc_lo, 46, v7
	s_mov_b32 s11, 0
	s_cbranch_vccz .LBB66_1661
; %bb.1606:
	global_load_b32 v2, v[0:1], off
	s_mov_b32 s0, 0
	s_mov_b32 s14, -1
	s_waitcnt vmcnt(0)
	v_lshlrev_b32_e32 v6, 16, v2
	s_branch .LBB66_1663
.LBB66_1607:
	s_mov_b32 s14, 0
	s_mov_b32 s11, s13
                                        ; implicit-def: $vgpr6
	s_cbranch_execz .LBB66_1726
; %bb.1608:
	v_cmp_gt_i16_e32 vcc_lo, 5, v7
	s_cbranch_vccnz .LBB66_1614
; %bb.1609:
	v_cmp_gt_i16_e32 vcc_lo, 8, v7
	s_cbranch_vccnz .LBB66_1616
	;; [unrolled: 3-line block ×3, first 2 shown]
; %bb.1611:
	v_cmp_lt_i16_e32 vcc_lo, 9, v7
	s_cbranch_vccz .LBB66_1622
; %bb.1612:
	global_load_b64 v[5:6], v[0:1], off
	s_mov_b32 s0, 0
	s_waitcnt vmcnt(0)
	v_cvt_f32_f64_e32 v6, v[5:6]
	s_branch .LBB66_1623
.LBB66_1613:
	s_mov_b32 s14, 0
	s_mov_b32 s0, 0
                                        ; implicit-def: $vgpr6
	s_cbranch_execnz .LBB66_1691
	s_branch .LBB66_1722
.LBB66_1614:
                                        ; implicit-def: $vgpr6
	s_branch .LBB66_1640
.LBB66_1615:
	s_mov_b32 s11, -1
	s_mov_b32 s14, 0
	s_mov_b32 s0, 0
                                        ; implicit-def: $vgpr6
	s_branch .LBB66_1672
.LBB66_1616:
                                        ; implicit-def: $vgpr6
	s_branch .LBB66_1629
.LBB66_1617:
	s_mov_b32 s14, 0
	s_mov_b32 s0, 0
                                        ; implicit-def: $vgpr6
	s_cbranch_execnz .LBB66_1668
	s_branch .LBB66_1671
.LBB66_1618:
	s_mov_b32 s0, -1
                                        ; implicit-def: $vgpr6
	s_branch .LBB66_1626
.LBB66_1619:
	s_cbranch_execnz .LBB66_1659
; %bb.1620:
	s_or_b32 s14, s14, exec_lo
	s_and_not1_b32 s0, s0, exec_lo
	s_or_b32 exec_lo, exec_lo, s15
	s_and_saveexec_b32 s13, s0
	s_delay_alu instid0(SALU_CYCLE_1)
	s_xor_b32 s0, exec_lo, s13
	s_cbranch_execnz .LBB66_1559
	s_branch .LBB66_1560
.LBB66_1621:
	s_mov_b32 s11, -1
	s_mov_b32 s14, 0
	s_mov_b32 s0, 0
	s_branch .LBB66_1662
.LBB66_1622:
	s_mov_b32 s0, -1
                                        ; implicit-def: $vgpr6
.LBB66_1623:
	s_delay_alu instid0(SALU_CYCLE_1)
	s_and_not1_b32 vcc_lo, exec_lo, s0
	s_cbranch_vccnz .LBB66_1625
; %bb.1624:
	global_load_b32 v6, v[0:1], off
.LBB66_1625:
	s_mov_b32 s0, 0
.LBB66_1626:
	s_delay_alu instid0(SALU_CYCLE_1)
	s_and_not1_b32 vcc_lo, exec_lo, s0
	s_cbranch_vccnz .LBB66_1628
; %bb.1627:
	global_load_b32 v2, v[0:1], off
	s_waitcnt vmcnt(0)
	v_cvt_f32_f16_e32 v6, v2
.LBB66_1628:
	s_cbranch_execnz .LBB66_1639
.LBB66_1629:
	v_cmp_gt_i16_e32 vcc_lo, 6, v7
	s_cbranch_vccnz .LBB66_1632
; %bb.1630:
	v_cmp_lt_i16_e32 vcc_lo, 6, v7
	s_cbranch_vccz .LBB66_1633
; %bb.1631:
	global_load_b64 v[5:6], v[0:1], off
	s_mov_b32 s0, 0
	s_waitcnt vmcnt(0)
	v_cvt_f32_f64_e32 v6, v[5:6]
	s_branch .LBB66_1634
.LBB66_1632:
	s_mov_b32 s0, -1
                                        ; implicit-def: $vgpr6
	s_branch .LBB66_1637
.LBB66_1633:
	s_mov_b32 s0, -1
                                        ; implicit-def: $vgpr6
.LBB66_1634:
	s_delay_alu instid0(SALU_CYCLE_1)
	s_and_not1_b32 vcc_lo, exec_lo, s0
	s_cbranch_vccnz .LBB66_1636
; %bb.1635:
	global_load_b32 v6, v[0:1], off
.LBB66_1636:
	s_mov_b32 s0, 0
.LBB66_1637:
	s_delay_alu instid0(SALU_CYCLE_1)
	s_and_not1_b32 vcc_lo, exec_lo, s0
	s_cbranch_vccnz .LBB66_1639
; %bb.1638:
	global_load_u16 v2, v[0:1], off
	s_waitcnt vmcnt(0)
	v_cvt_f32_f16_e32 v6, v2
.LBB66_1639:
	s_cbranch_execnz .LBB66_1658
.LBB66_1640:
	v_cmp_gt_i16_e32 vcc_lo, 2, v7
	s_cbranch_vccnz .LBB66_1644
; %bb.1641:
	v_cmp_gt_i16_e32 vcc_lo, 3, v7
	s_cbranch_vccnz .LBB66_1645
; %bb.1642:
	v_cmp_lt_i16_e32 vcc_lo, 3, v7
	s_cbranch_vccz .LBB66_1646
; %bb.1643:
	global_load_b64 v[5:6], v[0:1], off
	s_mov_b32 s0, 0
	s_waitcnt vmcnt(0)
	v_xor_b32_e32 v2, v5, v6
	v_cls_i32_e32 v8, v6
	s_delay_alu instid0(VALU_DEP_2) | instskip(NEXT) | instid1(VALU_DEP_2)
	v_ashrrev_i32_e32 v2, 31, v2
	v_add_nc_u32_e32 v8, -1, v8
	s_delay_alu instid0(VALU_DEP_2) | instskip(NEXT) | instid1(VALU_DEP_1)
	v_add_nc_u32_e32 v2, 32, v2
	v_min_u32_e32 v2, v8, v2
	s_delay_alu instid0(VALU_DEP_1) | instskip(SKIP_1) | instid1(VALU_DEP_2)
	v_lshlrev_b64 v[5:6], v2, v[5:6]
	v_sub_nc_u32_e32 v2, 32, v2
	v_min_u32_e32 v5, 1, v5
	s_delay_alu instid0(VALU_DEP_1) | instskip(NEXT) | instid1(VALU_DEP_1)
	v_or_b32_e32 v5, v6, v5
	v_cvt_f32_i32_e32 v5, v5
	s_delay_alu instid0(VALU_DEP_1)
	v_ldexp_f32 v6, v5, v2
	s_branch .LBB66_1647
.LBB66_1644:
                                        ; implicit-def: $vgpr6
	s_branch .LBB66_1653
.LBB66_1645:
	s_mov_b32 s0, -1
                                        ; implicit-def: $vgpr6
	s_branch .LBB66_1650
.LBB66_1646:
	s_mov_b32 s0, -1
                                        ; implicit-def: $vgpr6
.LBB66_1647:
	s_delay_alu instid0(SALU_CYCLE_1)
	s_and_not1_b32 vcc_lo, exec_lo, s0
	s_cbranch_vccnz .LBB66_1649
; %bb.1648:
	global_load_b32 v2, v[0:1], off
	s_waitcnt vmcnt(0)
	v_cvt_f32_i32_e32 v6, v2
.LBB66_1649:
	s_mov_b32 s0, 0
.LBB66_1650:
	s_delay_alu instid0(SALU_CYCLE_1)
	s_and_not1_b32 vcc_lo, exec_lo, s0
	s_cbranch_vccnz .LBB66_1652
; %bb.1651:
	global_load_i16 v2, v[0:1], off
	s_waitcnt vmcnt(0)
	v_cvt_f32_i32_e32 v6, v2
.LBB66_1652:
	s_cbranch_execnz .LBB66_1658
.LBB66_1653:
	v_cmp_lt_i16_e32 vcc_lo, 0, v7
	s_mov_b32 s0, 0
	s_cbranch_vccz .LBB66_1655
; %bb.1654:
	global_load_i8 v2, v[0:1], off
	s_waitcnt vmcnt(0)
	v_cvt_f32_i32_e32 v6, v2
	s_branch .LBB66_1656
.LBB66_1655:
	s_mov_b32 s0, -1
                                        ; implicit-def: $vgpr6
.LBB66_1656:
	s_delay_alu instid0(SALU_CYCLE_1)
	s_and_not1_b32 vcc_lo, exec_lo, s0
	s_cbranch_vccnz .LBB66_1658
; %bb.1657:
	global_load_u8 v0, v[0:1], off
	s_waitcnt vmcnt(0)
	v_cvt_f32_ubyte0_e32 v6, v0
.LBB66_1658:
	s_branch .LBB66_1727
.LBB66_1659:
	s_trap 2
	s_sendmsg_rtn_b32 s0, sendmsg(MSG_RTN_GET_DOORBELL)
	s_mov_b32 ttmp2, m0
	s_waitcnt lgkmcnt(0)
	s_and_b32 s0, s0, 0x3ff
	s_delay_alu instid0(SALU_CYCLE_1) | instskip(NEXT) | instid1(SALU_CYCLE_1)
	s_bitset1_b32 s0, 10
	s_mov_b32 m0, s0
	s_sendmsg sendmsg(MSG_INTERRUPT)
	s_mov_b32 m0, ttmp2
.LBB66_1660:                            ; =>This Inner Loop Header: Depth=1
	s_sethalt 5
	s_branch .LBB66_1660
.LBB66_1661:
	s_mov_b32 s0, -1
	s_mov_b32 s14, 0
.LBB66_1662:
                                        ; implicit-def: $vgpr6
.LBB66_1663:
	s_and_b32 vcc_lo, exec_lo, s11
	s_cbranch_vccz .LBB66_1666
; %bb.1664:
	v_cmp_eq_u16_e32 vcc_lo, 44, v7
	s_cbranch_vccz .LBB66_1667
; %bb.1665:
	global_load_u8 v2, v[0:1], off
	s_mov_b32 s0, 0
	s_mov_b32 s14, -1
	s_waitcnt vmcnt(0)
	v_lshlrev_b32_e32 v5, 23, v2
	v_cmp_ne_u32_e32 vcc_lo, 0xff, v2
	s_delay_alu instid0(VALU_DEP_2) | instskip(SKIP_1) | instid1(VALU_DEP_2)
	v_cndmask_b32_e32 v5, 0x7f800001, v5, vcc_lo
	v_cmp_ne_u32_e32 vcc_lo, 0, v2
	v_cndmask_b32_e32 v6, 0x400000, v5, vcc_lo
.LBB66_1666:
	s_branch .LBB66_1671
.LBB66_1667:
	s_mov_b32 s0, -1
                                        ; implicit-def: $vgpr6
	s_branch .LBB66_1671
.LBB66_1668:
	v_cmp_eq_u16_e32 vcc_lo, 29, v7
	s_cbranch_vccz .LBB66_1670
; %bb.1669:
	global_load_b64 v[5:6], v[0:1], off
	s_mov_b32 s0, 0
	s_mov_b32 s14, -1
	s_mov_b32 s11, 0
	s_waitcnt vmcnt(0)
	v_clz_i32_u32_e32 v2, v6
	s_delay_alu instid0(VALU_DEP_1) | instskip(NEXT) | instid1(VALU_DEP_1)
	v_min_u32_e32 v2, 32, v2
	v_lshlrev_b64 v[5:6], v2, v[5:6]
	v_sub_nc_u32_e32 v2, 32, v2
	s_delay_alu instid0(VALU_DEP_2) | instskip(NEXT) | instid1(VALU_DEP_1)
	v_min_u32_e32 v5, 1, v5
	v_or_b32_e32 v5, v6, v5
	s_delay_alu instid0(VALU_DEP_1) | instskip(NEXT) | instid1(VALU_DEP_1)
	v_cvt_f32_u32_e32 v5, v5
	v_ldexp_f32 v6, v5, v2
	s_branch .LBB66_1672
.LBB66_1670:
	s_mov_b32 s0, -1
                                        ; implicit-def: $vgpr6
.LBB66_1671:
	s_mov_b32 s11, 0
.LBB66_1672:
	s_delay_alu instid0(SALU_CYCLE_1)
	s_and_b32 vcc_lo, exec_lo, s11
	s_cbranch_vccz .LBB66_1690
; %bb.1673:
	v_cmp_gt_i16_e32 vcc_lo, 27, v7
	s_cbranch_vccnz .LBB66_1676
; %bb.1674:
	v_cmp_lt_i16_e32 vcc_lo, 27, v7
	s_cbranch_vccz .LBB66_1677
; %bb.1675:
	global_load_b32 v2, v[0:1], off
	s_mov_b32 s11, 0
	s_waitcnt vmcnt(0)
	v_cvt_f32_u32_e32 v6, v2
	s_branch .LBB66_1678
.LBB66_1676:
	s_mov_b32 s11, -1
                                        ; implicit-def: $vgpr6
	s_branch .LBB66_1681
.LBB66_1677:
	s_mov_b32 s11, -1
                                        ; implicit-def: $vgpr6
.LBB66_1678:
	s_delay_alu instid0(SALU_CYCLE_1)
	s_and_not1_b32 vcc_lo, exec_lo, s11
	s_cbranch_vccnz .LBB66_1680
; %bb.1679:
	global_load_u16 v2, v[0:1], off
	s_waitcnt vmcnt(0)
	v_cvt_f32_u32_e32 v6, v2
.LBB66_1680:
	s_mov_b32 s11, 0
.LBB66_1681:
	s_delay_alu instid0(SALU_CYCLE_1)
	s_and_not1_b32 vcc_lo, exec_lo, s11
	s_cbranch_vccnz .LBB66_1689
; %bb.1682:
	global_load_u8 v2, v[0:1], off
	s_mov_b32 s11, 0
	s_mov_b32 s15, exec_lo
                                        ; implicit-def: $sgpr14
	s_waitcnt vmcnt(0)
	v_cmpx_lt_i16_e32 0x7f, v2
	s_xor_b32 s15, exec_lo, s15
	s_cbranch_execz .LBB66_1702
; %bb.1683:
	s_mov_b32 s11, -1
	s_mov_b32 s16, exec_lo
                                        ; implicit-def: $sgpr14
	v_cmpx_eq_u16_e32 0x80, v2
; %bb.1684:
	s_mov_b32 s14, 0x7f800001
	s_xor_b32 s11, exec_lo, -1
; %bb.1685:
	s_or_b32 exec_lo, exec_lo, s16
	s_delay_alu instid0(SALU_CYCLE_1)
	s_and_b32 s11, s11, exec_lo
	s_or_saveexec_b32 s15, s15
	v_mov_b32_e32 v6, s14
	s_xor_b32 exec_lo, exec_lo, s15
	s_cbranch_execnz .LBB66_1703
.LBB66_1686:
	s_or_b32 exec_lo, exec_lo, s15
	s_and_saveexec_b32 s14, s11
	s_cbranch_execz .LBB66_1688
.LBB66_1687:
	v_and_b32_e32 v5, 0xffff, v2
	v_lshlrev_b32_e32 v2, 24, v2
	s_delay_alu instid0(VALU_DEP_2) | instskip(NEXT) | instid1(VALU_DEP_2)
	v_and_b32_e32 v6, 7, v5
	v_and_b32_e32 v2, 0x80000000, v2
	s_delay_alu instid0(VALU_DEP_2) | instskip(NEXT) | instid1(VALU_DEP_1)
	v_clz_i32_u32_e32 v8, v6
	v_min_u32_e32 v8, 32, v8
	s_delay_alu instid0(VALU_DEP_1) | instskip(SKIP_1) | instid1(VALU_DEP_2)
	v_subrev_nc_u32_e32 v11, 28, v8
	v_sub_nc_u32_e32 v8, 29, v8
	v_lshlrev_b32_e32 v11, v11, v5
	v_bfe_u32 v5, v5, 3, 4
	s_delay_alu instid0(VALU_DEP_2) | instskip(NEXT) | instid1(VALU_DEP_2)
	v_and_b32_e32 v11, 7, v11
	v_cmp_eq_u32_e32 vcc_lo, 0, v5
	s_delay_alu instid0(VALU_DEP_2) | instskip(NEXT) | instid1(VALU_DEP_1)
	v_dual_cndmask_b32 v5, v5, v8 :: v_dual_cndmask_b32 v6, v6, v11
	v_lshl_add_u32 v5, v5, 23, 0x3b800000
	s_delay_alu instid0(VALU_DEP_2) | instskip(NEXT) | instid1(VALU_DEP_1)
	v_lshlrev_b32_e32 v6, 20, v6
	v_or3_b32 v6, v2, v5, v6
.LBB66_1688:
	s_or_b32 exec_lo, exec_lo, s14
.LBB66_1689:
	s_mov_b32 s14, -1
.LBB66_1690:
	s_branch .LBB66_1722
.LBB66_1691:
	v_cmp_lt_i16_e32 vcc_lo, 22, v7
	s_cbranch_vccz .LBB66_1701
; %bb.1692:
	v_cmp_gt_i16_e32 vcc_lo, 24, v7
	s_cbranch_vccnz .LBB66_1704
; %bb.1693:
	v_cmp_lt_i16_e32 vcc_lo, 24, v7
	s_cbranch_vccz .LBB66_1705
; %bb.1694:
	global_load_u8 v2, v[0:1], off
	s_mov_b32 s14, exec_lo
                                        ; implicit-def: $sgpr11
	s_waitcnt vmcnt(0)
	v_cmpx_lt_i16_e32 0x7f, v2
	s_xor_b32 s14, exec_lo, s14
	s_cbranch_execz .LBB66_1716
; %bb.1695:
	s_mov_b32 s1, -1
	s_mov_b32 s15, exec_lo
                                        ; implicit-def: $sgpr11
	v_cmpx_eq_u16_e32 0x80, v2
; %bb.1696:
	s_mov_b32 s11, 0x7f800001
	s_xor_b32 s1, exec_lo, -1
; %bb.1697:
	s_or_b32 exec_lo, exec_lo, s15
	s_delay_alu instid0(SALU_CYCLE_1)
	s_and_b32 s1, s1, exec_lo
	s_or_saveexec_b32 s14, s14
	v_mov_b32_e32 v6, s11
	s_xor_b32 exec_lo, exec_lo, s14
	s_cbranch_execnz .LBB66_1717
.LBB66_1698:
	s_or_b32 exec_lo, exec_lo, s14
	s_and_saveexec_b32 s11, s1
	s_cbranch_execz .LBB66_1700
.LBB66_1699:
	v_and_b32_e32 v5, 0xffff, v2
	v_lshlrev_b32_e32 v2, 24, v2
	s_delay_alu instid0(VALU_DEP_2) | instskip(NEXT) | instid1(VALU_DEP_2)
	v_and_b32_e32 v6, 3, v5
	v_and_b32_e32 v2, 0x80000000, v2
	s_delay_alu instid0(VALU_DEP_2) | instskip(NEXT) | instid1(VALU_DEP_1)
	v_clz_i32_u32_e32 v8, v6
	v_min_u32_e32 v8, 32, v8
	s_delay_alu instid0(VALU_DEP_1) | instskip(SKIP_1) | instid1(VALU_DEP_2)
	v_subrev_nc_u32_e32 v11, 29, v8
	v_sub_nc_u32_e32 v8, 30, v8
	v_lshlrev_b32_e32 v11, v11, v5
	v_bfe_u32 v5, v5, 2, 5
	s_delay_alu instid0(VALU_DEP_2) | instskip(NEXT) | instid1(VALU_DEP_2)
	v_and_b32_e32 v11, 3, v11
	v_cmp_eq_u32_e32 vcc_lo, 0, v5
	s_delay_alu instid0(VALU_DEP_2) | instskip(NEXT) | instid1(VALU_DEP_1)
	v_dual_cndmask_b32 v5, v5, v8 :: v_dual_cndmask_b32 v6, v6, v11
	v_lshl_add_u32 v5, v5, 23, 0x37800000
	s_delay_alu instid0(VALU_DEP_2) | instskip(NEXT) | instid1(VALU_DEP_1)
	v_lshlrev_b32_e32 v6, 21, v6
	v_or3_b32 v6, v2, v5, v6
.LBB66_1700:
	s_or_b32 exec_lo, exec_lo, s11
	s_mov_b32 s1, 0
	s_branch .LBB66_1706
.LBB66_1701:
                                        ; implicit-def: $vgpr6
	s_mov_b32 s1, 0
	s_branch .LBB66_1712
.LBB66_1702:
	s_or_saveexec_b32 s15, s15
	v_mov_b32_e32 v6, s14
	s_xor_b32 exec_lo, exec_lo, s15
	s_cbranch_execz .LBB66_1686
.LBB66_1703:
	v_cmp_ne_u16_e32 vcc_lo, 0, v2
	v_mov_b32_e32 v6, 0
	s_and_not1_b32 s11, s11, exec_lo
	s_and_b32 s14, vcc_lo, exec_lo
	s_delay_alu instid0(SALU_CYCLE_1)
	s_or_b32 s11, s11, s14
	s_or_b32 exec_lo, exec_lo, s15
	s_and_saveexec_b32 s14, s11
	s_cbranch_execnz .LBB66_1687
	s_branch .LBB66_1688
.LBB66_1704:
	s_mov_b32 s1, -1
                                        ; implicit-def: $vgpr6
	s_branch .LBB66_1709
.LBB66_1705:
	s_mov_b32 s1, -1
                                        ; implicit-def: $vgpr6
.LBB66_1706:
	s_delay_alu instid0(SALU_CYCLE_1)
	s_and_b32 vcc_lo, exec_lo, s1
	s_cbranch_vccz .LBB66_1708
; %bb.1707:
	global_load_u8 v2, v[0:1], off
	s_waitcnt vmcnt(0)
	v_lshlrev_b32_e32 v2, 24, v2
	s_delay_alu instid0(VALU_DEP_1) | instskip(NEXT) | instid1(VALU_DEP_1)
	v_and_b32_e32 v5, 0x7f000000, v2
	v_clz_i32_u32_e32 v6, v5
	v_cmp_ne_u32_e32 vcc_lo, 0, v5
	v_add_nc_u32_e32 v11, 0x1000000, v5
	s_delay_alu instid0(VALU_DEP_3) | instskip(NEXT) | instid1(VALU_DEP_1)
	v_min_u32_e32 v6, 32, v6
	v_sub_nc_u32_e64 v6, v6, 4 clamp
	s_delay_alu instid0(VALU_DEP_1) | instskip(SKIP_1) | instid1(VALU_DEP_2)
	v_lshlrev_b32_e32 v8, v6, v5
	v_lshlrev_b32_e32 v6, 23, v6
	v_lshrrev_b32_e32 v8, 4, v8
	s_delay_alu instid0(VALU_DEP_1) | instskip(SKIP_1) | instid1(VALU_DEP_2)
	v_sub_nc_u32_e32 v6, v8, v6
	v_ashrrev_i32_e32 v8, 8, v11
	v_add_nc_u32_e32 v6, 0x3c000000, v6
	s_delay_alu instid0(VALU_DEP_1) | instskip(NEXT) | instid1(VALU_DEP_1)
	v_and_or_b32 v6, 0x7f800000, v8, v6
	v_cndmask_b32_e32 v5, 0, v6, vcc_lo
	s_delay_alu instid0(VALU_DEP_1)
	v_and_or_b32 v6, 0x80000000, v2, v5
.LBB66_1708:
	s_mov_b32 s1, 0
.LBB66_1709:
	s_delay_alu instid0(SALU_CYCLE_1)
	s_and_not1_b32 vcc_lo, exec_lo, s1
	s_cbranch_vccnz .LBB66_1711
; %bb.1710:
	global_load_u8 v2, v[0:1], off
	s_waitcnt vmcnt(0)
	v_lshlrev_b32_e32 v5, 25, v2
	v_lshlrev_b16 v2, 8, v2
	s_delay_alu instid0(VALU_DEP_1) | instskip(SKIP_1) | instid1(VALU_DEP_2)
	v_and_or_b32 v8, 0x7f00, v2, 0.5
	v_bfe_i32 v2, v2, 0, 16
	v_add_f32_e32 v8, -0.5, v8
	v_lshrrev_b32_e32 v6, 4, v5
	v_cmp_gt_u32_e32 vcc_lo, 0x8000000, v5
	s_delay_alu instid0(VALU_DEP_2) | instskip(NEXT) | instid1(VALU_DEP_1)
	v_or_b32_e32 v6, 0x70000000, v6
	v_mul_f32_e32 v6, 0x7800000, v6
	s_delay_alu instid0(VALU_DEP_1) | instskip(NEXT) | instid1(VALU_DEP_1)
	v_cndmask_b32_e32 v5, v6, v8, vcc_lo
	v_and_or_b32 v6, 0x80000000, v2, v5
.LBB66_1711:
	s_mov_b32 s14, -1
	s_mov_b32 s1, 0
	s_cbranch_execnz .LBB66_1722
.LBB66_1712:
	v_cmp_lt_i16_e32 vcc_lo, 14, v7
	s_cbranch_vccz .LBB66_1715
; %bb.1713:
	v_cmp_eq_u16_e32 vcc_lo, 15, v7
	s_cbranch_vccz .LBB66_1718
; %bb.1714:
	global_load_u16 v2, v[0:1], off
	s_mov_b32 s0, 0
	s_mov_b32 s14, -1
	s_waitcnt vmcnt(0)
	v_lshlrev_b32_e32 v6, 16, v2
	s_branch .LBB66_1720
.LBB66_1715:
	s_mov_b32 s1, -1
	s_branch .LBB66_1719
.LBB66_1716:
	s_or_saveexec_b32 s14, s14
	v_mov_b32_e32 v6, s11
	s_xor_b32 exec_lo, exec_lo, s14
	s_cbranch_execz .LBB66_1698
.LBB66_1717:
	v_cmp_ne_u16_e32 vcc_lo, 0, v2
	v_mov_b32_e32 v6, 0
	s_and_not1_b32 s1, s1, exec_lo
	s_and_b32 s11, vcc_lo, exec_lo
	s_delay_alu instid0(SALU_CYCLE_1)
	s_or_b32 s1, s1, s11
	s_or_b32 exec_lo, exec_lo, s14
	s_and_saveexec_b32 s11, s1
	s_cbranch_execnz .LBB66_1699
	s_branch .LBB66_1700
.LBB66_1718:
	s_mov_b32 s0, -1
.LBB66_1719:
                                        ; implicit-def: $vgpr6
.LBB66_1720:
	s_and_b32 vcc_lo, exec_lo, s1
	s_mov_b32 s1, 0
	s_cbranch_vccz .LBB66_1722
; %bb.1721:
	v_cmp_ne_u16_e64 s0, 11, v7
	s_mov_b32 s1, -1
                                        ; implicit-def: $vgpr6
.LBB66_1722:
	s_delay_alu instid0(VALU_DEP_1)
	s_and_b32 vcc_lo, exec_lo, s0
	s_mov_b32 s11, s13
	s_cbranch_vccnz .LBB66_1746
; %bb.1723:
	s_and_not1_b32 vcc_lo, exec_lo, s1
	s_cbranch_vccnz .LBB66_1725
.LBB66_1724:
	global_load_u8 v2, v[0:1], off
	s_mov_b32 s14, -1
	s_waitcnt vmcnt(0)
	v_cmp_ne_u16_e32 vcc_lo, 0, v2
	v_cndmask_b32_e64 v6, 0, 1.0, vcc_lo
.LBB66_1725:
.LBB66_1726:
	s_and_not1_b32 vcc_lo, exec_lo, s14
	s_cbranch_vccnz .LBB66_2793
.LBB66_1727:
	v_mul_lo_u32 v5, s10, v10
	v_and_b32_e32 v8, 0xff, v4
	s_delay_alu instid0(VALU_DEP_1) | instskip(NEXT) | instid1(VALU_DEP_3)
	v_cmp_gt_i16_e32 vcc_lo, 11, v8
	v_ashrrev_i32_e32 v1, 31, v5
	v_add_co_u32 v0, s0, s2, v5
	s_delay_alu instid0(VALU_DEP_1)
	v_add_co_ci_u32_e64 v1, s0, s3, v1, s0
	s_cbranch_vccnz .LBB66_1734
; %bb.1728:
	v_cmp_lt_i16_e32 vcc_lo, 25, v8
	s_mov_b32 s1, 0
	s_cbranch_vccz .LBB66_1740
; %bb.1729:
	v_cmp_lt_i16_e32 vcc_lo, 28, v8
	s_cbranch_vccz .LBB66_1742
; %bb.1730:
	v_cmp_lt_i16_e32 vcc_lo, 43, v8
	;; [unrolled: 3-line block ×3, first 2 shown]
	s_cbranch_vccz .LBB66_1748
; %bb.1732:
	v_cmp_eq_u16_e32 vcc_lo, 46, v8
	s_mov_b32 s15, 0
	s_cbranch_vccz .LBB66_1792
; %bb.1733:
	global_load_b32 v2, v[0:1], off
	s_mov_b32 s0, 0
	s_mov_b32 s14, -1
	s_waitcnt vmcnt(0)
	v_lshlrev_b32_e32 v2, 16, v2
	s_branch .LBB66_1794
.LBB66_1734:
	s_mov_b32 s14, 0
                                        ; implicit-def: $vgpr2
	s_cbranch_execz .LBB66_1859
; %bb.1735:
	v_cmp_gt_i16_e32 vcc_lo, 5, v8
	s_cbranch_vccnz .LBB66_1741
; %bb.1736:
	v_cmp_gt_i16_e32 vcc_lo, 8, v8
	s_cbranch_vccnz .LBB66_1743
	;; [unrolled: 3-line block ×3, first 2 shown]
; %bb.1738:
	v_cmp_lt_i16_e32 vcc_lo, 9, v8
	s_cbranch_vccz .LBB66_1751
; %bb.1739:
	global_load_b64 v[11:12], v[0:1], off
	s_mov_b32 s0, 0
	s_waitcnt vmcnt(0)
	v_cvt_f32_f64_e32 v2, v[11:12]
	s_branch .LBB66_1752
.LBB66_1740:
	s_mov_b32 s14, 0
	s_mov_b32 s0, 0
                                        ; implicit-def: $vgpr2
	s_cbranch_execnz .LBB66_1823
	s_branch .LBB66_1855
.LBB66_1741:
                                        ; implicit-def: $vgpr2
	s_branch .LBB66_1770
.LBB66_1742:
	s_mov_b32 s15, -1
	s_mov_b32 s14, 0
	s_mov_b32 s0, 0
                                        ; implicit-def: $vgpr2
	s_branch .LBB66_1804
.LBB66_1743:
	s_mov_b32 s0, -1
                                        ; implicit-def: $vgpr2
	s_branch .LBB66_1758
.LBB66_1744:
	s_mov_b32 s15, -1
	s_mov_b32 s14, 0
	s_mov_b32 s0, 0
                                        ; implicit-def: $vgpr2
	s_branch .LBB66_1799
.LBB66_1745:
	s_mov_b32 s0, -1
                                        ; implicit-def: $vgpr2
	s_branch .LBB66_1755
.LBB66_1746:
	s_cbranch_execnz .LBB66_1790
; %bb.1747:
	s_or_b32 s11, s13, exec_lo
                                        ; implicit-def: $vgpr6
	s_cbranch_execz .LBB66_1724
	s_branch .LBB66_1725
.LBB66_1748:
	s_mov_b32 s15, -1
	s_mov_b32 s14, 0
	s_mov_b32 s0, 0
	s_branch .LBB66_1793
.LBB66_1749:
	s_or_saveexec_b32 s17, s17
                                        ; implicit-def: $sgpr18
	s_delay_alu instid0(SALU_CYCLE_1)
	s_xor_b32 exec_lo, exec_lo, s17
	s_cbranch_execz .LBB66_1510
.LBB66_1750:
	v_add_f32_e64 v1, 0x46000000, |v0|
	s_and_not1_b32 s16, s16, exec_lo
	s_mov_b32 s18, 0
	s_delay_alu instid0(VALU_DEP_1) | instskip(NEXT) | instid1(VALU_DEP_1)
	v_and_b32_e32 v1, 0xff, v1
	v_cmp_ne_u32_e32 vcc_lo, 0, v1
	s_and_b32 s19, vcc_lo, exec_lo
	s_delay_alu instid0(SALU_CYCLE_1)
	s_or_b32 s16, s16, s19
	s_or_b32 exec_lo, exec_lo, s17
	v_mov_b32_e32 v5, s18
	s_and_saveexec_b32 s17, s16
	s_cbranch_execnz .LBB66_1511
	s_branch .LBB66_1512
.LBB66_1751:
	s_mov_b32 s0, -1
                                        ; implicit-def: $vgpr2
.LBB66_1752:
	s_delay_alu instid0(SALU_CYCLE_1)
	s_and_not1_b32 vcc_lo, exec_lo, s0
	s_cbranch_vccnz .LBB66_1754
; %bb.1753:
	global_load_b32 v2, v[0:1], off
.LBB66_1754:
	s_mov_b32 s0, 0
.LBB66_1755:
	s_delay_alu instid0(SALU_CYCLE_1)
	s_and_not1_b32 vcc_lo, exec_lo, s0
	s_cbranch_vccnz .LBB66_1757
; %bb.1756:
	global_load_b32 v2, v[0:1], off
	s_waitcnt vmcnt(0)
	v_cvt_f32_f16_e32 v2, v2
.LBB66_1757:
	s_mov_b32 s0, 0
.LBB66_1758:
	s_delay_alu instid0(SALU_CYCLE_1)
	s_and_not1_b32 vcc_lo, exec_lo, s0
	s_cbranch_vccnz .LBB66_1769
; %bb.1759:
	v_cmp_gt_i16_e32 vcc_lo, 6, v8
	s_cbranch_vccnz .LBB66_1762
; %bb.1760:
	v_cmp_lt_i16_e32 vcc_lo, 6, v8
	s_cbranch_vccz .LBB66_1763
; %bb.1761:
	global_load_b64 v[11:12], v[0:1], off
	s_mov_b32 s0, 0
	s_waitcnt vmcnt(0)
	v_cvt_f32_f64_e32 v2, v[11:12]
	s_branch .LBB66_1764
.LBB66_1762:
	s_mov_b32 s0, -1
                                        ; implicit-def: $vgpr2
	s_branch .LBB66_1767
.LBB66_1763:
	s_mov_b32 s0, -1
                                        ; implicit-def: $vgpr2
.LBB66_1764:
	s_delay_alu instid0(SALU_CYCLE_1)
	s_and_not1_b32 vcc_lo, exec_lo, s0
	s_cbranch_vccnz .LBB66_1766
; %bb.1765:
	global_load_b32 v2, v[0:1], off
.LBB66_1766:
	s_mov_b32 s0, 0
.LBB66_1767:
	s_delay_alu instid0(SALU_CYCLE_1)
	s_and_not1_b32 vcc_lo, exec_lo, s0
	s_cbranch_vccnz .LBB66_1769
; %bb.1768:
	global_load_u16 v2, v[0:1], off
	s_waitcnt vmcnt(0)
	v_cvt_f32_f16_e32 v2, v2
.LBB66_1769:
	s_cbranch_execnz .LBB66_1789
.LBB66_1770:
	v_cmp_gt_i16_e32 vcc_lo, 2, v8
	s_cbranch_vccnz .LBB66_1774
; %bb.1771:
	v_cmp_gt_i16_e32 vcc_lo, 3, v8
	s_cbranch_vccnz .LBB66_1775
; %bb.1772:
	v_cmp_lt_i16_e32 vcc_lo, 3, v8
	s_cbranch_vccz .LBB66_1776
; %bb.1773:
	global_load_b64 v[11:12], v[0:1], off
	s_mov_b32 s0, 0
	s_waitcnt vmcnt(0)
	v_xor_b32_e32 v2, v11, v12
	v_cls_i32_e32 v4, v12
	s_delay_alu instid0(VALU_DEP_2) | instskip(NEXT) | instid1(VALU_DEP_2)
	v_ashrrev_i32_e32 v2, 31, v2
	v_add_nc_u32_e32 v4, -1, v4
	s_delay_alu instid0(VALU_DEP_2) | instskip(NEXT) | instid1(VALU_DEP_1)
	v_add_nc_u32_e32 v2, 32, v2
	v_min_u32_e32 v2, v4, v2
	s_delay_alu instid0(VALU_DEP_1) | instskip(SKIP_1) | instid1(VALU_DEP_2)
	v_lshlrev_b64 v[11:12], v2, v[11:12]
	v_sub_nc_u32_e32 v2, 32, v2
	v_min_u32_e32 v4, 1, v11
	s_delay_alu instid0(VALU_DEP_1) | instskip(NEXT) | instid1(VALU_DEP_1)
	v_or_b32_e32 v4, v12, v4
	v_cvt_f32_i32_e32 v4, v4
	s_delay_alu instid0(VALU_DEP_1)
	v_ldexp_f32 v2, v4, v2
	s_branch .LBB66_1777
.LBB66_1774:
	s_mov_b32 s0, -1
                                        ; implicit-def: $vgpr2
	s_branch .LBB66_1783
.LBB66_1775:
	s_mov_b32 s0, -1
                                        ; implicit-def: $vgpr2
	s_branch .LBB66_1780
.LBB66_1776:
	s_mov_b32 s0, -1
                                        ; implicit-def: $vgpr2
.LBB66_1777:
	s_delay_alu instid0(SALU_CYCLE_1)
	s_and_not1_b32 vcc_lo, exec_lo, s0
	s_cbranch_vccnz .LBB66_1779
; %bb.1778:
	global_load_b32 v2, v[0:1], off
	s_waitcnt vmcnt(0)
	v_cvt_f32_i32_e32 v2, v2
.LBB66_1779:
	s_mov_b32 s0, 0
.LBB66_1780:
	s_delay_alu instid0(SALU_CYCLE_1)
	s_and_not1_b32 vcc_lo, exec_lo, s0
	s_cbranch_vccnz .LBB66_1782
; %bb.1781:
	global_load_i16 v2, v[0:1], off
	s_waitcnt vmcnt(0)
	v_cvt_f32_i32_e32 v2, v2
.LBB66_1782:
	s_mov_b32 s0, 0
.LBB66_1783:
	s_delay_alu instid0(SALU_CYCLE_1)
	s_and_not1_b32 vcc_lo, exec_lo, s0
	s_cbranch_vccnz .LBB66_1789
; %bb.1784:
	v_cmp_lt_i16_e32 vcc_lo, 0, v8
	s_mov_b32 s0, 0
	s_cbranch_vccz .LBB66_1786
; %bb.1785:
	global_load_i8 v2, v[0:1], off
	s_waitcnt vmcnt(0)
	v_cvt_f32_i32_e32 v2, v2
	s_branch .LBB66_1787
.LBB66_1786:
	s_mov_b32 s0, -1
                                        ; implicit-def: $vgpr2
.LBB66_1787:
	s_delay_alu instid0(SALU_CYCLE_1)
	s_and_not1_b32 vcc_lo, exec_lo, s0
	s_cbranch_vccnz .LBB66_1789
; %bb.1788:
	global_load_u8 v0, v[0:1], off
	s_waitcnt vmcnt(0)
	v_cvt_f32_ubyte0_e32 v2, v0
.LBB66_1789:
	s_branch .LBB66_1860
.LBB66_1790:
	s_trap 2
	s_sendmsg_rtn_b32 s0, sendmsg(MSG_RTN_GET_DOORBELL)
	s_mov_b32 ttmp2, m0
	s_waitcnt lgkmcnt(0)
	s_and_b32 s0, s0, 0x3ff
	s_delay_alu instid0(SALU_CYCLE_1) | instskip(NEXT) | instid1(SALU_CYCLE_1)
	s_bitset1_b32 s0, 10
	s_mov_b32 m0, s0
	s_sendmsg sendmsg(MSG_INTERRUPT)
	s_mov_b32 m0, ttmp2
.LBB66_1791:                            ; =>This Inner Loop Header: Depth=1
	s_sethalt 5
	s_branch .LBB66_1791
.LBB66_1792:
	s_mov_b32 s0, -1
	s_mov_b32 s14, 0
.LBB66_1793:
                                        ; implicit-def: $vgpr2
.LBB66_1794:
	s_and_b32 vcc_lo, exec_lo, s15
	s_cbranch_vccz .LBB66_1798
; %bb.1795:
	v_cmp_eq_u16_e32 vcc_lo, 44, v8
	s_cbranch_vccz .LBB66_1797
; %bb.1796:
	global_load_u8 v2, v[0:1], off
	s_mov_b32 s0, 0
	s_mov_b32 s14, -1
	s_waitcnt vmcnt(0)
	v_lshlrev_b32_e32 v4, 23, v2
	v_cmp_ne_u32_e32 vcc_lo, 0xff, v2
	s_delay_alu instid0(VALU_DEP_2) | instskip(SKIP_1) | instid1(VALU_DEP_2)
	v_cndmask_b32_e32 v4, 0x7f800001, v4, vcc_lo
	v_cmp_ne_u32_e32 vcc_lo, 0, v2
	v_cndmask_b32_e32 v2, 0x400000, v4, vcc_lo
	s_branch .LBB66_1798
.LBB66_1797:
	s_mov_b32 s0, -1
                                        ; implicit-def: $vgpr2
.LBB66_1798:
	s_mov_b32 s15, 0
.LBB66_1799:
	s_delay_alu instid0(SALU_CYCLE_1)
	s_and_b32 vcc_lo, exec_lo, s15
	s_cbranch_vccz .LBB66_1803
; %bb.1800:
	v_cmp_eq_u16_e32 vcc_lo, 29, v8
	s_cbranch_vccz .LBB66_1802
; %bb.1801:
	global_load_b64 v[11:12], v[0:1], off
	s_mov_b32 s0, 0
	s_mov_b32 s14, -1
	s_mov_b32 s15, 0
	s_waitcnt vmcnt(0)
	v_clz_i32_u32_e32 v2, v12
	s_delay_alu instid0(VALU_DEP_1) | instskip(NEXT) | instid1(VALU_DEP_1)
	v_min_u32_e32 v2, 32, v2
	v_lshlrev_b64 v[11:12], v2, v[11:12]
	v_sub_nc_u32_e32 v2, 32, v2
	s_delay_alu instid0(VALU_DEP_2) | instskip(NEXT) | instid1(VALU_DEP_1)
	v_min_u32_e32 v4, 1, v11
	v_or_b32_e32 v4, v12, v4
	s_delay_alu instid0(VALU_DEP_1) | instskip(NEXT) | instid1(VALU_DEP_1)
	v_cvt_f32_u32_e32 v4, v4
	v_ldexp_f32 v2, v4, v2
	s_branch .LBB66_1804
.LBB66_1802:
	s_mov_b32 s0, -1
                                        ; implicit-def: $vgpr2
.LBB66_1803:
	s_mov_b32 s15, 0
.LBB66_1804:
	s_delay_alu instid0(SALU_CYCLE_1)
	s_and_b32 vcc_lo, exec_lo, s15
	s_cbranch_vccz .LBB66_1822
; %bb.1805:
	v_cmp_gt_i16_e32 vcc_lo, 27, v8
	s_cbranch_vccnz .LBB66_1808
; %bb.1806:
	v_cmp_lt_i16_e32 vcc_lo, 27, v8
	s_cbranch_vccz .LBB66_1809
; %bb.1807:
	global_load_b32 v2, v[0:1], off
	s_mov_b32 s14, 0
	s_waitcnt vmcnt(0)
	v_cvt_f32_u32_e32 v2, v2
	s_branch .LBB66_1810
.LBB66_1808:
	s_mov_b32 s14, -1
                                        ; implicit-def: $vgpr2
	s_branch .LBB66_1813
.LBB66_1809:
	s_mov_b32 s14, -1
                                        ; implicit-def: $vgpr2
.LBB66_1810:
	s_delay_alu instid0(SALU_CYCLE_1)
	s_and_not1_b32 vcc_lo, exec_lo, s14
	s_cbranch_vccnz .LBB66_1812
; %bb.1811:
	global_load_u16 v2, v[0:1], off
	s_waitcnt vmcnt(0)
	v_cvt_f32_u32_e32 v2, v2
.LBB66_1812:
	s_mov_b32 s14, 0
.LBB66_1813:
	s_delay_alu instid0(SALU_CYCLE_1)
	s_and_not1_b32 vcc_lo, exec_lo, s14
	s_cbranch_vccnz .LBB66_1821
; %bb.1814:
	global_load_u8 v4, v[0:1], off
	s_mov_b32 s14, 0
	s_mov_b32 s16, exec_lo
                                        ; implicit-def: $sgpr15
	s_waitcnt vmcnt(0)
	v_cmpx_lt_i16_e32 0x7f, v4
	s_xor_b32 s16, exec_lo, s16
	s_cbranch_execz .LBB66_1834
; %bb.1815:
	s_mov_b32 s14, -1
	s_mov_b32 s17, exec_lo
                                        ; implicit-def: $sgpr15
	v_cmpx_eq_u16_e32 0x80, v4
; %bb.1816:
	s_mov_b32 s15, 0x7f800001
	s_xor_b32 s14, exec_lo, -1
; %bb.1817:
	s_or_b32 exec_lo, exec_lo, s17
	s_delay_alu instid0(SALU_CYCLE_1)
	s_and_b32 s14, s14, exec_lo
	s_or_saveexec_b32 s16, s16
	v_mov_b32_e32 v2, s15
	s_xor_b32 exec_lo, exec_lo, s16
	s_cbranch_execnz .LBB66_1835
.LBB66_1818:
	s_or_b32 exec_lo, exec_lo, s16
	s_and_saveexec_b32 s15, s14
	s_cbranch_execz .LBB66_1820
.LBB66_1819:
	v_and_b32_e32 v2, 0xffff, v4
	v_lshlrev_b32_e32 v4, 24, v4
	s_delay_alu instid0(VALU_DEP_2) | instskip(NEXT) | instid1(VALU_DEP_2)
	v_and_b32_e32 v11, 7, v2
	v_and_b32_e32 v4, 0x80000000, v4
	s_delay_alu instid0(VALU_DEP_2) | instskip(NEXT) | instid1(VALU_DEP_1)
	v_clz_i32_u32_e32 v12, v11
	v_min_u32_e32 v12, 32, v12
	s_delay_alu instid0(VALU_DEP_1) | instskip(SKIP_1) | instid1(VALU_DEP_2)
	v_subrev_nc_u32_e32 v13, 28, v12
	v_sub_nc_u32_e32 v12, 29, v12
	v_lshlrev_b32_e32 v13, v13, v2
	v_bfe_u32 v2, v2, 3, 4
	s_delay_alu instid0(VALU_DEP_2) | instskip(NEXT) | instid1(VALU_DEP_2)
	v_and_b32_e32 v13, 7, v13
	v_cmp_eq_u32_e32 vcc_lo, 0, v2
	s_delay_alu instid0(VALU_DEP_2) | instskip(NEXT) | instid1(VALU_DEP_1)
	v_dual_cndmask_b32 v2, v2, v12 :: v_dual_cndmask_b32 v11, v11, v13
	v_lshl_add_u32 v2, v2, 23, 0x3b800000
	s_delay_alu instid0(VALU_DEP_2) | instskip(NEXT) | instid1(VALU_DEP_1)
	v_lshlrev_b32_e32 v11, 20, v11
	v_or3_b32 v2, v4, v2, v11
.LBB66_1820:
	s_or_b32 exec_lo, exec_lo, s15
.LBB66_1821:
	s_mov_b32 s14, -1
.LBB66_1822:
	s_branch .LBB66_1855
.LBB66_1823:
	v_cmp_lt_i16_e32 vcc_lo, 22, v8
	s_cbranch_vccz .LBB66_1833
; %bb.1824:
	v_cmp_gt_i16_e32 vcc_lo, 24, v8
	s_cbranch_vccnz .LBB66_1836
; %bb.1825:
	v_cmp_lt_i16_e32 vcc_lo, 24, v8
	s_cbranch_vccz .LBB66_1837
; %bb.1826:
	global_load_u8 v4, v[0:1], off
	s_mov_b32 s15, exec_lo
                                        ; implicit-def: $sgpr14
	s_waitcnt vmcnt(0)
	v_cmpx_lt_i16_e32 0x7f, v4
	s_xor_b32 s15, exec_lo, s15
	s_cbranch_execz .LBB66_1849
; %bb.1827:
	s_mov_b32 s1, -1
	s_mov_b32 s16, exec_lo
                                        ; implicit-def: $sgpr14
	v_cmpx_eq_u16_e32 0x80, v4
; %bb.1828:
	s_mov_b32 s14, 0x7f800001
	s_xor_b32 s1, exec_lo, -1
; %bb.1829:
	s_or_b32 exec_lo, exec_lo, s16
	s_delay_alu instid0(SALU_CYCLE_1)
	s_and_b32 s1, s1, exec_lo
	s_or_saveexec_b32 s15, s15
	v_mov_b32_e32 v2, s14
	s_xor_b32 exec_lo, exec_lo, s15
	s_cbranch_execnz .LBB66_1850
.LBB66_1830:
	s_or_b32 exec_lo, exec_lo, s15
	s_and_saveexec_b32 s14, s1
	s_cbranch_execz .LBB66_1832
.LBB66_1831:
	v_and_b32_e32 v2, 0xffff, v4
	v_lshlrev_b32_e32 v4, 24, v4
	s_delay_alu instid0(VALU_DEP_2) | instskip(NEXT) | instid1(VALU_DEP_2)
	v_and_b32_e32 v11, 3, v2
	v_and_b32_e32 v4, 0x80000000, v4
	s_delay_alu instid0(VALU_DEP_2) | instskip(NEXT) | instid1(VALU_DEP_1)
	v_clz_i32_u32_e32 v12, v11
	v_min_u32_e32 v12, 32, v12
	s_delay_alu instid0(VALU_DEP_1) | instskip(SKIP_1) | instid1(VALU_DEP_2)
	v_subrev_nc_u32_e32 v13, 29, v12
	v_sub_nc_u32_e32 v12, 30, v12
	v_lshlrev_b32_e32 v13, v13, v2
	v_bfe_u32 v2, v2, 2, 5
	s_delay_alu instid0(VALU_DEP_2) | instskip(NEXT) | instid1(VALU_DEP_2)
	v_and_b32_e32 v13, 3, v13
	v_cmp_eq_u32_e32 vcc_lo, 0, v2
	s_delay_alu instid0(VALU_DEP_2) | instskip(NEXT) | instid1(VALU_DEP_1)
	v_dual_cndmask_b32 v2, v2, v12 :: v_dual_cndmask_b32 v11, v11, v13
	v_lshl_add_u32 v2, v2, 23, 0x37800000
	s_delay_alu instid0(VALU_DEP_2) | instskip(NEXT) | instid1(VALU_DEP_1)
	v_lshlrev_b32_e32 v11, 21, v11
	v_or3_b32 v2, v4, v2, v11
.LBB66_1832:
	s_or_b32 exec_lo, exec_lo, s14
	s_mov_b32 s1, 0
	s_branch .LBB66_1838
.LBB66_1833:
	s_mov_b32 s1, -1
                                        ; implicit-def: $vgpr2
	s_branch .LBB66_1844
.LBB66_1834:
	s_or_saveexec_b32 s16, s16
	v_mov_b32_e32 v2, s15
	s_xor_b32 exec_lo, exec_lo, s16
	s_cbranch_execz .LBB66_1818
.LBB66_1835:
	v_cmp_ne_u16_e32 vcc_lo, 0, v4
	v_mov_b32_e32 v2, 0
	s_and_not1_b32 s14, s14, exec_lo
	s_and_b32 s15, vcc_lo, exec_lo
	s_delay_alu instid0(SALU_CYCLE_1)
	s_or_b32 s14, s14, s15
	s_or_b32 exec_lo, exec_lo, s16
	s_and_saveexec_b32 s15, s14
	s_cbranch_execnz .LBB66_1819
	s_branch .LBB66_1820
.LBB66_1836:
	s_mov_b32 s1, -1
                                        ; implicit-def: $vgpr2
	s_branch .LBB66_1841
.LBB66_1837:
	s_mov_b32 s1, -1
                                        ; implicit-def: $vgpr2
.LBB66_1838:
	s_delay_alu instid0(SALU_CYCLE_1)
	s_and_b32 vcc_lo, exec_lo, s1
	s_cbranch_vccz .LBB66_1840
; %bb.1839:
	global_load_u8 v2, v[0:1], off
	s_waitcnt vmcnt(0)
	v_lshlrev_b32_e32 v2, 24, v2
	s_delay_alu instid0(VALU_DEP_1) | instskip(NEXT) | instid1(VALU_DEP_1)
	v_and_b32_e32 v4, 0x7f000000, v2
	v_clz_i32_u32_e32 v11, v4
	v_cmp_ne_u32_e32 vcc_lo, 0, v4
	v_add_nc_u32_e32 v13, 0x1000000, v4
	s_delay_alu instid0(VALU_DEP_3) | instskip(NEXT) | instid1(VALU_DEP_1)
	v_min_u32_e32 v11, 32, v11
	v_sub_nc_u32_e64 v11, v11, 4 clamp
	s_delay_alu instid0(VALU_DEP_1) | instskip(SKIP_1) | instid1(VALU_DEP_2)
	v_lshlrev_b32_e32 v12, v11, v4
	v_lshlrev_b32_e32 v11, 23, v11
	v_lshrrev_b32_e32 v12, 4, v12
	s_delay_alu instid0(VALU_DEP_1) | instskip(SKIP_1) | instid1(VALU_DEP_2)
	v_sub_nc_u32_e32 v11, v12, v11
	v_ashrrev_i32_e32 v12, 8, v13
	v_add_nc_u32_e32 v11, 0x3c000000, v11
	s_delay_alu instid0(VALU_DEP_1) | instskip(NEXT) | instid1(VALU_DEP_1)
	v_and_or_b32 v11, 0x7f800000, v12, v11
	v_cndmask_b32_e32 v4, 0, v11, vcc_lo
	s_delay_alu instid0(VALU_DEP_1)
	v_and_or_b32 v2, 0x80000000, v2, v4
.LBB66_1840:
	s_mov_b32 s1, 0
.LBB66_1841:
	s_delay_alu instid0(SALU_CYCLE_1)
	s_and_not1_b32 vcc_lo, exec_lo, s1
	s_cbranch_vccnz .LBB66_1843
; %bb.1842:
	global_load_u8 v2, v[0:1], off
	s_waitcnt vmcnt(0)
	v_lshlrev_b32_e32 v4, 25, v2
	v_lshlrev_b16 v2, 8, v2
	s_delay_alu instid0(VALU_DEP_2) | instskip(NEXT) | instid1(VALU_DEP_2)
	v_lshrrev_b32_e32 v11, 4, v4
	v_and_or_b32 v12, 0x7f00, v2, 0.5
	v_bfe_i32 v2, v2, 0, 16
	s_delay_alu instid0(VALU_DEP_3) | instskip(NEXT) | instid1(VALU_DEP_1)
	v_or_b32_e32 v11, 0x70000000, v11
	v_dual_add_f32 v12, -0.5, v12 :: v_dual_mul_f32 v11, 0x7800000, v11
	v_cmp_gt_u32_e32 vcc_lo, 0x8000000, v4
	s_delay_alu instid0(VALU_DEP_2) | instskip(NEXT) | instid1(VALU_DEP_1)
	v_cndmask_b32_e32 v4, v11, v12, vcc_lo
	v_and_or_b32 v2, 0x80000000, v2, v4
.LBB66_1843:
	s_mov_b32 s1, 0
	s_mov_b32 s14, -1
.LBB66_1844:
	s_and_not1_b32 vcc_lo, exec_lo, s1
	s_mov_b32 s1, 0
	s_cbranch_vccnz .LBB66_1855
; %bb.1845:
	v_cmp_lt_i16_e32 vcc_lo, 14, v8
	s_cbranch_vccz .LBB66_1848
; %bb.1846:
	v_cmp_eq_u16_e32 vcc_lo, 15, v8
	s_cbranch_vccz .LBB66_1851
; %bb.1847:
	global_load_u16 v2, v[0:1], off
	s_mov_b32 s0, 0
	s_mov_b32 s14, -1
	s_waitcnt vmcnt(0)
	v_lshlrev_b32_e32 v2, 16, v2
	s_branch .LBB66_1853
.LBB66_1848:
	s_mov_b32 s1, -1
	s_branch .LBB66_1852
.LBB66_1849:
	s_or_saveexec_b32 s15, s15
	v_mov_b32_e32 v2, s14
	s_xor_b32 exec_lo, exec_lo, s15
	s_cbranch_execz .LBB66_1830
.LBB66_1850:
	v_cmp_ne_u16_e32 vcc_lo, 0, v4
	v_mov_b32_e32 v2, 0
	s_and_not1_b32 s1, s1, exec_lo
	s_and_b32 s14, vcc_lo, exec_lo
	s_delay_alu instid0(SALU_CYCLE_1)
	s_or_b32 s1, s1, s14
	s_or_b32 exec_lo, exec_lo, s15
	s_and_saveexec_b32 s14, s1
	s_cbranch_execnz .LBB66_1831
	s_branch .LBB66_1832
.LBB66_1851:
	s_mov_b32 s0, -1
.LBB66_1852:
                                        ; implicit-def: $vgpr2
.LBB66_1853:
	s_and_b32 vcc_lo, exec_lo, s1
	s_mov_b32 s1, 0
	s_cbranch_vccz .LBB66_1855
; %bb.1854:
	v_cmp_ne_u16_e64 s0, 11, v8
	s_mov_b32 s1, -1
                                        ; implicit-def: $vgpr2
.LBB66_1855:
	s_delay_alu instid0(VALU_DEP_1)
	s_and_b32 vcc_lo, exec_lo, s0
	s_cbranch_vccnz .LBB66_1891
; %bb.1856:
	s_and_not1_b32 vcc_lo, exec_lo, s1
	s_cbranch_vccnz .LBB66_1858
.LBB66_1857:
	global_load_u8 v2, v[0:1], off
	s_mov_b32 s14, -1
	s_waitcnt vmcnt(0)
	v_cmp_ne_u16_e32 vcc_lo, 0, v2
	v_cndmask_b32_e64 v2, 0, 1.0, vcc_lo
.LBB66_1858:
.LBB66_1859:
	s_and_not1_b32 vcc_lo, exec_lo, s14
	s_cbranch_vccnz .LBB66_2793
.LBB66_1860:
	s_waitcnt vmcnt(0)
	s_delay_alu instid0(VALU_DEP_1) | instskip(SKIP_1) | instid1(VALU_DEP_1)
	v_trunc_f32_e32 v0, v2
	s_mov_b32 s14, exec_lo
	v_mul_f32_e64 v1, 0x2f800000, |v0|
	s_delay_alu instid0(VALU_DEP_1) | instskip(NEXT) | instid1(VALU_DEP_1)
	v_floor_f32_e32 v1, v1
	v_fma_f32 v4, 0xcf800000, v1, |v0|
	v_ashrrev_i32_e32 v0, 31, v0
	v_cvt_u32_f32_e32 v1, v1
	s_delay_alu instid0(VALU_DEP_3) | instskip(NEXT) | instid1(VALU_DEP_2)
	v_cvt_u32_f32_e32 v4, v4
	v_xor_b32_e32 v1, v1, v0
	s_delay_alu instid0(VALU_DEP_2) | instskip(NEXT) | instid1(VALU_DEP_1)
	v_xor_b32_e32 v4, v4, v0
	v_sub_co_u32 v4, vcc_lo, v4, v0
	s_delay_alu instid0(VALU_DEP_3) | instskip(SKIP_1) | instid1(VALU_DEP_2)
	v_sub_co_ci_u32_e32 v0, vcc_lo, v1, v0, vcc_lo
	v_cmp_class_f32_e64 vcc_lo, v2, 0x1f8
	v_cndmask_b32_e32 v2, -1, v0, vcc_lo
	s_delay_alu instid0(VALU_DEP_4) | instskip(NEXT) | instid1(VALU_DEP_1)
	v_dual_cndmask_b32 v1, -1, v4 :: v_dual_mov_b32 v0, 0
	v_cmpx_lt_i64_e32 -1, v[1:2]
	s_cbranch_execz .LBB66_1872
; %bb.1861:
	v_mov_b32_e32 v0, 1.0
	s_mov_b32 s15, exec_lo
	v_cmpx_lt_i64_e32 0, v[1:2]
	s_cbranch_execz .LBB66_1871
; %bb.1862:
                                        ; implicit-def: $vgpr0
	s_mov_b32 s0, exec_lo
	v_cmpx_ne_u64_e32 1, v[1:2]
	s_xor_b32 s16, exec_lo, s0
	s_cbranch_execz .LBB66_1868
; %bb.1863:
	v_mov_b32_e32 v0, 0x7fc00000
	s_mov_b32 s17, exec_lo
	v_cmpx_gt_u64_e32 0x81, v[1:2]
	s_cbranch_execz .LBB66_1867
; %bb.1864:
	v_add_f32_e32 v4, v6, v6
	v_lshlrev_b64 v[1:2], 1, v[1:2]
	v_mov_b32_e32 v6, 1.0
	s_mov_b64 s[0:1], 2
	s_mov_b32 s18, 0
	v_mov_b32_e32 v0, v4
	.p2align	6
.LBB66_1865:                            ; =>This Inner Loop Header: Depth=1
	s_clz_i32_u32 s19, s1
	s_delay_alu instid0(SALU_CYCLE_1) | instskip(NEXT) | instid1(SALU_CYCLE_1)
	s_min_u32 s19, s19, 32
	s_lshl_b64 s[20:21], s[0:1], s19
	s_sub_i32 s19, 32, s19
	s_min_u32 s20, s20, 1
	s_delay_alu instid0(SALU_CYCLE_1) | instskip(SKIP_3) | instid1(SALU_CYCLE_1)
	s_or_b32 s20, s21, s20
	s_add_u32 s0, s0, 2
	v_cvt_f32_u32_e32 v11, s20
	s_addc_u32 s1, s1, 0
	v_cmp_ge_u64_e32 vcc_lo, s[0:1], v[1:2]
	s_delay_alu instid0(VALU_DEP_2) | instskip(SKIP_1) | instid1(VALU_DEP_1)
	v_ldexp_f32 v11, v11, s19
	s_or_b32 s18, vcc_lo, s18
	v_dual_mul_f32 v11, v6, v11 :: v_dual_mov_b32 v6, v0
	s_delay_alu instid0(VALU_DEP_1)
	v_fma_f32 v0, v4, v0, -v11
	s_and_not1_b32 exec_lo, exec_lo, s18
	s_cbranch_execnz .LBB66_1865
; %bb.1866:
	s_or_b32 exec_lo, exec_lo, s18
.LBB66_1867:
	s_delay_alu instid0(SALU_CYCLE_1)
	s_or_b32 exec_lo, exec_lo, s17
                                        ; implicit-def: $vgpr6
.LBB66_1868:
	s_and_not1_saveexec_b32 s0, s16
; %bb.1869:
	v_add_f32_e32 v0, v6, v6
; %bb.1870:
	s_or_b32 exec_lo, exec_lo, s0
.LBB66_1871:
	s_delay_alu instid0(SALU_CYCLE_1)
	s_or_b32 exec_lo, exec_lo, s15
.LBB66_1872:
	s_delay_alu instid0(SALU_CYCLE_1) | instskip(SKIP_3) | instid1(VALU_DEP_1)
	s_or_b32 exec_lo, exec_lo, s14
	s_lshl_b32 s9, s9, 7
	v_cmp_gt_i16_e32 vcc_lo, 11, v7
	v_add_nc_u32_e32 v6, s9, v3
	v_ashrrev_i32_e32 v2, 31, v6
	v_add_co_u32 v1, s0, s6, v6
	s_delay_alu instid0(VALU_DEP_1)
	v_add_co_ci_u32_e64 v2, s0, s7, v2, s0
	s_cbranch_vccnz .LBB66_1879
; %bb.1873:
	v_cmp_lt_i16_e32 vcc_lo, 25, v7
	s_mov_b32 s1, 0
	s_cbranch_vccz .LBB66_1885
; %bb.1874:
	v_cmp_lt_i16_e32 vcc_lo, 28, v7
	s_cbranch_vccz .LBB66_1887
; %bb.1875:
	v_cmp_lt_i16_e32 vcc_lo, 43, v7
	;; [unrolled: 3-line block ×3, first 2 shown]
	s_cbranch_vccz .LBB66_1895
; %bb.1877:
	v_cmp_eq_u16_e32 vcc_lo, 46, v7
	s_mov_b32 s15, 0
	s_cbranch_vccz .LBB66_1938
; %bb.1878:
	global_load_b32 v3, v[1:2], off
	s_mov_b32 s0, 0
	s_mov_b32 s14, -1
	s_waitcnt vmcnt(0)
	v_lshlrev_b32_e32 v11, 16, v3
	s_branch .LBB66_1940
.LBB66_1879:
	s_mov_b32 s14, 0
                                        ; implicit-def: $vgpr11
	s_cbranch_execz .LBB66_2006
; %bb.1880:
	v_cmp_gt_i16_e32 vcc_lo, 5, v7
	s_cbranch_vccnz .LBB66_1886
; %bb.1881:
	v_cmp_gt_i16_e32 vcc_lo, 8, v7
	s_cbranch_vccnz .LBB66_1888
	;; [unrolled: 3-line block ×3, first 2 shown]
; %bb.1883:
	v_cmp_lt_i16_e32 vcc_lo, 9, v7
	s_cbranch_vccz .LBB66_1896
; %bb.1884:
	global_load_b64 v[3:4], v[1:2], off
	s_mov_b32 s0, 0
	s_waitcnt vmcnt(0)
	v_cvt_f32_f64_e32 v11, v[3:4]
	s_branch .LBB66_1897
.LBB66_1885:
	s_mov_b32 s15, -1
	s_mov_b32 s14, 0
	s_mov_b32 s0, 0
                                        ; implicit-def: $vgpr11
	s_branch .LBB66_1969
.LBB66_1886:
	s_mov_b32 s0, -1
                                        ; implicit-def: $vgpr11
	s_branch .LBB66_1915
.LBB66_1887:
	s_mov_b32 s15, -1
	s_mov_b32 s14, 0
	s_mov_b32 s0, 0
                                        ; implicit-def: $vgpr11
	s_branch .LBB66_1950
.LBB66_1888:
	s_mov_b32 s0, -1
                                        ; implicit-def: $vgpr11
	s_branch .LBB66_1903
.LBB66_1889:
	s_mov_b32 s15, -1
	s_mov_b32 s14, 0
	s_mov_b32 s0, 0
                                        ; implicit-def: $vgpr11
	s_branch .LBB66_1945
.LBB66_1890:
	s_mov_b32 s0, -1
                                        ; implicit-def: $vgpr11
	s_branch .LBB66_1900
.LBB66_1891:
	s_cbranch_execnz .LBB66_1936
; %bb.1892:
	s_or_b32 s11, s11, exec_lo
                                        ; implicit-def: $vgpr2
	s_cbranch_execz .LBB66_1857
	s_branch .LBB66_1858
.LBB66_1893:
	s_or_saveexec_b32 s18, s18
                                        ; implicit-def: $sgpr19
	s_delay_alu instid0(SALU_CYCLE_1)
	s_xor_b32 exec_lo, exec_lo, s18
	s_cbranch_execz .LBB66_1522
.LBB66_1894:
	v_add_f32_e64 v1, 0x42800000, |v0|
	s_and_not1_b32 s17, s17, exec_lo
	s_mov_b32 s19, 0
	s_delay_alu instid0(VALU_DEP_1) | instskip(NEXT) | instid1(VALU_DEP_1)
	v_and_b32_e32 v1, 0xff, v1
	v_cmp_ne_u32_e32 vcc_lo, 0, v1
	s_and_b32 s20, vcc_lo, exec_lo
	s_delay_alu instid0(SALU_CYCLE_1)
	s_or_b32 s17, s17, s20
	s_or_b32 exec_lo, exec_lo, s18
	v_mov_b32_e32 v5, s19
	s_and_saveexec_b32 s18, s17
	s_cbranch_execnz .LBB66_1523
	s_branch .LBB66_1524
.LBB66_1895:
	s_mov_b32 s15, -1
	s_mov_b32 s14, 0
	s_mov_b32 s0, 0
	s_branch .LBB66_1939
.LBB66_1896:
	s_mov_b32 s0, -1
                                        ; implicit-def: $vgpr11
.LBB66_1897:
	s_delay_alu instid0(SALU_CYCLE_1)
	s_and_not1_b32 vcc_lo, exec_lo, s0
	s_cbranch_vccnz .LBB66_1899
; %bb.1898:
	global_load_b32 v11, v[1:2], off
.LBB66_1899:
	s_mov_b32 s0, 0
.LBB66_1900:
	s_delay_alu instid0(SALU_CYCLE_1)
	s_and_not1_b32 vcc_lo, exec_lo, s0
	s_cbranch_vccnz .LBB66_1902
; %bb.1901:
	global_load_b32 v3, v[1:2], off
	s_waitcnt vmcnt(0)
	v_cvt_f32_f16_e32 v11, v3
.LBB66_1902:
	s_mov_b32 s0, 0
.LBB66_1903:
	s_delay_alu instid0(SALU_CYCLE_1)
	s_and_not1_b32 vcc_lo, exec_lo, s0
	s_cbranch_vccnz .LBB66_1914
; %bb.1904:
	v_cmp_gt_i16_e32 vcc_lo, 6, v7
	s_cbranch_vccnz .LBB66_1907
; %bb.1905:
	v_cmp_lt_i16_e32 vcc_lo, 6, v7
	s_cbranch_vccz .LBB66_1908
; %bb.1906:
	global_load_b64 v[3:4], v[1:2], off
	s_mov_b32 s0, 0
	s_waitcnt vmcnt(0)
	v_cvt_f32_f64_e32 v11, v[3:4]
	s_branch .LBB66_1909
.LBB66_1907:
	s_mov_b32 s0, -1
                                        ; implicit-def: $vgpr11
	s_branch .LBB66_1912
.LBB66_1908:
	s_mov_b32 s0, -1
                                        ; implicit-def: $vgpr11
.LBB66_1909:
	s_delay_alu instid0(SALU_CYCLE_1)
	s_and_not1_b32 vcc_lo, exec_lo, s0
	s_cbranch_vccnz .LBB66_1911
; %bb.1910:
	global_load_b32 v11, v[1:2], off
.LBB66_1911:
	s_mov_b32 s0, 0
.LBB66_1912:
	s_delay_alu instid0(SALU_CYCLE_1)
	s_and_not1_b32 vcc_lo, exec_lo, s0
	s_cbranch_vccnz .LBB66_1914
; %bb.1913:
	global_load_u16 v3, v[1:2], off
	s_waitcnt vmcnt(0)
	v_cvt_f32_f16_e32 v11, v3
.LBB66_1914:
	s_mov_b32 s0, 0
.LBB66_1915:
	s_delay_alu instid0(SALU_CYCLE_1)
	s_and_not1_b32 vcc_lo, exec_lo, s0
	s_cbranch_vccnz .LBB66_1935
; %bb.1916:
	v_cmp_gt_i16_e32 vcc_lo, 2, v7
	s_cbranch_vccnz .LBB66_1920
; %bb.1917:
	v_cmp_gt_i16_e32 vcc_lo, 3, v7
	s_cbranch_vccnz .LBB66_1921
; %bb.1918:
	v_cmp_lt_i16_e32 vcc_lo, 3, v7
	s_cbranch_vccz .LBB66_1922
; %bb.1919:
	global_load_b64 v[3:4], v[1:2], off
	s_mov_b32 s0, 0
	s_waitcnt vmcnt(0)
	v_xor_b32_e32 v11, v3, v4
	v_cls_i32_e32 v12, v4
	s_delay_alu instid0(VALU_DEP_2) | instskip(NEXT) | instid1(VALU_DEP_2)
	v_ashrrev_i32_e32 v11, 31, v11
	v_add_nc_u32_e32 v12, -1, v12
	s_delay_alu instid0(VALU_DEP_2) | instskip(NEXT) | instid1(VALU_DEP_1)
	v_add_nc_u32_e32 v11, 32, v11
	v_min_u32_e32 v11, v12, v11
	s_delay_alu instid0(VALU_DEP_1) | instskip(NEXT) | instid1(VALU_DEP_1)
	v_lshlrev_b64 v[3:4], v11, v[3:4]
	v_min_u32_e32 v3, 1, v3
	s_delay_alu instid0(VALU_DEP_1) | instskip(SKIP_1) | instid1(VALU_DEP_2)
	v_or_b32_e32 v3, v4, v3
	v_sub_nc_u32_e32 v4, 32, v11
	v_cvt_f32_i32_e32 v3, v3
	s_delay_alu instid0(VALU_DEP_1)
	v_ldexp_f32 v11, v3, v4
	s_branch .LBB66_1923
.LBB66_1920:
	s_mov_b32 s0, -1
                                        ; implicit-def: $vgpr11
	s_branch .LBB66_1929
.LBB66_1921:
	s_mov_b32 s0, -1
                                        ; implicit-def: $vgpr11
	s_branch .LBB66_1926
.LBB66_1922:
	s_mov_b32 s0, -1
                                        ; implicit-def: $vgpr11
.LBB66_1923:
	s_delay_alu instid0(SALU_CYCLE_1)
	s_and_not1_b32 vcc_lo, exec_lo, s0
	s_cbranch_vccnz .LBB66_1925
; %bb.1924:
	global_load_b32 v3, v[1:2], off
	s_waitcnt vmcnt(0)
	v_cvt_f32_i32_e32 v11, v3
.LBB66_1925:
	s_mov_b32 s0, 0
.LBB66_1926:
	s_delay_alu instid0(SALU_CYCLE_1)
	s_and_not1_b32 vcc_lo, exec_lo, s0
	s_cbranch_vccnz .LBB66_1928
; %bb.1927:
	global_load_i16 v3, v[1:2], off
	s_waitcnt vmcnt(0)
	v_cvt_f32_i32_e32 v11, v3
.LBB66_1928:
	s_mov_b32 s0, 0
.LBB66_1929:
	s_delay_alu instid0(SALU_CYCLE_1)
	s_and_not1_b32 vcc_lo, exec_lo, s0
	s_cbranch_vccnz .LBB66_1935
; %bb.1930:
	v_cmp_lt_i16_e32 vcc_lo, 0, v7
	s_mov_b32 s0, 0
	s_cbranch_vccz .LBB66_1932
; %bb.1931:
	global_load_i8 v3, v[1:2], off
	s_waitcnt vmcnt(0)
	v_cvt_f32_i32_e32 v11, v3
	s_branch .LBB66_1933
.LBB66_1932:
	s_mov_b32 s0, -1
                                        ; implicit-def: $vgpr11
.LBB66_1933:
	s_delay_alu instid0(SALU_CYCLE_1)
	s_and_not1_b32 vcc_lo, exec_lo, s0
	s_cbranch_vccnz .LBB66_1935
; %bb.1934:
	global_load_u8 v1, v[1:2], off
	s_waitcnt vmcnt(0)
	v_cvt_f32_ubyte0_e32 v11, v1
.LBB66_1935:
	s_branch .LBB66_2007
.LBB66_1936:
	s_trap 2
	s_sendmsg_rtn_b32 s0, sendmsg(MSG_RTN_GET_DOORBELL)
	s_mov_b32 ttmp2, m0
	s_waitcnt lgkmcnt(0)
	s_and_b32 s0, s0, 0x3ff
	s_delay_alu instid0(SALU_CYCLE_1) | instskip(NEXT) | instid1(SALU_CYCLE_1)
	s_bitset1_b32 s0, 10
	s_mov_b32 m0, s0
	s_sendmsg sendmsg(MSG_INTERRUPT)
	s_mov_b32 m0, ttmp2
.LBB66_1937:                            ; =>This Inner Loop Header: Depth=1
	s_sethalt 5
	s_branch .LBB66_1937
.LBB66_1938:
	s_mov_b32 s0, -1
	s_mov_b32 s14, 0
.LBB66_1939:
                                        ; implicit-def: $vgpr11
.LBB66_1940:
	s_and_b32 vcc_lo, exec_lo, s15
	s_cbranch_vccz .LBB66_1944
; %bb.1941:
	v_cmp_eq_u16_e32 vcc_lo, 44, v7
	s_cbranch_vccz .LBB66_1943
; %bb.1942:
	global_load_u8 v3, v[1:2], off
	s_mov_b32 s0, 0
	s_mov_b32 s14, -1
	s_waitcnt vmcnt(0)
	v_lshlrev_b32_e32 v4, 23, v3
	v_cmp_ne_u32_e32 vcc_lo, 0xff, v3
	s_delay_alu instid0(VALU_DEP_2) | instskip(SKIP_1) | instid1(VALU_DEP_2)
	v_cndmask_b32_e32 v4, 0x7f800001, v4, vcc_lo
	v_cmp_ne_u32_e32 vcc_lo, 0, v3
	v_cndmask_b32_e32 v11, 0x400000, v4, vcc_lo
	s_branch .LBB66_1944
.LBB66_1943:
	s_mov_b32 s0, -1
                                        ; implicit-def: $vgpr11
.LBB66_1944:
	s_mov_b32 s15, 0
.LBB66_1945:
	s_delay_alu instid0(SALU_CYCLE_1)
	s_and_b32 vcc_lo, exec_lo, s15
	s_cbranch_vccz .LBB66_1949
; %bb.1946:
	v_cmp_eq_u16_e32 vcc_lo, 29, v7
	s_cbranch_vccz .LBB66_1948
; %bb.1947:
	global_load_b64 v[3:4], v[1:2], off
	s_mov_b32 s0, 0
	s_mov_b32 s14, -1
	s_mov_b32 s15, 0
	s_waitcnt vmcnt(0)
	v_clz_i32_u32_e32 v11, v4
	s_delay_alu instid0(VALU_DEP_1) | instskip(NEXT) | instid1(VALU_DEP_1)
	v_min_u32_e32 v11, 32, v11
	v_lshlrev_b64 v[3:4], v11, v[3:4]
	s_delay_alu instid0(VALU_DEP_1) | instskip(NEXT) | instid1(VALU_DEP_1)
	v_min_u32_e32 v3, 1, v3
	v_or_b32_e32 v3, v4, v3
	v_sub_nc_u32_e32 v4, 32, v11
	s_delay_alu instid0(VALU_DEP_2) | instskip(NEXT) | instid1(VALU_DEP_1)
	v_cvt_f32_u32_e32 v3, v3
	v_ldexp_f32 v11, v3, v4
	s_branch .LBB66_1950
.LBB66_1948:
	s_mov_b32 s0, -1
                                        ; implicit-def: $vgpr11
.LBB66_1949:
	s_mov_b32 s15, 0
.LBB66_1950:
	s_delay_alu instid0(SALU_CYCLE_1)
	s_and_b32 vcc_lo, exec_lo, s15
	s_cbranch_vccz .LBB66_1968
; %bb.1951:
	v_cmp_gt_i16_e32 vcc_lo, 27, v7
	s_cbranch_vccnz .LBB66_1954
; %bb.1952:
	v_cmp_lt_i16_e32 vcc_lo, 27, v7
	s_cbranch_vccz .LBB66_1955
; %bb.1953:
	global_load_b32 v3, v[1:2], off
	s_mov_b32 s14, 0
	s_waitcnt vmcnt(0)
	v_cvt_f32_u32_e32 v11, v3
	s_branch .LBB66_1956
.LBB66_1954:
	s_mov_b32 s14, -1
                                        ; implicit-def: $vgpr11
	s_branch .LBB66_1959
.LBB66_1955:
	s_mov_b32 s14, -1
                                        ; implicit-def: $vgpr11
.LBB66_1956:
	s_delay_alu instid0(SALU_CYCLE_1)
	s_and_not1_b32 vcc_lo, exec_lo, s14
	s_cbranch_vccnz .LBB66_1958
; %bb.1957:
	global_load_u16 v3, v[1:2], off
	s_waitcnt vmcnt(0)
	v_cvt_f32_u32_e32 v11, v3
.LBB66_1958:
	s_mov_b32 s14, 0
.LBB66_1959:
	s_delay_alu instid0(SALU_CYCLE_1)
	s_and_not1_b32 vcc_lo, exec_lo, s14
	s_cbranch_vccnz .LBB66_1967
; %bb.1960:
	global_load_u8 v3, v[1:2], off
	s_mov_b32 s14, 0
	s_mov_b32 s16, exec_lo
                                        ; implicit-def: $sgpr15
	s_waitcnt vmcnt(0)
	v_cmpx_lt_i16_e32 0x7f, v3
	s_xor_b32 s16, exec_lo, s16
	s_cbranch_execz .LBB66_1981
; %bb.1961:
	s_mov_b32 s14, -1
	s_mov_b32 s17, exec_lo
                                        ; implicit-def: $sgpr15
	v_cmpx_eq_u16_e32 0x80, v3
; %bb.1962:
	s_mov_b32 s15, 0x7f800001
	s_xor_b32 s14, exec_lo, -1
; %bb.1963:
	s_or_b32 exec_lo, exec_lo, s17
	s_delay_alu instid0(SALU_CYCLE_1)
	s_and_b32 s14, s14, exec_lo
	s_or_saveexec_b32 s16, s16
	v_mov_b32_e32 v11, s15
	s_xor_b32 exec_lo, exec_lo, s16
	s_cbranch_execnz .LBB66_1982
.LBB66_1964:
	s_or_b32 exec_lo, exec_lo, s16
	s_and_saveexec_b32 s15, s14
	s_cbranch_execz .LBB66_1966
.LBB66_1965:
	v_and_b32_e32 v4, 0xffff, v3
	v_lshlrev_b32_e32 v3, 24, v3
	s_delay_alu instid0(VALU_DEP_2) | instskip(NEXT) | instid1(VALU_DEP_2)
	v_and_b32_e32 v11, 7, v4
	v_and_b32_e32 v3, 0x80000000, v3
	s_delay_alu instid0(VALU_DEP_2) | instskip(NEXT) | instid1(VALU_DEP_1)
	v_clz_i32_u32_e32 v12, v11
	v_min_u32_e32 v12, 32, v12
	s_delay_alu instid0(VALU_DEP_1) | instskip(SKIP_1) | instid1(VALU_DEP_2)
	v_subrev_nc_u32_e32 v13, 28, v12
	v_sub_nc_u32_e32 v12, 29, v12
	v_lshlrev_b32_e32 v13, v13, v4
	v_bfe_u32 v4, v4, 3, 4
	s_delay_alu instid0(VALU_DEP_1) | instskip(NEXT) | instid1(VALU_DEP_3)
	v_cmp_eq_u32_e32 vcc_lo, 0, v4
	v_dual_cndmask_b32 v4, v4, v12 :: v_dual_and_b32 v13, 7, v13
	s_delay_alu instid0(VALU_DEP_1) | instskip(NEXT) | instid1(VALU_DEP_2)
	v_cndmask_b32_e32 v11, v11, v13, vcc_lo
	v_lshl_add_u32 v4, v4, 23, 0x3b800000
	s_delay_alu instid0(VALU_DEP_2) | instskip(NEXT) | instid1(VALU_DEP_1)
	v_lshlrev_b32_e32 v11, 20, v11
	v_or3_b32 v11, v3, v4, v11
.LBB66_1966:
	s_or_b32 exec_lo, exec_lo, s15
.LBB66_1967:
	s_mov_b32 s14, -1
.LBB66_1968:
	s_mov_b32 s15, 0
.LBB66_1969:
	s_delay_alu instid0(SALU_CYCLE_1)
	s_and_b32 vcc_lo, exec_lo, s15
	s_cbranch_vccz .LBB66_2002
; %bb.1970:
	v_cmp_lt_i16_e32 vcc_lo, 22, v7
	s_cbranch_vccz .LBB66_1980
; %bb.1971:
	v_cmp_gt_i16_e32 vcc_lo, 24, v7
	s_cbranch_vccnz .LBB66_1983
; %bb.1972:
	v_cmp_lt_i16_e32 vcc_lo, 24, v7
	s_cbranch_vccz .LBB66_1984
; %bb.1973:
	global_load_u8 v3, v[1:2], off
	s_mov_b32 s15, exec_lo
                                        ; implicit-def: $sgpr14
	s_waitcnt vmcnt(0)
	v_cmpx_lt_i16_e32 0x7f, v3
	s_xor_b32 s15, exec_lo, s15
	s_cbranch_execz .LBB66_1996
; %bb.1974:
	s_mov_b32 s1, -1
	s_mov_b32 s16, exec_lo
                                        ; implicit-def: $sgpr14
	v_cmpx_eq_u16_e32 0x80, v3
; %bb.1975:
	s_mov_b32 s14, 0x7f800001
	s_xor_b32 s1, exec_lo, -1
; %bb.1976:
	s_or_b32 exec_lo, exec_lo, s16
	s_delay_alu instid0(SALU_CYCLE_1)
	s_and_b32 s1, s1, exec_lo
	s_or_saveexec_b32 s15, s15
	v_mov_b32_e32 v11, s14
	s_xor_b32 exec_lo, exec_lo, s15
	s_cbranch_execnz .LBB66_1997
.LBB66_1977:
	s_or_b32 exec_lo, exec_lo, s15
	s_and_saveexec_b32 s14, s1
	s_cbranch_execz .LBB66_1979
.LBB66_1978:
	v_and_b32_e32 v4, 0xffff, v3
	v_lshlrev_b32_e32 v3, 24, v3
	s_delay_alu instid0(VALU_DEP_2) | instskip(NEXT) | instid1(VALU_DEP_2)
	v_and_b32_e32 v11, 3, v4
	v_and_b32_e32 v3, 0x80000000, v3
	s_delay_alu instid0(VALU_DEP_2) | instskip(NEXT) | instid1(VALU_DEP_1)
	v_clz_i32_u32_e32 v12, v11
	v_min_u32_e32 v12, 32, v12
	s_delay_alu instid0(VALU_DEP_1) | instskip(SKIP_1) | instid1(VALU_DEP_2)
	v_subrev_nc_u32_e32 v13, 29, v12
	v_sub_nc_u32_e32 v12, 30, v12
	v_lshlrev_b32_e32 v13, v13, v4
	v_bfe_u32 v4, v4, 2, 5
	s_delay_alu instid0(VALU_DEP_1) | instskip(NEXT) | instid1(VALU_DEP_3)
	v_cmp_eq_u32_e32 vcc_lo, 0, v4
	v_dual_cndmask_b32 v4, v4, v12 :: v_dual_and_b32 v13, 3, v13
	s_delay_alu instid0(VALU_DEP_1) | instskip(NEXT) | instid1(VALU_DEP_2)
	v_cndmask_b32_e32 v11, v11, v13, vcc_lo
	v_lshl_add_u32 v4, v4, 23, 0x37800000
	s_delay_alu instid0(VALU_DEP_2) | instskip(NEXT) | instid1(VALU_DEP_1)
	v_lshlrev_b32_e32 v11, 21, v11
	v_or3_b32 v11, v3, v4, v11
.LBB66_1979:
	s_or_b32 exec_lo, exec_lo, s14
	s_mov_b32 s1, 0
	s_branch .LBB66_1985
.LBB66_1980:
	s_mov_b32 s1, -1
                                        ; implicit-def: $vgpr11
	s_branch .LBB66_1991
.LBB66_1981:
	s_or_saveexec_b32 s16, s16
	v_mov_b32_e32 v11, s15
	s_xor_b32 exec_lo, exec_lo, s16
	s_cbranch_execz .LBB66_1964
.LBB66_1982:
	v_cmp_ne_u16_e32 vcc_lo, 0, v3
	v_mov_b32_e32 v11, 0
	s_and_not1_b32 s14, s14, exec_lo
	s_and_b32 s15, vcc_lo, exec_lo
	s_delay_alu instid0(SALU_CYCLE_1)
	s_or_b32 s14, s14, s15
	s_or_b32 exec_lo, exec_lo, s16
	s_and_saveexec_b32 s15, s14
	s_cbranch_execnz .LBB66_1965
	s_branch .LBB66_1966
.LBB66_1983:
	s_mov_b32 s1, -1
                                        ; implicit-def: $vgpr11
	s_branch .LBB66_1988
.LBB66_1984:
	s_mov_b32 s1, -1
                                        ; implicit-def: $vgpr11
.LBB66_1985:
	s_delay_alu instid0(SALU_CYCLE_1)
	s_and_b32 vcc_lo, exec_lo, s1
	s_cbranch_vccz .LBB66_1987
; %bb.1986:
	global_load_u8 v3, v[1:2], off
	s_waitcnt vmcnt(0)
	v_lshlrev_b32_e32 v3, 24, v3
	s_delay_alu instid0(VALU_DEP_1) | instskip(NEXT) | instid1(VALU_DEP_1)
	v_and_b32_e32 v4, 0x7f000000, v3
	v_clz_i32_u32_e32 v11, v4
	v_cmp_ne_u32_e32 vcc_lo, 0, v4
	v_add_nc_u32_e32 v13, 0x1000000, v4
	s_delay_alu instid0(VALU_DEP_3) | instskip(NEXT) | instid1(VALU_DEP_1)
	v_min_u32_e32 v11, 32, v11
	v_sub_nc_u32_e64 v11, v11, 4 clamp
	s_delay_alu instid0(VALU_DEP_1) | instskip(SKIP_1) | instid1(VALU_DEP_2)
	v_lshlrev_b32_e32 v12, v11, v4
	v_lshlrev_b32_e32 v11, 23, v11
	v_lshrrev_b32_e32 v12, 4, v12
	s_delay_alu instid0(VALU_DEP_1) | instskip(SKIP_1) | instid1(VALU_DEP_2)
	v_sub_nc_u32_e32 v11, v12, v11
	v_ashrrev_i32_e32 v12, 8, v13
	v_add_nc_u32_e32 v11, 0x3c000000, v11
	s_delay_alu instid0(VALU_DEP_1) | instskip(NEXT) | instid1(VALU_DEP_1)
	v_and_or_b32 v11, 0x7f800000, v12, v11
	v_cndmask_b32_e32 v4, 0, v11, vcc_lo
	s_delay_alu instid0(VALU_DEP_1)
	v_and_or_b32 v11, 0x80000000, v3, v4
.LBB66_1987:
	s_mov_b32 s1, 0
.LBB66_1988:
	s_delay_alu instid0(SALU_CYCLE_1)
	s_and_not1_b32 vcc_lo, exec_lo, s1
	s_cbranch_vccnz .LBB66_1990
; %bb.1989:
	global_load_u8 v3, v[1:2], off
	s_waitcnt vmcnt(0)
	v_lshlrev_b32_e32 v4, 25, v3
	v_lshlrev_b16 v3, 8, v3
	s_delay_alu instid0(VALU_DEP_2) | instskip(NEXT) | instid1(VALU_DEP_2)
	v_lshrrev_b32_e32 v11, 4, v4
	v_and_or_b32 v12, 0x7f00, v3, 0.5
	v_cmp_gt_u32_e32 vcc_lo, 0x8000000, v4
	v_bfe_i32 v3, v3, 0, 16
	s_delay_alu instid0(VALU_DEP_4) | instskip(NEXT) | instid1(VALU_DEP_1)
	v_or_b32_e32 v11, 0x70000000, v11
	v_dual_add_f32 v12, -0.5, v12 :: v_dual_mul_f32 v11, 0x7800000, v11
	s_delay_alu instid0(VALU_DEP_1) | instskip(NEXT) | instid1(VALU_DEP_1)
	v_cndmask_b32_e32 v4, v11, v12, vcc_lo
	v_and_or_b32 v11, 0x80000000, v3, v4
.LBB66_1990:
	s_mov_b32 s1, 0
	s_mov_b32 s14, -1
.LBB66_1991:
	s_and_not1_b32 vcc_lo, exec_lo, s1
	s_mov_b32 s1, 0
	s_cbranch_vccnz .LBB66_2002
; %bb.1992:
	v_cmp_lt_i16_e32 vcc_lo, 14, v7
	s_cbranch_vccz .LBB66_1995
; %bb.1993:
	v_cmp_eq_u16_e32 vcc_lo, 15, v7
	s_cbranch_vccz .LBB66_1998
; %bb.1994:
	global_load_u16 v3, v[1:2], off
	s_mov_b32 s0, 0
	s_mov_b32 s14, -1
	s_waitcnt vmcnt(0)
	v_lshlrev_b32_e32 v11, 16, v3
	s_branch .LBB66_2000
.LBB66_1995:
	s_mov_b32 s1, -1
	s_branch .LBB66_1999
.LBB66_1996:
	s_or_saveexec_b32 s15, s15
	v_mov_b32_e32 v11, s14
	s_xor_b32 exec_lo, exec_lo, s15
	s_cbranch_execz .LBB66_1977
.LBB66_1997:
	v_cmp_ne_u16_e32 vcc_lo, 0, v3
	v_mov_b32_e32 v11, 0
	s_and_not1_b32 s1, s1, exec_lo
	s_and_b32 s14, vcc_lo, exec_lo
	s_delay_alu instid0(SALU_CYCLE_1)
	s_or_b32 s1, s1, s14
	s_or_b32 exec_lo, exec_lo, s15
	s_and_saveexec_b32 s14, s1
	s_cbranch_execnz .LBB66_1978
	s_branch .LBB66_1979
.LBB66_1998:
	s_mov_b32 s0, -1
.LBB66_1999:
                                        ; implicit-def: $vgpr11
.LBB66_2000:
	s_and_b32 vcc_lo, exec_lo, s1
	s_mov_b32 s1, 0
	s_cbranch_vccz .LBB66_2002
; %bb.2001:
	v_cmp_ne_u16_e64 s0, 11, v7
	s_mov_b32 s1, -1
                                        ; implicit-def: $vgpr11
.LBB66_2002:
	s_delay_alu instid0(VALU_DEP_1)
	s_and_b32 vcc_lo, exec_lo, s0
	s_cbranch_vccnz .LBB66_2018
; %bb.2003:
	s_and_not1_b32 vcc_lo, exec_lo, s1
	s_cbranch_vccnz .LBB66_2005
.LBB66_2004:
	global_load_u8 v3, v[1:2], off
	s_mov_b32 s14, -1
	s_waitcnt vmcnt(0)
	v_cmp_ne_u16_e32 vcc_lo, 0, v3
	v_cndmask_b32_e64 v11, 0, 1.0, vcc_lo
.LBB66_2005:
.LBB66_2006:
	s_and_not1_b32 vcc_lo, exec_lo, s14
	s_cbranch_vccnz .LBB66_2793
.LBB66_2007:
	s_lshl_b32 s10, s10, 7
	v_cmp_gt_i16_e32 vcc_lo, 11, v8
	v_add_nc_u32_e32 v5, s10, v5
	s_delay_alu instid0(VALU_DEP_1) | instskip(SKIP_1) | instid1(VALU_DEP_1)
	v_ashrrev_i32_e32 v2, 31, v5
	v_add_co_u32 v1, s0, s2, v5
	v_add_co_ci_u32_e64 v2, s0, s3, v2, s0
	s_cbranch_vccnz .LBB66_2014
; %bb.2008:
	v_cmp_lt_i16_e32 vcc_lo, 25, v8
	s_mov_b32 s1, 0
	s_cbranch_vccz .LBB66_2015
; %bb.2009:
	v_cmp_lt_i16_e32 vcc_lo, 28, v8
	s_cbranch_vccz .LBB66_2016
; %bb.2010:
	v_cmp_lt_i16_e32 vcc_lo, 43, v8
	;; [unrolled: 3-line block ×3, first 2 shown]
	s_cbranch_vccz .LBB66_2020
; %bb.2012:
	v_cmp_eq_u16_e32 vcc_lo, 46, v8
	s_mov_b32 s15, 0
	s_cbranch_vccz .LBB66_2023
; %bb.2013:
	global_load_b32 v3, v[1:2], off
	s_mov_b32 s0, 0
	s_mov_b32 s14, -1
	s_waitcnt vmcnt(0)
	v_lshlrev_b32_e32 v3, 16, v3
	s_branch .LBB66_2025
.LBB66_2014:
	s_mov_b32 s0, -1
	s_mov_b32 s14, 0
                                        ; implicit-def: $vgpr3
	s_branch .LBB66_2091
.LBB66_2015:
	s_mov_b32 s15, -1
	s_mov_b32 s14, 0
	s_mov_b32 s0, 0
                                        ; implicit-def: $vgpr3
	s_branch .LBB66_2054
.LBB66_2016:
	s_mov_b32 s15, -1
	s_mov_b32 s14, 0
	s_mov_b32 s0, 0
                                        ; implicit-def: $vgpr3
	s_branch .LBB66_2035
.LBB66_2017:
	s_mov_b32 s15, -1
	s_mov_b32 s14, 0
	s_mov_b32 s0, 0
                                        ; implicit-def: $vgpr3
	s_branch .LBB66_2030
.LBB66_2018:
	s_cbranch_execnz .LBB66_2021
; %bb.2019:
	s_or_b32 s11, s11, exec_lo
                                        ; implicit-def: $vgpr11
	s_cbranch_execz .LBB66_2004
	s_branch .LBB66_2005
.LBB66_2020:
	s_mov_b32 s15, -1
	s_mov_b32 s14, 0
	s_mov_b32 s0, 0
	s_branch .LBB66_2024
.LBB66_2021:
	s_trap 2
	s_sendmsg_rtn_b32 s0, sendmsg(MSG_RTN_GET_DOORBELL)
	s_mov_b32 ttmp2, m0
	s_waitcnt lgkmcnt(0)
	s_and_b32 s0, s0, 0x3ff
	s_delay_alu instid0(SALU_CYCLE_1) | instskip(NEXT) | instid1(SALU_CYCLE_1)
	s_bitset1_b32 s0, 10
	s_mov_b32 m0, s0
	s_sendmsg sendmsg(MSG_INTERRUPT)
	s_mov_b32 m0, ttmp2
.LBB66_2022:                            ; =>This Inner Loop Header: Depth=1
	s_sethalt 5
	s_branch .LBB66_2022
.LBB66_2023:
	s_mov_b32 s0, -1
	s_mov_b32 s14, 0
.LBB66_2024:
                                        ; implicit-def: $vgpr3
.LBB66_2025:
	s_and_b32 vcc_lo, exec_lo, s15
	s_cbranch_vccz .LBB66_2029
; %bb.2026:
	v_cmp_eq_u16_e32 vcc_lo, 44, v8
	s_cbranch_vccz .LBB66_2028
; %bb.2027:
	global_load_u8 v3, v[1:2], off
	s_mov_b32 s0, 0
	s_mov_b32 s14, -1
	s_waitcnt vmcnt(0)
	v_lshlrev_b32_e32 v4, 23, v3
	v_cmp_ne_u32_e32 vcc_lo, 0xff, v3
	s_delay_alu instid0(VALU_DEP_2) | instskip(SKIP_1) | instid1(VALU_DEP_2)
	v_cndmask_b32_e32 v4, 0x7f800001, v4, vcc_lo
	v_cmp_ne_u32_e32 vcc_lo, 0, v3
	v_cndmask_b32_e32 v3, 0x400000, v4, vcc_lo
	s_branch .LBB66_2029
.LBB66_2028:
	s_mov_b32 s0, -1
                                        ; implicit-def: $vgpr3
.LBB66_2029:
	s_mov_b32 s15, 0
.LBB66_2030:
	s_delay_alu instid0(SALU_CYCLE_1)
	s_and_b32 vcc_lo, exec_lo, s15
	s_cbranch_vccz .LBB66_2034
; %bb.2031:
	v_cmp_eq_u16_e32 vcc_lo, 29, v8
	s_cbranch_vccz .LBB66_2033
; %bb.2032:
	global_load_b64 v[3:4], v[1:2], off
	s_mov_b32 s0, 0
	s_mov_b32 s14, -1
	s_mov_b32 s15, 0
	s_waitcnt vmcnt(0)
	v_clz_i32_u32_e32 v12, v4
	s_delay_alu instid0(VALU_DEP_1) | instskip(NEXT) | instid1(VALU_DEP_1)
	v_min_u32_e32 v12, 32, v12
	v_lshlrev_b64 v[3:4], v12, v[3:4]
	s_delay_alu instid0(VALU_DEP_1) | instskip(NEXT) | instid1(VALU_DEP_1)
	v_min_u32_e32 v3, 1, v3
	v_or_b32_e32 v3, v4, v3
	v_sub_nc_u32_e32 v4, 32, v12
	s_delay_alu instid0(VALU_DEP_2) | instskip(NEXT) | instid1(VALU_DEP_1)
	v_cvt_f32_u32_e32 v3, v3
	v_ldexp_f32 v3, v3, v4
	s_branch .LBB66_2035
.LBB66_2033:
	s_mov_b32 s0, -1
                                        ; implicit-def: $vgpr3
.LBB66_2034:
	s_mov_b32 s15, 0
.LBB66_2035:
	s_delay_alu instid0(SALU_CYCLE_1)
	s_and_b32 vcc_lo, exec_lo, s15
	s_cbranch_vccz .LBB66_2053
; %bb.2036:
	v_cmp_gt_i16_e32 vcc_lo, 27, v8
	s_cbranch_vccnz .LBB66_2039
; %bb.2037:
	v_cmp_lt_i16_e32 vcc_lo, 27, v8
	s_cbranch_vccz .LBB66_2040
; %bb.2038:
	global_load_b32 v3, v[1:2], off
	s_mov_b32 s14, 0
	s_waitcnt vmcnt(0)
	v_cvt_f32_u32_e32 v3, v3
	s_branch .LBB66_2041
.LBB66_2039:
	s_mov_b32 s14, -1
                                        ; implicit-def: $vgpr3
	s_branch .LBB66_2044
.LBB66_2040:
	s_mov_b32 s14, -1
                                        ; implicit-def: $vgpr3
.LBB66_2041:
	s_delay_alu instid0(SALU_CYCLE_1)
	s_and_not1_b32 vcc_lo, exec_lo, s14
	s_cbranch_vccnz .LBB66_2043
; %bb.2042:
	global_load_u16 v3, v[1:2], off
	s_waitcnt vmcnt(0)
	v_cvt_f32_u32_e32 v3, v3
.LBB66_2043:
	s_mov_b32 s14, 0
.LBB66_2044:
	s_delay_alu instid0(SALU_CYCLE_1)
	s_and_not1_b32 vcc_lo, exec_lo, s14
	s_cbranch_vccnz .LBB66_2052
; %bb.2045:
	global_load_u8 v4, v[1:2], off
	s_mov_b32 s14, 0
	s_mov_b32 s16, exec_lo
                                        ; implicit-def: $sgpr15
	s_waitcnt vmcnt(0)
	v_cmpx_lt_i16_e32 0x7f, v4
	s_xor_b32 s16, exec_lo, s16
	s_cbranch_execz .LBB66_2066
; %bb.2046:
	s_mov_b32 s14, -1
	s_mov_b32 s17, exec_lo
                                        ; implicit-def: $sgpr15
	v_cmpx_eq_u16_e32 0x80, v4
; %bb.2047:
	s_mov_b32 s15, 0x7f800001
	s_xor_b32 s14, exec_lo, -1
; %bb.2048:
	s_or_b32 exec_lo, exec_lo, s17
	s_delay_alu instid0(SALU_CYCLE_1)
	s_and_b32 s14, s14, exec_lo
	s_or_saveexec_b32 s16, s16
	v_mov_b32_e32 v3, s15
	s_xor_b32 exec_lo, exec_lo, s16
	s_cbranch_execnz .LBB66_2067
.LBB66_2049:
	s_or_b32 exec_lo, exec_lo, s16
	s_and_saveexec_b32 s15, s14
	s_cbranch_execz .LBB66_2051
.LBB66_2050:
	v_and_b32_e32 v3, 0xffff, v4
	v_lshlrev_b32_e32 v4, 24, v4
	s_delay_alu instid0(VALU_DEP_2) | instskip(NEXT) | instid1(VALU_DEP_2)
	v_and_b32_e32 v12, 7, v3
	v_and_b32_e32 v4, 0x80000000, v4
	s_delay_alu instid0(VALU_DEP_2) | instskip(NEXT) | instid1(VALU_DEP_1)
	v_clz_i32_u32_e32 v13, v12
	v_min_u32_e32 v13, 32, v13
	s_delay_alu instid0(VALU_DEP_1) | instskip(SKIP_1) | instid1(VALU_DEP_2)
	v_subrev_nc_u32_e32 v14, 28, v13
	v_sub_nc_u32_e32 v13, 29, v13
	v_lshlrev_b32_e32 v14, v14, v3
	v_bfe_u32 v3, v3, 3, 4
	s_delay_alu instid0(VALU_DEP_2) | instskip(NEXT) | instid1(VALU_DEP_2)
	v_and_b32_e32 v14, 7, v14
	v_cmp_eq_u32_e32 vcc_lo, 0, v3
	s_delay_alu instid0(VALU_DEP_2) | instskip(NEXT) | instid1(VALU_DEP_1)
	v_dual_cndmask_b32 v3, v3, v13 :: v_dual_cndmask_b32 v12, v12, v14
	v_lshl_add_u32 v3, v3, 23, 0x3b800000
	s_delay_alu instid0(VALU_DEP_2) | instskip(NEXT) | instid1(VALU_DEP_1)
	v_lshlrev_b32_e32 v12, 20, v12
	v_or3_b32 v3, v4, v3, v12
.LBB66_2051:
	s_or_b32 exec_lo, exec_lo, s15
.LBB66_2052:
	s_mov_b32 s14, -1
.LBB66_2053:
	s_mov_b32 s15, 0
.LBB66_2054:
	s_delay_alu instid0(SALU_CYCLE_1)
	s_and_b32 vcc_lo, exec_lo, s15
	s_cbranch_vccz .LBB66_2087
; %bb.2055:
	v_cmp_lt_i16_e32 vcc_lo, 22, v8
	s_cbranch_vccz .LBB66_2065
; %bb.2056:
	v_cmp_gt_i16_e32 vcc_lo, 24, v8
	s_cbranch_vccnz .LBB66_2068
; %bb.2057:
	v_cmp_lt_i16_e32 vcc_lo, 24, v8
	s_cbranch_vccz .LBB66_2069
; %bb.2058:
	global_load_u8 v4, v[1:2], off
	s_mov_b32 s15, exec_lo
                                        ; implicit-def: $sgpr14
	s_waitcnt vmcnt(0)
	v_cmpx_lt_i16_e32 0x7f, v4
	s_xor_b32 s15, exec_lo, s15
	s_cbranch_execz .LBB66_2081
; %bb.2059:
	s_mov_b32 s1, -1
	s_mov_b32 s16, exec_lo
                                        ; implicit-def: $sgpr14
	v_cmpx_eq_u16_e32 0x80, v4
; %bb.2060:
	s_mov_b32 s14, 0x7f800001
	s_xor_b32 s1, exec_lo, -1
; %bb.2061:
	s_or_b32 exec_lo, exec_lo, s16
	s_delay_alu instid0(SALU_CYCLE_1)
	s_and_b32 s1, s1, exec_lo
	s_or_saveexec_b32 s15, s15
	v_mov_b32_e32 v3, s14
	s_xor_b32 exec_lo, exec_lo, s15
	s_cbranch_execnz .LBB66_2082
.LBB66_2062:
	s_or_b32 exec_lo, exec_lo, s15
	s_and_saveexec_b32 s14, s1
	s_cbranch_execz .LBB66_2064
.LBB66_2063:
	v_and_b32_e32 v3, 0xffff, v4
	v_lshlrev_b32_e32 v4, 24, v4
	s_delay_alu instid0(VALU_DEP_2) | instskip(NEXT) | instid1(VALU_DEP_2)
	v_and_b32_e32 v12, 3, v3
	v_and_b32_e32 v4, 0x80000000, v4
	s_delay_alu instid0(VALU_DEP_2) | instskip(NEXT) | instid1(VALU_DEP_1)
	v_clz_i32_u32_e32 v13, v12
	v_min_u32_e32 v13, 32, v13
	s_delay_alu instid0(VALU_DEP_1) | instskip(SKIP_1) | instid1(VALU_DEP_2)
	v_subrev_nc_u32_e32 v14, 29, v13
	v_sub_nc_u32_e32 v13, 30, v13
	v_lshlrev_b32_e32 v14, v14, v3
	v_bfe_u32 v3, v3, 2, 5
	s_delay_alu instid0(VALU_DEP_2) | instskip(NEXT) | instid1(VALU_DEP_2)
	v_and_b32_e32 v14, 3, v14
	v_cmp_eq_u32_e32 vcc_lo, 0, v3
	s_delay_alu instid0(VALU_DEP_2) | instskip(NEXT) | instid1(VALU_DEP_1)
	v_dual_cndmask_b32 v3, v3, v13 :: v_dual_cndmask_b32 v12, v12, v14
	v_lshl_add_u32 v3, v3, 23, 0x37800000
	s_delay_alu instid0(VALU_DEP_2) | instskip(NEXT) | instid1(VALU_DEP_1)
	v_lshlrev_b32_e32 v12, 21, v12
	v_or3_b32 v3, v4, v3, v12
.LBB66_2064:
	s_or_b32 exec_lo, exec_lo, s14
	s_mov_b32 s1, 0
	s_branch .LBB66_2070
.LBB66_2065:
	s_mov_b32 s1, -1
                                        ; implicit-def: $vgpr3
	s_branch .LBB66_2076
.LBB66_2066:
	s_or_saveexec_b32 s16, s16
	v_mov_b32_e32 v3, s15
	s_xor_b32 exec_lo, exec_lo, s16
	s_cbranch_execz .LBB66_2049
.LBB66_2067:
	v_cmp_ne_u16_e32 vcc_lo, 0, v4
	v_mov_b32_e32 v3, 0
	s_and_not1_b32 s14, s14, exec_lo
	s_and_b32 s15, vcc_lo, exec_lo
	s_delay_alu instid0(SALU_CYCLE_1)
	s_or_b32 s14, s14, s15
	s_or_b32 exec_lo, exec_lo, s16
	s_and_saveexec_b32 s15, s14
	s_cbranch_execnz .LBB66_2050
	s_branch .LBB66_2051
.LBB66_2068:
	s_mov_b32 s1, -1
                                        ; implicit-def: $vgpr3
	s_branch .LBB66_2073
.LBB66_2069:
	s_mov_b32 s1, -1
                                        ; implicit-def: $vgpr3
.LBB66_2070:
	s_delay_alu instid0(SALU_CYCLE_1)
	s_and_b32 vcc_lo, exec_lo, s1
	s_cbranch_vccz .LBB66_2072
; %bb.2071:
	global_load_u8 v3, v[1:2], off
	s_waitcnt vmcnt(0)
	v_lshlrev_b32_e32 v3, 24, v3
	s_delay_alu instid0(VALU_DEP_1) | instskip(NEXT) | instid1(VALU_DEP_1)
	v_and_b32_e32 v4, 0x7f000000, v3
	v_clz_i32_u32_e32 v12, v4
	v_add_nc_u32_e32 v14, 0x1000000, v4
	v_cmp_ne_u32_e32 vcc_lo, 0, v4
	s_delay_alu instid0(VALU_DEP_3) | instskip(NEXT) | instid1(VALU_DEP_1)
	v_min_u32_e32 v12, 32, v12
	v_sub_nc_u32_e64 v12, v12, 4 clamp
	s_delay_alu instid0(VALU_DEP_1) | instskip(SKIP_1) | instid1(VALU_DEP_2)
	v_lshlrev_b32_e32 v13, v12, v4
	v_lshlrev_b32_e32 v12, 23, v12
	v_lshrrev_b32_e32 v13, 4, v13
	s_delay_alu instid0(VALU_DEP_1) | instskip(SKIP_1) | instid1(VALU_DEP_2)
	v_sub_nc_u32_e32 v12, v13, v12
	v_ashrrev_i32_e32 v13, 8, v14
	v_add_nc_u32_e32 v12, 0x3c000000, v12
	s_delay_alu instid0(VALU_DEP_1) | instskip(NEXT) | instid1(VALU_DEP_1)
	v_and_or_b32 v12, 0x7f800000, v13, v12
	v_cndmask_b32_e32 v4, 0, v12, vcc_lo
	s_delay_alu instid0(VALU_DEP_1)
	v_and_or_b32 v3, 0x80000000, v3, v4
.LBB66_2072:
	s_mov_b32 s1, 0
.LBB66_2073:
	s_delay_alu instid0(SALU_CYCLE_1)
	s_and_not1_b32 vcc_lo, exec_lo, s1
	s_cbranch_vccnz .LBB66_2075
; %bb.2074:
	global_load_u8 v3, v[1:2], off
	s_waitcnt vmcnt(0)
	v_lshlrev_b32_e32 v4, 25, v3
	v_lshlrev_b16 v3, 8, v3
	s_delay_alu instid0(VALU_DEP_1) | instskip(SKIP_1) | instid1(VALU_DEP_2)
	v_and_or_b32 v13, 0x7f00, v3, 0.5
	v_bfe_i32 v3, v3, 0, 16
	v_add_f32_e32 v13, -0.5, v13
	v_lshrrev_b32_e32 v12, 4, v4
	v_cmp_gt_u32_e32 vcc_lo, 0x8000000, v4
	s_delay_alu instid0(VALU_DEP_2) | instskip(NEXT) | instid1(VALU_DEP_1)
	v_or_b32_e32 v12, 0x70000000, v12
	v_mul_f32_e32 v12, 0x7800000, v12
	s_delay_alu instid0(VALU_DEP_1) | instskip(NEXT) | instid1(VALU_DEP_1)
	v_cndmask_b32_e32 v4, v12, v13, vcc_lo
	v_and_or_b32 v3, 0x80000000, v3, v4
.LBB66_2075:
	s_mov_b32 s1, 0
	s_mov_b32 s14, -1
.LBB66_2076:
	s_and_not1_b32 vcc_lo, exec_lo, s1
	s_mov_b32 s1, 0
	s_cbranch_vccnz .LBB66_2087
; %bb.2077:
	v_cmp_lt_i16_e32 vcc_lo, 14, v8
	s_cbranch_vccz .LBB66_2080
; %bb.2078:
	v_cmp_eq_u16_e32 vcc_lo, 15, v8
	s_cbranch_vccz .LBB66_2083
; %bb.2079:
	global_load_u16 v3, v[1:2], off
	s_mov_b32 s0, 0
	s_mov_b32 s14, -1
	s_waitcnt vmcnt(0)
	v_lshlrev_b32_e32 v3, 16, v3
	s_branch .LBB66_2085
.LBB66_2080:
	s_mov_b32 s1, -1
	s_branch .LBB66_2084
.LBB66_2081:
	s_or_saveexec_b32 s15, s15
	v_mov_b32_e32 v3, s14
	s_xor_b32 exec_lo, exec_lo, s15
	s_cbranch_execz .LBB66_2062
.LBB66_2082:
	v_cmp_ne_u16_e32 vcc_lo, 0, v4
	v_mov_b32_e32 v3, 0
	s_and_not1_b32 s1, s1, exec_lo
	s_and_b32 s14, vcc_lo, exec_lo
	s_delay_alu instid0(SALU_CYCLE_1)
	s_or_b32 s1, s1, s14
	s_or_b32 exec_lo, exec_lo, s15
	s_and_saveexec_b32 s14, s1
	s_cbranch_execnz .LBB66_2063
	s_branch .LBB66_2064
.LBB66_2083:
	s_mov_b32 s0, -1
.LBB66_2084:
                                        ; implicit-def: $vgpr3
.LBB66_2085:
	s_and_b32 vcc_lo, exec_lo, s1
	s_mov_b32 s1, 0
	s_cbranch_vccz .LBB66_2087
; %bb.2086:
	v_cmp_ne_u16_e64 s0, 11, v8
	s_mov_b32 s1, -1
                                        ; implicit-def: $vgpr3
.LBB66_2087:
	s_delay_alu instid0(VALU_DEP_1)
	s_and_b32 vcc_lo, exec_lo, s0
	s_cbranch_vccnz .LBB66_2164
; %bb.2088:
	s_and_not1_b32 vcc_lo, exec_lo, s1
	s_cbranch_vccnz .LBB66_2090
.LBB66_2089:
	global_load_u8 v3, v[1:2], off
	s_mov_b32 s14, -1
	s_waitcnt vmcnt(0)
	v_cmp_ne_u16_e32 vcc_lo, 0, v3
	v_cndmask_b32_e64 v3, 0, 1.0, vcc_lo
.LBB66_2090:
	s_mov_b32 s0, 0
.LBB66_2091:
	s_delay_alu instid0(SALU_CYCLE_1)
	s_and_b32 vcc_lo, exec_lo, s0
	s_cbranch_vccz .LBB66_2140
; %bb.2092:
	v_cmp_gt_i16_e32 vcc_lo, 5, v8
	s_cbranch_vccnz .LBB66_2097
; %bb.2093:
	v_cmp_gt_i16_e32 vcc_lo, 8, v8
	s_cbranch_vccnz .LBB66_2098
	;; [unrolled: 3-line block ×3, first 2 shown]
; %bb.2095:
	v_cmp_lt_i16_e32 vcc_lo, 9, v8
	s_cbranch_vccz .LBB66_2100
; %bb.2096:
	global_load_b64 v[3:4], v[1:2], off
	s_mov_b32 s0, 0
	s_waitcnt vmcnt(0)
	v_cvt_f32_f64_e32 v3, v[3:4]
	s_branch .LBB66_2101
.LBB66_2097:
	s_mov_b32 s0, -1
                                        ; implicit-def: $vgpr3
	s_branch .LBB66_2119
.LBB66_2098:
	s_mov_b32 s0, -1
                                        ; implicit-def: $vgpr3
	s_branch .LBB66_2107
.LBB66_2099:
	s_mov_b32 s0, -1
                                        ; implicit-def: $vgpr3
	s_branch .LBB66_2104
.LBB66_2100:
	s_mov_b32 s0, -1
                                        ; implicit-def: $vgpr3
.LBB66_2101:
	s_delay_alu instid0(SALU_CYCLE_1)
	s_and_not1_b32 vcc_lo, exec_lo, s0
	s_cbranch_vccnz .LBB66_2103
; %bb.2102:
	global_load_b32 v3, v[1:2], off
.LBB66_2103:
	s_mov_b32 s0, 0
.LBB66_2104:
	s_delay_alu instid0(SALU_CYCLE_1)
	s_and_not1_b32 vcc_lo, exec_lo, s0
	s_cbranch_vccnz .LBB66_2106
; %bb.2105:
	global_load_b32 v3, v[1:2], off
	s_waitcnt vmcnt(0)
	v_cvt_f32_f16_e32 v3, v3
.LBB66_2106:
	s_mov_b32 s0, 0
.LBB66_2107:
	s_delay_alu instid0(SALU_CYCLE_1)
	s_and_not1_b32 vcc_lo, exec_lo, s0
	s_cbranch_vccnz .LBB66_2118
; %bb.2108:
	v_cmp_gt_i16_e32 vcc_lo, 6, v8
	s_cbranch_vccnz .LBB66_2111
; %bb.2109:
	v_cmp_lt_i16_e32 vcc_lo, 6, v8
	s_cbranch_vccz .LBB66_2112
; %bb.2110:
	global_load_b64 v[3:4], v[1:2], off
	s_mov_b32 s0, 0
	s_waitcnt vmcnt(0)
	v_cvt_f32_f64_e32 v3, v[3:4]
	s_branch .LBB66_2113
.LBB66_2111:
	s_mov_b32 s0, -1
                                        ; implicit-def: $vgpr3
	s_branch .LBB66_2116
.LBB66_2112:
	s_mov_b32 s0, -1
                                        ; implicit-def: $vgpr3
.LBB66_2113:
	s_delay_alu instid0(SALU_CYCLE_1)
	s_and_not1_b32 vcc_lo, exec_lo, s0
	s_cbranch_vccnz .LBB66_2115
; %bb.2114:
	global_load_b32 v3, v[1:2], off
.LBB66_2115:
	s_mov_b32 s0, 0
.LBB66_2116:
	s_delay_alu instid0(SALU_CYCLE_1)
	s_and_not1_b32 vcc_lo, exec_lo, s0
	s_cbranch_vccnz .LBB66_2118
; %bb.2117:
	global_load_u16 v3, v[1:2], off
	s_waitcnt vmcnt(0)
	v_cvt_f32_f16_e32 v3, v3
.LBB66_2118:
	s_mov_b32 s0, 0
.LBB66_2119:
	s_delay_alu instid0(SALU_CYCLE_1)
	s_and_not1_b32 vcc_lo, exec_lo, s0
	s_cbranch_vccnz .LBB66_2139
; %bb.2120:
	v_cmp_gt_i16_e32 vcc_lo, 2, v8
	s_cbranch_vccnz .LBB66_2124
; %bb.2121:
	v_cmp_gt_i16_e32 vcc_lo, 3, v8
	s_cbranch_vccnz .LBB66_2125
; %bb.2122:
	v_cmp_lt_i16_e32 vcc_lo, 3, v8
	s_cbranch_vccz .LBB66_2126
; %bb.2123:
	global_load_b64 v[3:4], v[1:2], off
	s_mov_b32 s0, 0
	s_waitcnt vmcnt(0)
	v_xor_b32_e32 v12, v3, v4
	v_cls_i32_e32 v13, v4
	s_delay_alu instid0(VALU_DEP_2) | instskip(NEXT) | instid1(VALU_DEP_2)
	v_ashrrev_i32_e32 v12, 31, v12
	v_add_nc_u32_e32 v13, -1, v13
	s_delay_alu instid0(VALU_DEP_2) | instskip(NEXT) | instid1(VALU_DEP_1)
	v_add_nc_u32_e32 v12, 32, v12
	v_min_u32_e32 v12, v13, v12
	s_delay_alu instid0(VALU_DEP_1) | instskip(NEXT) | instid1(VALU_DEP_1)
	v_lshlrev_b64 v[3:4], v12, v[3:4]
	v_min_u32_e32 v3, 1, v3
	s_delay_alu instid0(VALU_DEP_1) | instskip(SKIP_1) | instid1(VALU_DEP_2)
	v_or_b32_e32 v3, v4, v3
	v_sub_nc_u32_e32 v4, 32, v12
	v_cvt_f32_i32_e32 v3, v3
	s_delay_alu instid0(VALU_DEP_1)
	v_ldexp_f32 v3, v3, v4
	s_branch .LBB66_2127
.LBB66_2124:
	s_mov_b32 s0, -1
                                        ; implicit-def: $vgpr3
	s_branch .LBB66_2133
.LBB66_2125:
	s_mov_b32 s0, -1
                                        ; implicit-def: $vgpr3
	s_branch .LBB66_2130
.LBB66_2126:
	s_mov_b32 s0, -1
                                        ; implicit-def: $vgpr3
.LBB66_2127:
	s_delay_alu instid0(SALU_CYCLE_1)
	s_and_not1_b32 vcc_lo, exec_lo, s0
	s_cbranch_vccnz .LBB66_2129
; %bb.2128:
	global_load_b32 v3, v[1:2], off
	s_waitcnt vmcnt(0)
	v_cvt_f32_i32_e32 v3, v3
.LBB66_2129:
	s_mov_b32 s0, 0
.LBB66_2130:
	s_delay_alu instid0(SALU_CYCLE_1)
	s_and_not1_b32 vcc_lo, exec_lo, s0
	s_cbranch_vccnz .LBB66_2132
; %bb.2131:
	global_load_i16 v3, v[1:2], off
	s_waitcnt vmcnt(0)
	v_cvt_f32_i32_e32 v3, v3
.LBB66_2132:
	s_mov_b32 s0, 0
.LBB66_2133:
	s_delay_alu instid0(SALU_CYCLE_1)
	s_and_not1_b32 vcc_lo, exec_lo, s0
	s_cbranch_vccnz .LBB66_2139
; %bb.2134:
	v_cmp_lt_i16_e32 vcc_lo, 0, v8
	s_mov_b32 s0, 0
	s_cbranch_vccz .LBB66_2136
; %bb.2135:
	global_load_i8 v3, v[1:2], off
	s_waitcnt vmcnt(0)
	v_cvt_f32_i32_e32 v3, v3
	s_branch .LBB66_2137
.LBB66_2136:
	s_mov_b32 s0, -1
                                        ; implicit-def: $vgpr3
.LBB66_2137:
	s_delay_alu instid0(SALU_CYCLE_1)
	s_and_not1_b32 vcc_lo, exec_lo, s0
	s_cbranch_vccnz .LBB66_2139
; %bb.2138:
	global_load_u8 v1, v[1:2], off
	s_waitcnt vmcnt(0)
	v_cvt_f32_ubyte0_e32 v3, v1
.LBB66_2139:
	s_mov_b32 s14, -1
.LBB66_2140:
	s_delay_alu instid0(SALU_CYCLE_1)
	s_and_not1_b32 vcc_lo, exec_lo, s14
	s_cbranch_vccnz .LBB66_2793
; %bb.2141:
	s_waitcnt vmcnt(0)
	s_delay_alu instid0(VALU_DEP_1) | instskip(SKIP_1) | instid1(VALU_DEP_1)
	v_trunc_f32_e32 v1, v3
	s_mov_b32 s14, exec_lo
	v_mul_f32_e64 v2, 0x2f800000, |v1|
	s_delay_alu instid0(VALU_DEP_1) | instskip(NEXT) | instid1(VALU_DEP_1)
	v_floor_f32_e32 v2, v2
	v_fma_f32 v4, 0xcf800000, v2, |v1|
	v_ashrrev_i32_e32 v1, 31, v1
	v_cvt_u32_f32_e32 v2, v2
	s_delay_alu instid0(VALU_DEP_3) | instskip(NEXT) | instid1(VALU_DEP_2)
	v_cvt_u32_f32_e32 v4, v4
	v_xor_b32_e32 v2, v2, v1
	s_delay_alu instid0(VALU_DEP_2) | instskip(NEXT) | instid1(VALU_DEP_1)
	v_xor_b32_e32 v4, v4, v1
	v_sub_co_u32 v12, vcc_lo, v4, v1
	s_delay_alu instid0(VALU_DEP_3) | instskip(SKIP_2) | instid1(VALU_DEP_3)
	v_sub_co_ci_u32_e32 v1, vcc_lo, v2, v1, vcc_lo
	v_cmp_class_f32_e64 vcc_lo, v3, 0x1f8
	v_mov_b32_e32 v2, 0
	v_dual_cndmask_b32 v4, -1, v1 :: v_dual_cndmask_b32 v3, -1, v12
	s_delay_alu instid0(VALU_DEP_1)
	v_cmpx_lt_i64_e32 -1, v[3:4]
	s_cbranch_execz .LBB66_2153
; %bb.2142:
	v_mov_b32_e32 v2, 1.0
	s_mov_b32 s15, exec_lo
	v_cmpx_lt_i64_e32 0, v[3:4]
	s_cbranch_execz .LBB66_2152
; %bb.2143:
                                        ; implicit-def: $vgpr2
	s_mov_b32 s0, exec_lo
	v_cmpx_ne_u64_e32 1, v[3:4]
	s_xor_b32 s16, exec_lo, s0
	s_cbranch_execz .LBB66_2149
; %bb.2144:
	v_mov_b32_e32 v2, 0x7fc00000
	s_mov_b32 s17, exec_lo
	v_cmpx_gt_u64_e32 0x81, v[3:4]
	s_cbranch_execz .LBB66_2148
; %bb.2145:
	v_add_f32_e32 v1, v11, v11
	v_lshlrev_b64 v[3:4], 1, v[3:4]
	v_mov_b32_e32 v11, 1.0
	s_mov_b64 s[0:1], 2
	s_mov_b32 s18, 0
	v_mov_b32_e32 v2, v1
.LBB66_2146:                            ; =>This Inner Loop Header: Depth=1
	s_clz_i32_u32 s19, s1
	s_delay_alu instid0(SALU_CYCLE_1) | instskip(NEXT) | instid1(SALU_CYCLE_1)
	s_min_u32 s19, s19, 32
	s_lshl_b64 s[20:21], s[0:1], s19
	s_sub_i32 s19, 32, s19
	s_min_u32 s20, s20, 1
	s_delay_alu instid0(SALU_CYCLE_1) | instskip(SKIP_3) | instid1(SALU_CYCLE_1)
	s_or_b32 s20, s21, s20
	s_add_u32 s0, s0, 2
	v_cvt_f32_u32_e32 v12, s20
	s_addc_u32 s1, s1, 0
	v_cmp_ge_u64_e32 vcc_lo, s[0:1], v[3:4]
	s_delay_alu instid0(VALU_DEP_2) | instskip(SKIP_1) | instid1(VALU_DEP_1)
	v_ldexp_f32 v12, v12, s19
	s_or_b32 s18, vcc_lo, s18
	v_dual_mul_f32 v12, v11, v12 :: v_dual_mov_b32 v11, v2
	s_delay_alu instid0(VALU_DEP_1)
	v_fma_f32 v2, v1, v2, -v12
	s_and_not1_b32 exec_lo, exec_lo, s18
	s_cbranch_execnz .LBB66_2146
; %bb.2147:
	s_or_b32 exec_lo, exec_lo, s18
.LBB66_2148:
	s_delay_alu instid0(SALU_CYCLE_1)
	s_or_b32 exec_lo, exec_lo, s17
                                        ; implicit-def: $vgpr11
.LBB66_2149:
	s_and_not1_saveexec_b32 s0, s16
; %bb.2150:
	v_add_f32_e32 v2, v11, v11
; %bb.2151:
	s_or_b32 exec_lo, exec_lo, s0
.LBB66_2152:
	s_delay_alu instid0(SALU_CYCLE_1)
	s_or_b32 exec_lo, exec_lo, s15
.LBB66_2153:
	s_delay_alu instid0(SALU_CYCLE_1) | instskip(SKIP_2) | instid1(VALU_DEP_2)
	s_or_b32 exec_lo, exec_lo, s14
	v_add_nc_u32_e32 v1, s9, v6
	v_cmp_gt_i16_e32 vcc_lo, 11, v7
	v_ashrrev_i32_e32 v4, 31, v1
	v_add_co_u32 v3, s0, s6, v1
	s_delay_alu instid0(VALU_DEP_1)
	v_add_co_ci_u32_e64 v4, s0, s7, v4, s0
	s_cbranch_vccnz .LBB66_2160
; %bb.2154:
	v_cmp_lt_i16_e32 vcc_lo, 25, v7
	s_mov_b32 s1, 0
	s_cbranch_vccz .LBB66_2161
; %bb.2155:
	v_cmp_lt_i16_e32 vcc_lo, 28, v7
	s_cbranch_vccz .LBB66_2162
; %bb.2156:
	v_cmp_lt_i16_e32 vcc_lo, 43, v7
	;; [unrolled: 3-line block ×3, first 2 shown]
	s_cbranch_vccz .LBB66_2166
; %bb.2158:
	v_cmp_eq_u16_e32 vcc_lo, 46, v7
	s_mov_b32 s15, 0
	s_cbranch_vccz .LBB66_2169
; %bb.2159:
	global_load_b32 v6, v[3:4], off
	s_mov_b32 s0, 0
	s_mov_b32 s14, -1
	s_waitcnt vmcnt(0)
	v_lshlrev_b32_e32 v12, 16, v6
	s_branch .LBB66_2171
.LBB66_2160:
	s_mov_b32 s0, -1
	s_mov_b32 s14, 0
                                        ; implicit-def: $vgpr12
	s_branch .LBB66_2237
.LBB66_2161:
	s_mov_b32 s15, -1
	s_mov_b32 s14, 0
	s_mov_b32 s0, 0
                                        ; implicit-def: $vgpr12
	s_branch .LBB66_2200
.LBB66_2162:
	s_mov_b32 s15, -1
	s_mov_b32 s14, 0
	s_mov_b32 s0, 0
                                        ; implicit-def: $vgpr12
	s_branch .LBB66_2181
.LBB66_2163:
	s_mov_b32 s15, -1
	s_mov_b32 s14, 0
	s_mov_b32 s0, 0
                                        ; implicit-def: $vgpr12
	s_branch .LBB66_2176
.LBB66_2164:
	s_cbranch_execnz .LBB66_2167
; %bb.2165:
	s_or_b32 s11, s11, exec_lo
                                        ; implicit-def: $vgpr3
	s_cbranch_execz .LBB66_2089
	s_branch .LBB66_2090
.LBB66_2166:
	s_mov_b32 s15, -1
	s_mov_b32 s14, 0
	s_mov_b32 s0, 0
	s_branch .LBB66_2170
.LBB66_2167:
	s_trap 2
	s_sendmsg_rtn_b32 s0, sendmsg(MSG_RTN_GET_DOORBELL)
	s_mov_b32 ttmp2, m0
	s_waitcnt lgkmcnt(0)
	s_and_b32 s0, s0, 0x3ff
	s_delay_alu instid0(SALU_CYCLE_1) | instskip(NEXT) | instid1(SALU_CYCLE_1)
	s_bitset1_b32 s0, 10
	s_mov_b32 m0, s0
	s_sendmsg sendmsg(MSG_INTERRUPT)
	s_mov_b32 m0, ttmp2
.LBB66_2168:                            ; =>This Inner Loop Header: Depth=1
	s_sethalt 5
	s_branch .LBB66_2168
.LBB66_2169:
	s_mov_b32 s0, -1
	s_mov_b32 s14, 0
.LBB66_2170:
                                        ; implicit-def: $vgpr12
.LBB66_2171:
	s_and_b32 vcc_lo, exec_lo, s15
	s_cbranch_vccz .LBB66_2175
; %bb.2172:
	v_cmp_eq_u16_e32 vcc_lo, 44, v7
	s_cbranch_vccz .LBB66_2174
; %bb.2173:
	global_load_u8 v6, v[3:4], off
	s_mov_b32 s0, 0
	s_mov_b32 s14, -1
	s_waitcnt vmcnt(0)
	v_lshlrev_b32_e32 v11, 23, v6
	v_cmp_ne_u32_e32 vcc_lo, 0xff, v6
	s_delay_alu instid0(VALU_DEP_2) | instskip(SKIP_1) | instid1(VALU_DEP_2)
	v_cndmask_b32_e32 v11, 0x7f800001, v11, vcc_lo
	v_cmp_ne_u32_e32 vcc_lo, 0, v6
	v_cndmask_b32_e32 v12, 0x400000, v11, vcc_lo
	s_branch .LBB66_2175
.LBB66_2174:
	s_mov_b32 s0, -1
                                        ; implicit-def: $vgpr12
.LBB66_2175:
	s_mov_b32 s15, 0
.LBB66_2176:
	s_delay_alu instid0(SALU_CYCLE_1)
	s_and_b32 vcc_lo, exec_lo, s15
	s_cbranch_vccz .LBB66_2180
; %bb.2177:
	v_cmp_eq_u16_e32 vcc_lo, 29, v7
	s_cbranch_vccz .LBB66_2179
; %bb.2178:
	global_load_b64 v[11:12], v[3:4], off
	s_mov_b32 s0, 0
	s_mov_b32 s14, -1
	s_mov_b32 s15, 0
	s_waitcnt vmcnt(0)
	v_clz_i32_u32_e32 v6, v12
	s_delay_alu instid0(VALU_DEP_1) | instskip(NEXT) | instid1(VALU_DEP_1)
	v_min_u32_e32 v6, 32, v6
	v_lshlrev_b64 v[11:12], v6, v[11:12]
	v_sub_nc_u32_e32 v6, 32, v6
	s_delay_alu instid0(VALU_DEP_2) | instskip(NEXT) | instid1(VALU_DEP_1)
	v_min_u32_e32 v11, 1, v11
	v_or_b32_e32 v11, v12, v11
	s_delay_alu instid0(VALU_DEP_1) | instskip(NEXT) | instid1(VALU_DEP_1)
	v_cvt_f32_u32_e32 v11, v11
	v_ldexp_f32 v12, v11, v6
	s_branch .LBB66_2181
.LBB66_2179:
	s_mov_b32 s0, -1
                                        ; implicit-def: $vgpr12
.LBB66_2180:
	s_mov_b32 s15, 0
.LBB66_2181:
	s_delay_alu instid0(SALU_CYCLE_1)
	s_and_b32 vcc_lo, exec_lo, s15
	s_cbranch_vccz .LBB66_2199
; %bb.2182:
	v_cmp_gt_i16_e32 vcc_lo, 27, v7
	s_cbranch_vccnz .LBB66_2185
; %bb.2183:
	v_cmp_lt_i16_e32 vcc_lo, 27, v7
	s_cbranch_vccz .LBB66_2186
; %bb.2184:
	global_load_b32 v6, v[3:4], off
	s_mov_b32 s14, 0
	s_waitcnt vmcnt(0)
	v_cvt_f32_u32_e32 v12, v6
	s_branch .LBB66_2187
.LBB66_2185:
	s_mov_b32 s14, -1
                                        ; implicit-def: $vgpr12
	s_branch .LBB66_2190
.LBB66_2186:
	s_mov_b32 s14, -1
                                        ; implicit-def: $vgpr12
.LBB66_2187:
	s_delay_alu instid0(SALU_CYCLE_1)
	s_and_not1_b32 vcc_lo, exec_lo, s14
	s_cbranch_vccnz .LBB66_2189
; %bb.2188:
	global_load_u16 v6, v[3:4], off
	s_waitcnt vmcnt(0)
	v_cvt_f32_u32_e32 v12, v6
.LBB66_2189:
	s_mov_b32 s14, 0
.LBB66_2190:
	s_delay_alu instid0(SALU_CYCLE_1)
	s_and_not1_b32 vcc_lo, exec_lo, s14
	s_cbranch_vccnz .LBB66_2198
; %bb.2191:
	global_load_u8 v6, v[3:4], off
	s_mov_b32 s14, 0
	s_mov_b32 s16, exec_lo
                                        ; implicit-def: $sgpr15
	s_waitcnt vmcnt(0)
	v_cmpx_lt_i16_e32 0x7f, v6
	s_xor_b32 s16, exec_lo, s16
	s_cbranch_execz .LBB66_2212
; %bb.2192:
	s_mov_b32 s14, -1
	s_mov_b32 s17, exec_lo
                                        ; implicit-def: $sgpr15
	v_cmpx_eq_u16_e32 0x80, v6
; %bb.2193:
	s_mov_b32 s15, 0x7f800001
	s_xor_b32 s14, exec_lo, -1
; %bb.2194:
	s_or_b32 exec_lo, exec_lo, s17
	s_delay_alu instid0(SALU_CYCLE_1)
	s_and_b32 s14, s14, exec_lo
	s_or_saveexec_b32 s16, s16
	v_mov_b32_e32 v12, s15
	s_xor_b32 exec_lo, exec_lo, s16
	s_cbranch_execnz .LBB66_2213
.LBB66_2195:
	s_or_b32 exec_lo, exec_lo, s16
	s_and_saveexec_b32 s15, s14
	s_cbranch_execz .LBB66_2197
.LBB66_2196:
	v_and_b32_e32 v11, 0xffff, v6
	v_lshlrev_b32_e32 v6, 24, v6
	s_delay_alu instid0(VALU_DEP_2) | instskip(NEXT) | instid1(VALU_DEP_2)
	v_and_b32_e32 v12, 7, v11
	v_and_b32_e32 v6, 0x80000000, v6
	s_delay_alu instid0(VALU_DEP_2) | instskip(NEXT) | instid1(VALU_DEP_1)
	v_clz_i32_u32_e32 v13, v12
	v_min_u32_e32 v13, 32, v13
	s_delay_alu instid0(VALU_DEP_1) | instskip(SKIP_1) | instid1(VALU_DEP_2)
	v_subrev_nc_u32_e32 v14, 28, v13
	v_sub_nc_u32_e32 v13, 29, v13
	v_lshlrev_b32_e32 v14, v14, v11
	v_bfe_u32 v11, v11, 3, 4
	s_delay_alu instid0(VALU_DEP_2) | instskip(NEXT) | instid1(VALU_DEP_2)
	v_and_b32_e32 v14, 7, v14
	v_cmp_eq_u32_e32 vcc_lo, 0, v11
	s_delay_alu instid0(VALU_DEP_2) | instskip(NEXT) | instid1(VALU_DEP_1)
	v_dual_cndmask_b32 v11, v11, v13 :: v_dual_cndmask_b32 v12, v12, v14
	v_lshl_add_u32 v11, v11, 23, 0x3b800000
	s_delay_alu instid0(VALU_DEP_2) | instskip(NEXT) | instid1(VALU_DEP_1)
	v_lshlrev_b32_e32 v12, 20, v12
	v_or3_b32 v12, v6, v11, v12
.LBB66_2197:
	s_or_b32 exec_lo, exec_lo, s15
.LBB66_2198:
	s_mov_b32 s14, -1
.LBB66_2199:
	s_mov_b32 s15, 0
.LBB66_2200:
	s_delay_alu instid0(SALU_CYCLE_1)
	s_and_b32 vcc_lo, exec_lo, s15
	s_cbranch_vccz .LBB66_2233
; %bb.2201:
	v_cmp_lt_i16_e32 vcc_lo, 22, v7
	s_cbranch_vccz .LBB66_2211
; %bb.2202:
	v_cmp_gt_i16_e32 vcc_lo, 24, v7
	s_cbranch_vccnz .LBB66_2214
; %bb.2203:
	v_cmp_lt_i16_e32 vcc_lo, 24, v7
	s_cbranch_vccz .LBB66_2215
; %bb.2204:
	global_load_u8 v6, v[3:4], off
	s_mov_b32 s15, exec_lo
                                        ; implicit-def: $sgpr14
	s_waitcnt vmcnt(0)
	v_cmpx_lt_i16_e32 0x7f, v6
	s_xor_b32 s15, exec_lo, s15
	s_cbranch_execz .LBB66_2227
; %bb.2205:
	s_mov_b32 s1, -1
	s_mov_b32 s16, exec_lo
                                        ; implicit-def: $sgpr14
	v_cmpx_eq_u16_e32 0x80, v6
; %bb.2206:
	s_mov_b32 s14, 0x7f800001
	s_xor_b32 s1, exec_lo, -1
; %bb.2207:
	s_or_b32 exec_lo, exec_lo, s16
	s_delay_alu instid0(SALU_CYCLE_1)
	s_and_b32 s1, s1, exec_lo
	s_or_saveexec_b32 s15, s15
	v_mov_b32_e32 v12, s14
	s_xor_b32 exec_lo, exec_lo, s15
	s_cbranch_execnz .LBB66_2228
.LBB66_2208:
	s_or_b32 exec_lo, exec_lo, s15
	s_and_saveexec_b32 s14, s1
	s_cbranch_execz .LBB66_2210
.LBB66_2209:
	v_and_b32_e32 v11, 0xffff, v6
	v_lshlrev_b32_e32 v6, 24, v6
	s_delay_alu instid0(VALU_DEP_2) | instskip(NEXT) | instid1(VALU_DEP_2)
	v_and_b32_e32 v12, 3, v11
	v_and_b32_e32 v6, 0x80000000, v6
	s_delay_alu instid0(VALU_DEP_2) | instskip(NEXT) | instid1(VALU_DEP_1)
	v_clz_i32_u32_e32 v13, v12
	v_min_u32_e32 v13, 32, v13
	s_delay_alu instid0(VALU_DEP_1) | instskip(SKIP_1) | instid1(VALU_DEP_2)
	v_subrev_nc_u32_e32 v14, 29, v13
	v_sub_nc_u32_e32 v13, 30, v13
	v_lshlrev_b32_e32 v14, v14, v11
	v_bfe_u32 v11, v11, 2, 5
	s_delay_alu instid0(VALU_DEP_2) | instskip(NEXT) | instid1(VALU_DEP_2)
	v_and_b32_e32 v14, 3, v14
	v_cmp_eq_u32_e32 vcc_lo, 0, v11
	s_delay_alu instid0(VALU_DEP_2) | instskip(NEXT) | instid1(VALU_DEP_1)
	v_dual_cndmask_b32 v11, v11, v13 :: v_dual_cndmask_b32 v12, v12, v14
	v_lshl_add_u32 v11, v11, 23, 0x37800000
	s_delay_alu instid0(VALU_DEP_2) | instskip(NEXT) | instid1(VALU_DEP_1)
	v_lshlrev_b32_e32 v12, 21, v12
	v_or3_b32 v12, v6, v11, v12
.LBB66_2210:
	s_or_b32 exec_lo, exec_lo, s14
	s_mov_b32 s1, 0
	s_branch .LBB66_2216
.LBB66_2211:
	s_mov_b32 s1, -1
                                        ; implicit-def: $vgpr12
	s_branch .LBB66_2222
.LBB66_2212:
	s_or_saveexec_b32 s16, s16
	v_mov_b32_e32 v12, s15
	s_xor_b32 exec_lo, exec_lo, s16
	s_cbranch_execz .LBB66_2195
.LBB66_2213:
	v_cmp_ne_u16_e32 vcc_lo, 0, v6
	v_mov_b32_e32 v12, 0
	s_and_not1_b32 s14, s14, exec_lo
	s_and_b32 s15, vcc_lo, exec_lo
	s_delay_alu instid0(SALU_CYCLE_1)
	s_or_b32 s14, s14, s15
	s_or_b32 exec_lo, exec_lo, s16
	s_and_saveexec_b32 s15, s14
	s_cbranch_execnz .LBB66_2196
	s_branch .LBB66_2197
.LBB66_2214:
	s_mov_b32 s1, -1
                                        ; implicit-def: $vgpr12
	s_branch .LBB66_2219
.LBB66_2215:
	s_mov_b32 s1, -1
                                        ; implicit-def: $vgpr12
.LBB66_2216:
	s_delay_alu instid0(SALU_CYCLE_1)
	s_and_b32 vcc_lo, exec_lo, s1
	s_cbranch_vccz .LBB66_2218
; %bb.2217:
	global_load_u8 v6, v[3:4], off
	s_waitcnt vmcnt(0)
	v_lshlrev_b32_e32 v6, 24, v6
	s_delay_alu instid0(VALU_DEP_1) | instskip(NEXT) | instid1(VALU_DEP_1)
	v_and_b32_e32 v11, 0x7f000000, v6
	v_clz_i32_u32_e32 v12, v11
	v_add_nc_u32_e32 v14, 0x1000000, v11
	v_cmp_ne_u32_e32 vcc_lo, 0, v11
	s_delay_alu instid0(VALU_DEP_3) | instskip(NEXT) | instid1(VALU_DEP_1)
	v_min_u32_e32 v12, 32, v12
	v_sub_nc_u32_e64 v12, v12, 4 clamp
	s_delay_alu instid0(VALU_DEP_1) | instskip(SKIP_1) | instid1(VALU_DEP_2)
	v_lshlrev_b32_e32 v13, v12, v11
	v_lshlrev_b32_e32 v12, 23, v12
	v_lshrrev_b32_e32 v13, 4, v13
	s_delay_alu instid0(VALU_DEP_1) | instskip(SKIP_1) | instid1(VALU_DEP_2)
	v_sub_nc_u32_e32 v12, v13, v12
	v_ashrrev_i32_e32 v13, 8, v14
	v_add_nc_u32_e32 v12, 0x3c000000, v12
	s_delay_alu instid0(VALU_DEP_1) | instskip(NEXT) | instid1(VALU_DEP_1)
	v_and_or_b32 v12, 0x7f800000, v13, v12
	v_cndmask_b32_e32 v11, 0, v12, vcc_lo
	s_delay_alu instid0(VALU_DEP_1)
	v_and_or_b32 v12, 0x80000000, v6, v11
.LBB66_2218:
	s_mov_b32 s1, 0
.LBB66_2219:
	s_delay_alu instid0(SALU_CYCLE_1)
	s_and_not1_b32 vcc_lo, exec_lo, s1
	s_cbranch_vccnz .LBB66_2221
; %bb.2220:
	global_load_u8 v6, v[3:4], off
	s_waitcnt vmcnt(0)
	v_lshlrev_b32_e32 v11, 25, v6
	v_lshlrev_b16 v6, 8, v6
	s_delay_alu instid0(VALU_DEP_2) | instskip(NEXT) | instid1(VALU_DEP_2)
	v_lshrrev_b32_e32 v12, 4, v11
	v_and_or_b32 v13, 0x7f00, v6, 0.5
	v_bfe_i32 v6, v6, 0, 16
	s_delay_alu instid0(VALU_DEP_3) | instskip(NEXT) | instid1(VALU_DEP_1)
	v_or_b32_e32 v12, 0x70000000, v12
	v_dual_add_f32 v13, -0.5, v13 :: v_dual_mul_f32 v12, 0x7800000, v12
	v_cmp_gt_u32_e32 vcc_lo, 0x8000000, v11
	s_delay_alu instid0(VALU_DEP_2) | instskip(NEXT) | instid1(VALU_DEP_1)
	v_cndmask_b32_e32 v11, v12, v13, vcc_lo
	v_and_or_b32 v12, 0x80000000, v6, v11
.LBB66_2221:
	s_mov_b32 s1, 0
	s_mov_b32 s14, -1
.LBB66_2222:
	s_and_not1_b32 vcc_lo, exec_lo, s1
	s_mov_b32 s1, 0
	s_cbranch_vccnz .LBB66_2233
; %bb.2223:
	v_cmp_lt_i16_e32 vcc_lo, 14, v7
	s_cbranch_vccz .LBB66_2226
; %bb.2224:
	v_cmp_eq_u16_e32 vcc_lo, 15, v7
	s_cbranch_vccz .LBB66_2229
; %bb.2225:
	global_load_u16 v6, v[3:4], off
	s_mov_b32 s0, 0
	s_mov_b32 s14, -1
	s_waitcnt vmcnt(0)
	v_lshlrev_b32_e32 v12, 16, v6
	s_branch .LBB66_2231
.LBB66_2226:
	s_mov_b32 s1, -1
	s_branch .LBB66_2230
.LBB66_2227:
	s_or_saveexec_b32 s15, s15
	v_mov_b32_e32 v12, s14
	s_xor_b32 exec_lo, exec_lo, s15
	s_cbranch_execz .LBB66_2208
.LBB66_2228:
	v_cmp_ne_u16_e32 vcc_lo, 0, v6
	v_mov_b32_e32 v12, 0
	s_and_not1_b32 s1, s1, exec_lo
	s_and_b32 s14, vcc_lo, exec_lo
	s_delay_alu instid0(SALU_CYCLE_1)
	s_or_b32 s1, s1, s14
	s_or_b32 exec_lo, exec_lo, s15
	s_and_saveexec_b32 s14, s1
	s_cbranch_execnz .LBB66_2209
	s_branch .LBB66_2210
.LBB66_2229:
	s_mov_b32 s0, -1
.LBB66_2230:
                                        ; implicit-def: $vgpr12
.LBB66_2231:
	s_and_b32 vcc_lo, exec_lo, s1
	s_mov_b32 s1, 0
	s_cbranch_vccz .LBB66_2233
; %bb.2232:
	v_cmp_ne_u16_e64 s0, 11, v7
	s_mov_b32 s1, -1
                                        ; implicit-def: $vgpr12
.LBB66_2233:
	s_delay_alu instid0(VALU_DEP_1)
	s_and_b32 vcc_lo, exec_lo, s0
	s_cbranch_vccnz .LBB66_2298
; %bb.2234:
	s_and_not1_b32 vcc_lo, exec_lo, s1
	s_cbranch_vccnz .LBB66_2236
.LBB66_2235:
	global_load_u8 v6, v[3:4], off
	s_mov_b32 s14, -1
	s_waitcnt vmcnt(0)
	v_cmp_ne_u16_e32 vcc_lo, 0, v6
	v_cndmask_b32_e64 v12, 0, 1.0, vcc_lo
.LBB66_2236:
	s_mov_b32 s0, 0
.LBB66_2237:
	s_delay_alu instid0(SALU_CYCLE_1)
	s_and_b32 vcc_lo, exec_lo, s0
	s_cbranch_vccz .LBB66_2286
; %bb.2238:
	v_cmp_gt_i16_e32 vcc_lo, 5, v7
	s_cbranch_vccnz .LBB66_2243
; %bb.2239:
	v_cmp_gt_i16_e32 vcc_lo, 8, v7
	s_cbranch_vccnz .LBB66_2244
	;; [unrolled: 3-line block ×3, first 2 shown]
; %bb.2241:
	v_cmp_lt_i16_e32 vcc_lo, 9, v7
	s_cbranch_vccz .LBB66_2246
; %bb.2242:
	global_load_b64 v[11:12], v[3:4], off
	s_mov_b32 s0, 0
	s_waitcnt vmcnt(0)
	v_cvt_f32_f64_e32 v12, v[11:12]
	s_branch .LBB66_2247
.LBB66_2243:
	s_mov_b32 s0, -1
                                        ; implicit-def: $vgpr12
	s_branch .LBB66_2265
.LBB66_2244:
	s_mov_b32 s0, -1
                                        ; implicit-def: $vgpr12
	s_branch .LBB66_2253
.LBB66_2245:
	s_mov_b32 s0, -1
                                        ; implicit-def: $vgpr12
	s_branch .LBB66_2250
.LBB66_2246:
	s_mov_b32 s0, -1
                                        ; implicit-def: $vgpr12
.LBB66_2247:
	s_delay_alu instid0(SALU_CYCLE_1)
	s_and_not1_b32 vcc_lo, exec_lo, s0
	s_cbranch_vccnz .LBB66_2249
; %bb.2248:
	global_load_b32 v12, v[3:4], off
.LBB66_2249:
	s_mov_b32 s0, 0
.LBB66_2250:
	s_delay_alu instid0(SALU_CYCLE_1)
	s_and_not1_b32 vcc_lo, exec_lo, s0
	s_cbranch_vccnz .LBB66_2252
; %bb.2251:
	global_load_b32 v6, v[3:4], off
	s_waitcnt vmcnt(0)
	v_cvt_f32_f16_e32 v12, v6
.LBB66_2252:
	s_mov_b32 s0, 0
.LBB66_2253:
	s_delay_alu instid0(SALU_CYCLE_1)
	s_and_not1_b32 vcc_lo, exec_lo, s0
	s_cbranch_vccnz .LBB66_2264
; %bb.2254:
	v_cmp_gt_i16_e32 vcc_lo, 6, v7
	s_cbranch_vccnz .LBB66_2257
; %bb.2255:
	v_cmp_lt_i16_e32 vcc_lo, 6, v7
	s_cbranch_vccz .LBB66_2258
; %bb.2256:
	global_load_b64 v[11:12], v[3:4], off
	s_mov_b32 s0, 0
	s_waitcnt vmcnt(0)
	v_cvt_f32_f64_e32 v12, v[11:12]
	s_branch .LBB66_2259
.LBB66_2257:
	s_mov_b32 s0, -1
                                        ; implicit-def: $vgpr12
	s_branch .LBB66_2262
.LBB66_2258:
	s_mov_b32 s0, -1
                                        ; implicit-def: $vgpr12
.LBB66_2259:
	s_delay_alu instid0(SALU_CYCLE_1)
	s_and_not1_b32 vcc_lo, exec_lo, s0
	s_cbranch_vccnz .LBB66_2261
; %bb.2260:
	global_load_b32 v12, v[3:4], off
.LBB66_2261:
	s_mov_b32 s0, 0
.LBB66_2262:
	s_delay_alu instid0(SALU_CYCLE_1)
	s_and_not1_b32 vcc_lo, exec_lo, s0
	s_cbranch_vccnz .LBB66_2264
; %bb.2263:
	global_load_u16 v6, v[3:4], off
	s_waitcnt vmcnt(0)
	v_cvt_f32_f16_e32 v12, v6
.LBB66_2264:
	s_mov_b32 s0, 0
.LBB66_2265:
	s_delay_alu instid0(SALU_CYCLE_1)
	s_and_not1_b32 vcc_lo, exec_lo, s0
	s_cbranch_vccnz .LBB66_2285
; %bb.2266:
	v_cmp_gt_i16_e32 vcc_lo, 2, v7
	s_cbranch_vccnz .LBB66_2270
; %bb.2267:
	v_cmp_gt_i16_e32 vcc_lo, 3, v7
	s_cbranch_vccnz .LBB66_2271
; %bb.2268:
	v_cmp_lt_i16_e32 vcc_lo, 3, v7
	s_cbranch_vccz .LBB66_2272
; %bb.2269:
	global_load_b64 v[11:12], v[3:4], off
	s_mov_b32 s0, 0
	s_waitcnt vmcnt(0)
	v_xor_b32_e32 v6, v11, v12
	v_cls_i32_e32 v13, v12
	s_delay_alu instid0(VALU_DEP_2) | instskip(NEXT) | instid1(VALU_DEP_2)
	v_ashrrev_i32_e32 v6, 31, v6
	v_add_nc_u32_e32 v13, -1, v13
	s_delay_alu instid0(VALU_DEP_2) | instskip(NEXT) | instid1(VALU_DEP_1)
	v_add_nc_u32_e32 v6, 32, v6
	v_min_u32_e32 v6, v13, v6
	s_delay_alu instid0(VALU_DEP_1) | instskip(SKIP_1) | instid1(VALU_DEP_2)
	v_lshlrev_b64 v[11:12], v6, v[11:12]
	v_sub_nc_u32_e32 v6, 32, v6
	v_min_u32_e32 v11, 1, v11
	s_delay_alu instid0(VALU_DEP_1) | instskip(NEXT) | instid1(VALU_DEP_1)
	v_or_b32_e32 v11, v12, v11
	v_cvt_f32_i32_e32 v11, v11
	s_delay_alu instid0(VALU_DEP_1)
	v_ldexp_f32 v12, v11, v6
	s_branch .LBB66_2273
.LBB66_2270:
	s_mov_b32 s0, -1
                                        ; implicit-def: $vgpr12
	s_branch .LBB66_2279
.LBB66_2271:
	s_mov_b32 s0, -1
                                        ; implicit-def: $vgpr12
	s_branch .LBB66_2276
.LBB66_2272:
	s_mov_b32 s0, -1
                                        ; implicit-def: $vgpr12
.LBB66_2273:
	s_delay_alu instid0(SALU_CYCLE_1)
	s_and_not1_b32 vcc_lo, exec_lo, s0
	s_cbranch_vccnz .LBB66_2275
; %bb.2274:
	global_load_b32 v6, v[3:4], off
	s_waitcnt vmcnt(0)
	v_cvt_f32_i32_e32 v12, v6
.LBB66_2275:
	s_mov_b32 s0, 0
.LBB66_2276:
	s_delay_alu instid0(SALU_CYCLE_1)
	s_and_not1_b32 vcc_lo, exec_lo, s0
	s_cbranch_vccnz .LBB66_2278
; %bb.2277:
	global_load_i16 v6, v[3:4], off
	s_waitcnt vmcnt(0)
	v_cvt_f32_i32_e32 v12, v6
.LBB66_2278:
	s_mov_b32 s0, 0
.LBB66_2279:
	s_delay_alu instid0(SALU_CYCLE_1)
	s_and_not1_b32 vcc_lo, exec_lo, s0
	s_cbranch_vccnz .LBB66_2285
; %bb.2280:
	v_cmp_lt_i16_e32 vcc_lo, 0, v7
	s_mov_b32 s0, 0
	s_cbranch_vccz .LBB66_2282
; %bb.2281:
	global_load_i8 v6, v[3:4], off
	s_waitcnt vmcnt(0)
	v_cvt_f32_i32_e32 v12, v6
	s_branch .LBB66_2283
.LBB66_2282:
	s_mov_b32 s0, -1
                                        ; implicit-def: $vgpr12
.LBB66_2283:
	s_delay_alu instid0(SALU_CYCLE_1)
	s_and_not1_b32 vcc_lo, exec_lo, s0
	s_cbranch_vccnz .LBB66_2285
; %bb.2284:
	global_load_u8 v3, v[3:4], off
	s_waitcnt vmcnt(0)
	v_cvt_f32_ubyte0_e32 v12, v3
.LBB66_2285:
	s_mov_b32 s14, -1
.LBB66_2286:
	s_delay_alu instid0(SALU_CYCLE_1)
	s_and_not1_b32 vcc_lo, exec_lo, s14
	s_cbranch_vccnz .LBB66_2793
; %bb.2287:
	v_add_nc_u32_e32 v11, s10, v5
	v_cmp_gt_i16_e32 vcc_lo, 11, v8
	s_delay_alu instid0(VALU_DEP_2) | instskip(SKIP_1) | instid1(VALU_DEP_1)
	v_ashrrev_i32_e32 v4, 31, v11
	v_add_co_u32 v3, s0, s2, v11
	v_add_co_ci_u32_e64 v4, s0, s3, v4, s0
	s_cbranch_vccnz .LBB66_2294
; %bb.2288:
	v_cmp_lt_i16_e32 vcc_lo, 25, v8
	s_mov_b32 s1, 0
	s_cbranch_vccz .LBB66_2295
; %bb.2289:
	v_cmp_lt_i16_e32 vcc_lo, 28, v8
	s_cbranch_vccz .LBB66_2296
; %bb.2290:
	v_cmp_lt_i16_e32 vcc_lo, 43, v8
	;; [unrolled: 3-line block ×3, first 2 shown]
	s_cbranch_vccz .LBB66_2300
; %bb.2292:
	v_cmp_eq_u16_e32 vcc_lo, 46, v8
	s_mov_b32 s15, 0
	s_cbranch_vccz .LBB66_2305
; %bb.2293:
	global_load_b32 v5, v[3:4], off
	s_mov_b32 s0, 0
	s_mov_b32 s14, -1
	s_waitcnt vmcnt(0)
	v_lshlrev_b32_e32 v5, 16, v5
	s_branch .LBB66_2307
.LBB66_2294:
	s_mov_b32 s0, -1
	s_mov_b32 s14, 0
                                        ; implicit-def: $vgpr5
	s_branch .LBB66_2373
.LBB66_2295:
	s_mov_b32 s15, -1
	s_mov_b32 s14, 0
	s_mov_b32 s0, 0
                                        ; implicit-def: $vgpr5
	s_branch .LBB66_2336
.LBB66_2296:
	s_mov_b32 s15, -1
	s_mov_b32 s14, 0
	s_mov_b32 s0, 0
                                        ; implicit-def: $vgpr5
	s_branch .LBB66_2317
.LBB66_2297:
	s_mov_b32 s15, -1
	s_mov_b32 s14, 0
	s_mov_b32 s0, 0
                                        ; implicit-def: $vgpr5
	s_branch .LBB66_2312
.LBB66_2298:
	s_cbranch_execnz .LBB66_2301
; %bb.2299:
	s_or_b32 s11, s11, exec_lo
                                        ; implicit-def: $vgpr12
	s_cbranch_execz .LBB66_2235
	s_branch .LBB66_2236
.LBB66_2300:
	s_mov_b32 s15, -1
	s_mov_b32 s14, 0
	s_mov_b32 s0, 0
	s_branch .LBB66_2306
.LBB66_2301:
	s_trap 2
	s_sendmsg_rtn_b32 s0, sendmsg(MSG_RTN_GET_DOORBELL)
	s_mov_b32 ttmp2, m0
	s_waitcnt lgkmcnt(0)
	s_and_b32 s0, s0, 0x3ff
	s_delay_alu instid0(SALU_CYCLE_1) | instskip(NEXT) | instid1(SALU_CYCLE_1)
	s_bitset1_b32 s0, 10
	s_mov_b32 m0, s0
	s_sendmsg sendmsg(MSG_INTERRUPT)
	s_mov_b32 m0, ttmp2
.LBB66_2302:                            ; =>This Inner Loop Header: Depth=1
	s_sethalt 5
	s_branch .LBB66_2302
.LBB66_2303:
	s_or_saveexec_b32 s26, s26
                                        ; implicit-def: $sgpr27
	s_delay_alu instid0(SALU_CYCLE_1)
	s_xor_b32 exec_lo, exec_lo, s26
	s_cbranch_execz .LBB66_1119
.LBB66_2304:
	v_add_f32_e64 v1, 0x42800000, |v0|
	s_and_not1_b32 s25, s25, exec_lo
	s_mov_b32 s27, 0
	s_delay_alu instid0(VALU_DEP_1) | instskip(NEXT) | instid1(VALU_DEP_1)
	v_and_b32_e32 v1, 0xff, v1
	v_cmp_ne_u32_e32 vcc_lo, 0, v1
	s_and_b32 s28, vcc_lo, exec_lo
	s_delay_alu instid0(SALU_CYCLE_1)
	s_or_b32 s25, s25, s28
	s_or_b32 exec_lo, exec_lo, s26
	v_mov_b32_e32 v7, s27
	s_and_saveexec_b32 s26, s25
	s_cbranch_execnz .LBB66_1120
	s_branch .LBB66_1121
.LBB66_2305:
	s_mov_b32 s0, -1
	s_mov_b32 s14, 0
.LBB66_2306:
                                        ; implicit-def: $vgpr5
.LBB66_2307:
	s_and_b32 vcc_lo, exec_lo, s15
	s_cbranch_vccz .LBB66_2311
; %bb.2308:
	v_cmp_eq_u16_e32 vcc_lo, 44, v8
	s_cbranch_vccz .LBB66_2310
; %bb.2309:
	global_load_u8 v5, v[3:4], off
	s_mov_b32 s0, 0
	s_mov_b32 s14, -1
	s_waitcnt vmcnt(0)
	v_lshlrev_b32_e32 v6, 23, v5
	v_cmp_ne_u32_e32 vcc_lo, 0xff, v5
	s_delay_alu instid0(VALU_DEP_2) | instskip(SKIP_1) | instid1(VALU_DEP_2)
	v_cndmask_b32_e32 v6, 0x7f800001, v6, vcc_lo
	v_cmp_ne_u32_e32 vcc_lo, 0, v5
	v_cndmask_b32_e32 v5, 0x400000, v6, vcc_lo
	s_branch .LBB66_2311
.LBB66_2310:
	s_mov_b32 s0, -1
                                        ; implicit-def: $vgpr5
.LBB66_2311:
	s_mov_b32 s15, 0
.LBB66_2312:
	s_delay_alu instid0(SALU_CYCLE_1)
	s_and_b32 vcc_lo, exec_lo, s15
	s_cbranch_vccz .LBB66_2316
; %bb.2313:
	v_cmp_eq_u16_e32 vcc_lo, 29, v8
	s_cbranch_vccz .LBB66_2315
; %bb.2314:
	global_load_b64 v[5:6], v[3:4], off
	s_mov_b32 s0, 0
	s_mov_b32 s14, -1
	s_mov_b32 s15, 0
	s_waitcnt vmcnt(0)
	v_clz_i32_u32_e32 v13, v6
	s_delay_alu instid0(VALU_DEP_1) | instskip(NEXT) | instid1(VALU_DEP_1)
	v_min_u32_e32 v13, 32, v13
	v_lshlrev_b64 v[5:6], v13, v[5:6]
	s_delay_alu instid0(VALU_DEP_1) | instskip(NEXT) | instid1(VALU_DEP_1)
	v_min_u32_e32 v5, 1, v5
	v_or_b32_e32 v5, v6, v5
	v_sub_nc_u32_e32 v6, 32, v13
	s_delay_alu instid0(VALU_DEP_2) | instskip(NEXT) | instid1(VALU_DEP_1)
	v_cvt_f32_u32_e32 v5, v5
	v_ldexp_f32 v5, v5, v6
	s_branch .LBB66_2317
.LBB66_2315:
	s_mov_b32 s0, -1
                                        ; implicit-def: $vgpr5
.LBB66_2316:
	s_mov_b32 s15, 0
.LBB66_2317:
	s_delay_alu instid0(SALU_CYCLE_1)
	s_and_b32 vcc_lo, exec_lo, s15
	s_cbranch_vccz .LBB66_2335
; %bb.2318:
	v_cmp_gt_i16_e32 vcc_lo, 27, v8
	s_cbranch_vccnz .LBB66_2321
; %bb.2319:
	v_cmp_lt_i16_e32 vcc_lo, 27, v8
	s_cbranch_vccz .LBB66_2322
; %bb.2320:
	global_load_b32 v5, v[3:4], off
	s_mov_b32 s14, 0
	s_waitcnt vmcnt(0)
	v_cvt_f32_u32_e32 v5, v5
	s_branch .LBB66_2323
.LBB66_2321:
	s_mov_b32 s14, -1
                                        ; implicit-def: $vgpr5
	s_branch .LBB66_2326
.LBB66_2322:
	s_mov_b32 s14, -1
                                        ; implicit-def: $vgpr5
.LBB66_2323:
	s_delay_alu instid0(SALU_CYCLE_1)
	s_and_not1_b32 vcc_lo, exec_lo, s14
	s_cbranch_vccnz .LBB66_2325
; %bb.2324:
	global_load_u16 v5, v[3:4], off
	s_waitcnt vmcnt(0)
	v_cvt_f32_u32_e32 v5, v5
.LBB66_2325:
	s_mov_b32 s14, 0
.LBB66_2326:
	s_delay_alu instid0(SALU_CYCLE_1)
	s_and_not1_b32 vcc_lo, exec_lo, s14
	s_cbranch_vccnz .LBB66_2334
; %bb.2327:
	global_load_u8 v6, v[3:4], off
	s_mov_b32 s14, 0
	s_mov_b32 s16, exec_lo
                                        ; implicit-def: $sgpr15
	s_waitcnt vmcnt(0)
	v_cmpx_lt_i16_e32 0x7f, v6
	s_xor_b32 s16, exec_lo, s16
	s_cbranch_execz .LBB66_2348
; %bb.2328:
	s_mov_b32 s14, -1
	s_mov_b32 s17, exec_lo
                                        ; implicit-def: $sgpr15
	v_cmpx_eq_u16_e32 0x80, v6
; %bb.2329:
	s_mov_b32 s15, 0x7f800001
	s_xor_b32 s14, exec_lo, -1
; %bb.2330:
	s_or_b32 exec_lo, exec_lo, s17
	s_delay_alu instid0(SALU_CYCLE_1)
	s_and_b32 s14, s14, exec_lo
	s_or_saveexec_b32 s16, s16
	v_mov_b32_e32 v5, s15
	s_xor_b32 exec_lo, exec_lo, s16
	s_cbranch_execnz .LBB66_2349
.LBB66_2331:
	s_or_b32 exec_lo, exec_lo, s16
	s_and_saveexec_b32 s15, s14
	s_cbranch_execz .LBB66_2333
.LBB66_2332:
	v_and_b32_e32 v5, 0xffff, v6
	s_delay_alu instid0(VALU_DEP_1) | instskip(NEXT) | instid1(VALU_DEP_1)
	v_and_b32_e32 v13, 7, v5
	v_clz_i32_u32_e32 v14, v13
	s_delay_alu instid0(VALU_DEP_1) | instskip(NEXT) | instid1(VALU_DEP_1)
	v_min_u32_e32 v14, 32, v14
	v_subrev_nc_u32_e32 v15, 28, v14
	v_sub_nc_u32_e32 v14, 29, v14
	s_delay_alu instid0(VALU_DEP_2) | instskip(SKIP_1) | instid1(VALU_DEP_2)
	v_lshlrev_b32_e32 v15, v15, v5
	v_bfe_u32 v5, v5, 3, 4
	v_and_b32_e32 v15, 7, v15
	s_delay_alu instid0(VALU_DEP_2) | instskip(NEXT) | instid1(VALU_DEP_2)
	v_cmp_eq_u32_e32 vcc_lo, 0, v5
	v_dual_cndmask_b32 v13, v13, v15 :: v_dual_lshlrev_b32 v6, 24, v6
	v_cndmask_b32_e32 v5, v5, v14, vcc_lo
	s_delay_alu instid0(VALU_DEP_2) | instskip(NEXT) | instid1(VALU_DEP_3)
	v_and_b32_e32 v6, 0x80000000, v6
	v_lshlrev_b32_e32 v13, 20, v13
	s_delay_alu instid0(VALU_DEP_3) | instskip(NEXT) | instid1(VALU_DEP_1)
	v_lshl_add_u32 v5, v5, 23, 0x3b800000
	v_or3_b32 v5, v6, v5, v13
.LBB66_2333:
	s_or_b32 exec_lo, exec_lo, s15
.LBB66_2334:
	s_mov_b32 s14, -1
.LBB66_2335:
	s_mov_b32 s15, 0
.LBB66_2336:
	s_delay_alu instid0(SALU_CYCLE_1)
	s_and_b32 vcc_lo, exec_lo, s15
	s_cbranch_vccz .LBB66_2369
; %bb.2337:
	v_cmp_lt_i16_e32 vcc_lo, 22, v8
	s_cbranch_vccz .LBB66_2347
; %bb.2338:
	v_cmp_gt_i16_e32 vcc_lo, 24, v8
	s_cbranch_vccnz .LBB66_2350
; %bb.2339:
	v_cmp_lt_i16_e32 vcc_lo, 24, v8
	s_cbranch_vccz .LBB66_2351
; %bb.2340:
	global_load_u8 v6, v[3:4], off
	s_mov_b32 s15, exec_lo
                                        ; implicit-def: $sgpr14
	s_waitcnt vmcnt(0)
	v_cmpx_lt_i16_e32 0x7f, v6
	s_xor_b32 s15, exec_lo, s15
	s_cbranch_execz .LBB66_2363
; %bb.2341:
	s_mov_b32 s1, -1
	s_mov_b32 s16, exec_lo
                                        ; implicit-def: $sgpr14
	v_cmpx_eq_u16_e32 0x80, v6
; %bb.2342:
	s_mov_b32 s14, 0x7f800001
	s_xor_b32 s1, exec_lo, -1
; %bb.2343:
	s_or_b32 exec_lo, exec_lo, s16
	s_delay_alu instid0(SALU_CYCLE_1)
	s_and_b32 s1, s1, exec_lo
	s_or_saveexec_b32 s15, s15
	v_mov_b32_e32 v5, s14
	s_xor_b32 exec_lo, exec_lo, s15
	s_cbranch_execnz .LBB66_2364
.LBB66_2344:
	s_or_b32 exec_lo, exec_lo, s15
	s_and_saveexec_b32 s14, s1
	s_cbranch_execz .LBB66_2346
.LBB66_2345:
	v_and_b32_e32 v5, 0xffff, v6
	s_delay_alu instid0(VALU_DEP_1) | instskip(NEXT) | instid1(VALU_DEP_1)
	v_and_b32_e32 v13, 3, v5
	v_clz_i32_u32_e32 v14, v13
	s_delay_alu instid0(VALU_DEP_1) | instskip(NEXT) | instid1(VALU_DEP_1)
	v_min_u32_e32 v14, 32, v14
	v_subrev_nc_u32_e32 v15, 29, v14
	v_sub_nc_u32_e32 v14, 30, v14
	s_delay_alu instid0(VALU_DEP_2) | instskip(SKIP_1) | instid1(VALU_DEP_2)
	v_lshlrev_b32_e32 v15, v15, v5
	v_bfe_u32 v5, v5, 2, 5
	v_and_b32_e32 v15, 3, v15
	s_delay_alu instid0(VALU_DEP_2) | instskip(NEXT) | instid1(VALU_DEP_2)
	v_cmp_eq_u32_e32 vcc_lo, 0, v5
	v_dual_cndmask_b32 v13, v13, v15 :: v_dual_lshlrev_b32 v6, 24, v6
	v_cndmask_b32_e32 v5, v5, v14, vcc_lo
	s_delay_alu instid0(VALU_DEP_2) | instskip(NEXT) | instid1(VALU_DEP_3)
	v_and_b32_e32 v6, 0x80000000, v6
	v_lshlrev_b32_e32 v13, 21, v13
	s_delay_alu instid0(VALU_DEP_3) | instskip(NEXT) | instid1(VALU_DEP_1)
	v_lshl_add_u32 v5, v5, 23, 0x37800000
	v_or3_b32 v5, v6, v5, v13
.LBB66_2346:
	s_or_b32 exec_lo, exec_lo, s14
	s_mov_b32 s1, 0
	s_branch .LBB66_2352
.LBB66_2347:
	s_mov_b32 s1, -1
                                        ; implicit-def: $vgpr5
	s_branch .LBB66_2358
.LBB66_2348:
	s_or_saveexec_b32 s16, s16
	v_mov_b32_e32 v5, s15
	s_xor_b32 exec_lo, exec_lo, s16
	s_cbranch_execz .LBB66_2331
.LBB66_2349:
	v_cmp_ne_u16_e32 vcc_lo, 0, v6
	v_mov_b32_e32 v5, 0
	s_and_not1_b32 s14, s14, exec_lo
	s_and_b32 s15, vcc_lo, exec_lo
	s_delay_alu instid0(SALU_CYCLE_1)
	s_or_b32 s14, s14, s15
	s_or_b32 exec_lo, exec_lo, s16
	s_and_saveexec_b32 s15, s14
	s_cbranch_execnz .LBB66_2332
	s_branch .LBB66_2333
.LBB66_2350:
	s_mov_b32 s1, -1
                                        ; implicit-def: $vgpr5
	s_branch .LBB66_2355
.LBB66_2351:
	s_mov_b32 s1, -1
                                        ; implicit-def: $vgpr5
.LBB66_2352:
	s_delay_alu instid0(SALU_CYCLE_1)
	s_and_b32 vcc_lo, exec_lo, s1
	s_cbranch_vccz .LBB66_2354
; %bb.2353:
	global_load_u8 v5, v[3:4], off
	s_waitcnt vmcnt(0)
	v_lshlrev_b32_e32 v5, 24, v5
	s_delay_alu instid0(VALU_DEP_1) | instskip(NEXT) | instid1(VALU_DEP_1)
	v_and_b32_e32 v6, 0x7f000000, v5
	v_clz_i32_u32_e32 v13, v6
	v_cmp_ne_u32_e32 vcc_lo, 0, v6
	v_add_nc_u32_e32 v15, 0x1000000, v6
	s_delay_alu instid0(VALU_DEP_3) | instskip(NEXT) | instid1(VALU_DEP_1)
	v_min_u32_e32 v13, 32, v13
	v_sub_nc_u32_e64 v13, v13, 4 clamp
	s_delay_alu instid0(VALU_DEP_1) | instskip(SKIP_1) | instid1(VALU_DEP_2)
	v_lshlrev_b32_e32 v14, v13, v6
	v_lshlrev_b32_e32 v13, 23, v13
	v_lshrrev_b32_e32 v14, 4, v14
	s_delay_alu instid0(VALU_DEP_1) | instskip(SKIP_1) | instid1(VALU_DEP_2)
	v_sub_nc_u32_e32 v13, v14, v13
	v_ashrrev_i32_e32 v14, 8, v15
	v_add_nc_u32_e32 v13, 0x3c000000, v13
	s_delay_alu instid0(VALU_DEP_1) | instskip(NEXT) | instid1(VALU_DEP_1)
	v_and_or_b32 v13, 0x7f800000, v14, v13
	v_cndmask_b32_e32 v6, 0, v13, vcc_lo
	s_delay_alu instid0(VALU_DEP_1)
	v_and_or_b32 v5, 0x80000000, v5, v6
.LBB66_2354:
	s_mov_b32 s1, 0
.LBB66_2355:
	s_delay_alu instid0(SALU_CYCLE_1)
	s_and_not1_b32 vcc_lo, exec_lo, s1
	s_cbranch_vccnz .LBB66_2357
; %bb.2356:
	global_load_u8 v5, v[3:4], off
	s_waitcnt vmcnt(0)
	v_lshlrev_b32_e32 v6, 25, v5
	v_lshlrev_b16 v5, 8, v5
	s_delay_alu instid0(VALU_DEP_2) | instskip(NEXT) | instid1(VALU_DEP_2)
	v_lshrrev_b32_e32 v13, 4, v6
	v_and_or_b32 v14, 0x7f00, v5, 0.5
	v_cmp_gt_u32_e32 vcc_lo, 0x8000000, v6
	v_bfe_i32 v5, v5, 0, 16
	s_delay_alu instid0(VALU_DEP_4) | instskip(NEXT) | instid1(VALU_DEP_1)
	v_or_b32_e32 v13, 0x70000000, v13
	v_dual_add_f32 v14, -0.5, v14 :: v_dual_mul_f32 v13, 0x7800000, v13
	s_delay_alu instid0(VALU_DEP_1) | instskip(NEXT) | instid1(VALU_DEP_1)
	v_cndmask_b32_e32 v6, v13, v14, vcc_lo
	v_and_or_b32 v5, 0x80000000, v5, v6
.LBB66_2357:
	s_mov_b32 s1, 0
	s_mov_b32 s14, -1
.LBB66_2358:
	s_and_not1_b32 vcc_lo, exec_lo, s1
	s_mov_b32 s1, 0
	s_cbranch_vccnz .LBB66_2369
; %bb.2359:
	v_cmp_lt_i16_e32 vcc_lo, 14, v8
	s_cbranch_vccz .LBB66_2362
; %bb.2360:
	v_cmp_eq_u16_e32 vcc_lo, 15, v8
	s_cbranch_vccz .LBB66_2365
; %bb.2361:
	global_load_u16 v5, v[3:4], off
	s_mov_b32 s0, 0
	s_mov_b32 s14, -1
	s_waitcnt vmcnt(0)
	v_lshlrev_b32_e32 v5, 16, v5
	s_branch .LBB66_2367
.LBB66_2362:
	s_mov_b32 s1, -1
	s_branch .LBB66_2366
.LBB66_2363:
	s_or_saveexec_b32 s15, s15
	v_mov_b32_e32 v5, s14
	s_xor_b32 exec_lo, exec_lo, s15
	s_cbranch_execz .LBB66_2344
.LBB66_2364:
	v_cmp_ne_u16_e32 vcc_lo, 0, v6
	v_mov_b32_e32 v5, 0
	s_and_not1_b32 s1, s1, exec_lo
	s_and_b32 s14, vcc_lo, exec_lo
	s_delay_alu instid0(SALU_CYCLE_1)
	s_or_b32 s1, s1, s14
	s_or_b32 exec_lo, exec_lo, s15
	s_and_saveexec_b32 s14, s1
	s_cbranch_execnz .LBB66_2345
	s_branch .LBB66_2346
.LBB66_2365:
	s_mov_b32 s0, -1
.LBB66_2366:
                                        ; implicit-def: $vgpr5
.LBB66_2367:
	s_and_b32 vcc_lo, exec_lo, s1
	s_mov_b32 s1, 0
	s_cbranch_vccz .LBB66_2369
; %bb.2368:
	v_cmp_ne_u16_e64 s0, 11, v8
	s_mov_b32 s1, -1
                                        ; implicit-def: $vgpr5
.LBB66_2369:
	s_delay_alu instid0(VALU_DEP_1)
	s_and_b32 vcc_lo, exec_lo, s0
	s_cbranch_vccnz .LBB66_2446
; %bb.2370:
	s_and_not1_b32 vcc_lo, exec_lo, s1
	s_cbranch_vccnz .LBB66_2372
.LBB66_2371:
	global_load_u8 v5, v[3:4], off
	s_mov_b32 s14, -1
	s_waitcnt vmcnt(0)
	v_cmp_ne_u16_e32 vcc_lo, 0, v5
	v_cndmask_b32_e64 v5, 0, 1.0, vcc_lo
.LBB66_2372:
	s_mov_b32 s0, 0
.LBB66_2373:
	s_delay_alu instid0(SALU_CYCLE_1)
	s_and_b32 vcc_lo, exec_lo, s0
	s_cbranch_vccz .LBB66_2422
; %bb.2374:
	v_cmp_gt_i16_e32 vcc_lo, 5, v8
	s_cbranch_vccnz .LBB66_2379
; %bb.2375:
	v_cmp_gt_i16_e32 vcc_lo, 8, v8
	s_cbranch_vccnz .LBB66_2380
	;; [unrolled: 3-line block ×3, first 2 shown]
; %bb.2377:
	v_cmp_lt_i16_e32 vcc_lo, 9, v8
	s_cbranch_vccz .LBB66_2382
; %bb.2378:
	global_load_b64 v[5:6], v[3:4], off
	s_mov_b32 s0, 0
	s_waitcnt vmcnt(0)
	v_cvt_f32_f64_e32 v5, v[5:6]
	s_branch .LBB66_2383
.LBB66_2379:
	s_mov_b32 s0, -1
                                        ; implicit-def: $vgpr5
	s_branch .LBB66_2401
.LBB66_2380:
	s_mov_b32 s0, -1
                                        ; implicit-def: $vgpr5
	s_branch .LBB66_2389
.LBB66_2381:
	s_mov_b32 s0, -1
                                        ; implicit-def: $vgpr5
	s_branch .LBB66_2386
.LBB66_2382:
	s_mov_b32 s0, -1
                                        ; implicit-def: $vgpr5
.LBB66_2383:
	s_delay_alu instid0(SALU_CYCLE_1)
	s_and_not1_b32 vcc_lo, exec_lo, s0
	s_cbranch_vccnz .LBB66_2385
; %bb.2384:
	global_load_b32 v5, v[3:4], off
.LBB66_2385:
	s_mov_b32 s0, 0
.LBB66_2386:
	s_delay_alu instid0(SALU_CYCLE_1)
	s_and_not1_b32 vcc_lo, exec_lo, s0
	s_cbranch_vccnz .LBB66_2388
; %bb.2387:
	global_load_b32 v5, v[3:4], off
	s_waitcnt vmcnt(0)
	v_cvt_f32_f16_e32 v5, v5
.LBB66_2388:
	s_mov_b32 s0, 0
.LBB66_2389:
	s_delay_alu instid0(SALU_CYCLE_1)
	s_and_not1_b32 vcc_lo, exec_lo, s0
	s_cbranch_vccnz .LBB66_2400
; %bb.2390:
	v_cmp_gt_i16_e32 vcc_lo, 6, v8
	s_cbranch_vccnz .LBB66_2393
; %bb.2391:
	v_cmp_lt_i16_e32 vcc_lo, 6, v8
	s_cbranch_vccz .LBB66_2394
; %bb.2392:
	global_load_b64 v[5:6], v[3:4], off
	s_mov_b32 s0, 0
	s_waitcnt vmcnt(0)
	v_cvt_f32_f64_e32 v5, v[5:6]
	s_branch .LBB66_2395
.LBB66_2393:
	s_mov_b32 s0, -1
                                        ; implicit-def: $vgpr5
	s_branch .LBB66_2398
.LBB66_2394:
	s_mov_b32 s0, -1
                                        ; implicit-def: $vgpr5
.LBB66_2395:
	s_delay_alu instid0(SALU_CYCLE_1)
	s_and_not1_b32 vcc_lo, exec_lo, s0
	s_cbranch_vccnz .LBB66_2397
; %bb.2396:
	global_load_b32 v5, v[3:4], off
.LBB66_2397:
	s_mov_b32 s0, 0
.LBB66_2398:
	s_delay_alu instid0(SALU_CYCLE_1)
	s_and_not1_b32 vcc_lo, exec_lo, s0
	s_cbranch_vccnz .LBB66_2400
; %bb.2399:
	global_load_u16 v5, v[3:4], off
	s_waitcnt vmcnt(0)
	v_cvt_f32_f16_e32 v5, v5
.LBB66_2400:
	s_mov_b32 s0, 0
.LBB66_2401:
	s_delay_alu instid0(SALU_CYCLE_1)
	s_and_not1_b32 vcc_lo, exec_lo, s0
	s_cbranch_vccnz .LBB66_2421
; %bb.2402:
	v_cmp_gt_i16_e32 vcc_lo, 2, v8
	s_cbranch_vccnz .LBB66_2406
; %bb.2403:
	v_cmp_gt_i16_e32 vcc_lo, 3, v8
	s_cbranch_vccnz .LBB66_2407
; %bb.2404:
	v_cmp_lt_i16_e32 vcc_lo, 3, v8
	s_cbranch_vccz .LBB66_2408
; %bb.2405:
	global_load_b64 v[5:6], v[3:4], off
	s_mov_b32 s0, 0
	s_waitcnt vmcnt(0)
	v_xor_b32_e32 v13, v5, v6
	v_cls_i32_e32 v14, v6
	s_delay_alu instid0(VALU_DEP_2) | instskip(NEXT) | instid1(VALU_DEP_2)
	v_ashrrev_i32_e32 v13, 31, v13
	v_add_nc_u32_e32 v14, -1, v14
	s_delay_alu instid0(VALU_DEP_2) | instskip(NEXT) | instid1(VALU_DEP_1)
	v_add_nc_u32_e32 v13, 32, v13
	v_min_u32_e32 v13, v14, v13
	s_delay_alu instid0(VALU_DEP_1) | instskip(NEXT) | instid1(VALU_DEP_1)
	v_lshlrev_b64 v[5:6], v13, v[5:6]
	v_min_u32_e32 v5, 1, v5
	s_delay_alu instid0(VALU_DEP_1) | instskip(SKIP_1) | instid1(VALU_DEP_2)
	v_or_b32_e32 v5, v6, v5
	v_sub_nc_u32_e32 v6, 32, v13
	v_cvt_f32_i32_e32 v5, v5
	s_delay_alu instid0(VALU_DEP_1)
	v_ldexp_f32 v5, v5, v6
	s_branch .LBB66_2409
.LBB66_2406:
	s_mov_b32 s0, -1
                                        ; implicit-def: $vgpr5
	s_branch .LBB66_2415
.LBB66_2407:
	s_mov_b32 s0, -1
                                        ; implicit-def: $vgpr5
	s_branch .LBB66_2412
.LBB66_2408:
	s_mov_b32 s0, -1
                                        ; implicit-def: $vgpr5
.LBB66_2409:
	s_delay_alu instid0(SALU_CYCLE_1)
	s_and_not1_b32 vcc_lo, exec_lo, s0
	s_cbranch_vccnz .LBB66_2411
; %bb.2410:
	global_load_b32 v5, v[3:4], off
	s_waitcnt vmcnt(0)
	v_cvt_f32_i32_e32 v5, v5
.LBB66_2411:
	s_mov_b32 s0, 0
.LBB66_2412:
	s_delay_alu instid0(SALU_CYCLE_1)
	s_and_not1_b32 vcc_lo, exec_lo, s0
	s_cbranch_vccnz .LBB66_2414
; %bb.2413:
	global_load_i16 v5, v[3:4], off
	s_waitcnt vmcnt(0)
	v_cvt_f32_i32_e32 v5, v5
.LBB66_2414:
	s_mov_b32 s0, 0
.LBB66_2415:
	s_delay_alu instid0(SALU_CYCLE_1)
	s_and_not1_b32 vcc_lo, exec_lo, s0
	s_cbranch_vccnz .LBB66_2421
; %bb.2416:
	v_cmp_lt_i16_e32 vcc_lo, 0, v8
	s_mov_b32 s0, 0
	s_cbranch_vccz .LBB66_2418
; %bb.2417:
	global_load_i8 v5, v[3:4], off
	s_waitcnt vmcnt(0)
	v_cvt_f32_i32_e32 v5, v5
	s_branch .LBB66_2419
.LBB66_2418:
	s_mov_b32 s0, -1
                                        ; implicit-def: $vgpr5
.LBB66_2419:
	s_delay_alu instid0(SALU_CYCLE_1)
	s_and_not1_b32 vcc_lo, exec_lo, s0
	s_cbranch_vccnz .LBB66_2421
; %bb.2420:
	global_load_u8 v3, v[3:4], off
	s_waitcnt vmcnt(0)
	v_cvt_f32_ubyte0_e32 v5, v3
.LBB66_2421:
	s_mov_b32 s14, -1
.LBB66_2422:
	s_delay_alu instid0(SALU_CYCLE_1)
	s_and_not1_b32 vcc_lo, exec_lo, s14
	s_cbranch_vccnz .LBB66_2793
; %bb.2423:
	s_waitcnt vmcnt(0)
	s_delay_alu instid0(VALU_DEP_1) | instskip(SKIP_1) | instid1(VALU_DEP_1)
	v_trunc_f32_e32 v3, v5
	s_mov_b32 s14, exec_lo
	v_mul_f32_e64 v4, 0x2f800000, |v3|
	s_delay_alu instid0(VALU_DEP_1) | instskip(NEXT) | instid1(VALU_DEP_1)
	v_floor_f32_e32 v4, v4
	v_fma_f32 v6, 0xcf800000, v4, |v3|
	v_ashrrev_i32_e32 v3, 31, v3
	v_cvt_u32_f32_e32 v4, v4
	s_delay_alu instid0(VALU_DEP_3) | instskip(NEXT) | instid1(VALU_DEP_2)
	v_cvt_u32_f32_e32 v6, v6
	v_xor_b32_e32 v4, v4, v3
	s_delay_alu instid0(VALU_DEP_2) | instskip(NEXT) | instid1(VALU_DEP_1)
	v_xor_b32_e32 v6, v6, v3
	v_sub_co_u32 v13, vcc_lo, v6, v3
	s_delay_alu instid0(VALU_DEP_3) | instskip(SKIP_2) | instid1(VALU_DEP_3)
	v_sub_co_ci_u32_e32 v3, vcc_lo, v4, v3, vcc_lo
	v_cmp_class_f32_e64 vcc_lo, v5, 0x1f8
	v_mov_b32_e32 v4, 0
	v_dual_cndmask_b32 v6, -1, v3 :: v_dual_cndmask_b32 v5, -1, v13
	s_delay_alu instid0(VALU_DEP_1)
	v_cmpx_lt_i64_e32 -1, v[5:6]
	s_cbranch_execz .LBB66_2435
; %bb.2424:
	v_mov_b32_e32 v4, 1.0
	s_mov_b32 s15, exec_lo
	v_cmpx_lt_i64_e32 0, v[5:6]
	s_cbranch_execz .LBB66_2434
; %bb.2425:
                                        ; implicit-def: $vgpr4
	s_mov_b32 s0, exec_lo
	v_cmpx_ne_u64_e32 1, v[5:6]
	s_xor_b32 s16, exec_lo, s0
	s_cbranch_execz .LBB66_2431
; %bb.2426:
	v_mov_b32_e32 v4, 0x7fc00000
	s_mov_b32 s17, exec_lo
	v_cmpx_gt_u64_e32 0x81, v[5:6]
	s_cbranch_execz .LBB66_2430
; %bb.2427:
	v_dual_add_f32 v3, v12, v12 :: v_dual_mov_b32 v12, 1.0
	v_lshlrev_b64 v[5:6], 1, v[5:6]
	s_mov_b64 s[0:1], 2
	s_mov_b32 s18, 0
	s_delay_alu instid0(VALU_DEP_2)
	v_mov_b32_e32 v4, v3
.LBB66_2428:                            ; =>This Inner Loop Header: Depth=1
	s_clz_i32_u32 s19, s1
	s_delay_alu instid0(SALU_CYCLE_1) | instskip(NEXT) | instid1(SALU_CYCLE_1)
	s_min_u32 s19, s19, 32
	s_lshl_b64 s[20:21], s[0:1], s19
	s_sub_i32 s19, 32, s19
	s_min_u32 s20, s20, 1
	s_delay_alu instid0(SALU_CYCLE_1) | instskip(SKIP_3) | instid1(SALU_CYCLE_1)
	s_or_b32 s20, s21, s20
	s_add_u32 s0, s0, 2
	v_cvt_f32_u32_e32 v13, s20
	s_addc_u32 s1, s1, 0
	v_cmp_ge_u64_e32 vcc_lo, s[0:1], v[5:6]
	s_delay_alu instid0(VALU_DEP_2) | instskip(SKIP_1) | instid1(VALU_DEP_1)
	v_ldexp_f32 v13, v13, s19
	s_or_b32 s18, vcc_lo, s18
	v_mul_f32_e32 v13, v12, v13
	v_mov_b32_e32 v12, v4
	s_delay_alu instid0(VALU_DEP_2)
	v_fma_f32 v4, v3, v4, -v13
	s_and_not1_b32 exec_lo, exec_lo, s18
	s_cbranch_execnz .LBB66_2428
; %bb.2429:
	s_or_b32 exec_lo, exec_lo, s18
.LBB66_2430:
	s_delay_alu instid0(SALU_CYCLE_1)
	s_or_b32 exec_lo, exec_lo, s17
                                        ; implicit-def: $vgpr12
.LBB66_2431:
	s_and_not1_saveexec_b32 s0, s16
; %bb.2432:
	v_add_f32_e32 v4, v12, v12
; %bb.2433:
	s_or_b32 exec_lo, exec_lo, s0
.LBB66_2434:
	s_delay_alu instid0(SALU_CYCLE_1)
	s_or_b32 exec_lo, exec_lo, s15
.LBB66_2435:
	s_delay_alu instid0(SALU_CYCLE_1) | instskip(SKIP_2) | instid1(VALU_DEP_2)
	s_or_b32 exec_lo, exec_lo, s14
	v_add_nc_u32_e32 v1, s9, v1
	v_cmp_gt_i16_e32 vcc_lo, 11, v7
	v_ashrrev_i32_e32 v3, 31, v1
	v_add_co_u32 v5, s0, s6, v1
	s_delay_alu instid0(VALU_DEP_1)
	v_add_co_ci_u32_e64 v6, s0, s7, v3, s0
	s_cbranch_vccnz .LBB66_2442
; %bb.2436:
	v_cmp_lt_i16_e32 vcc_lo, 25, v7
	s_mov_b32 s1, 0
	s_cbranch_vccz .LBB66_2443
; %bb.2437:
	v_cmp_lt_i16_e32 vcc_lo, 28, v7
	s_cbranch_vccz .LBB66_2444
; %bb.2438:
	v_cmp_lt_i16_e32 vcc_lo, 43, v7
	;; [unrolled: 3-line block ×3, first 2 shown]
	s_cbranch_vccz .LBB66_2448
; %bb.2440:
	v_cmp_eq_u16_e32 vcc_lo, 46, v7
	s_mov_b32 s7, 0
	s_cbranch_vccz .LBB66_2451
; %bb.2441:
	global_load_b32 v1, v[5:6], off
	s_mov_b32 s0, 0
	s_mov_b32 s6, -1
	s_waitcnt vmcnt(0)
	v_lshlrev_b32_e32 v1, 16, v1
	s_branch .LBB66_2453
.LBB66_2442:
	s_mov_b32 s0, -1
	s_mov_b32 s6, 0
                                        ; implicit-def: $vgpr1
	s_branch .LBB66_2519
.LBB66_2443:
	s_mov_b32 s7, -1
	s_mov_b32 s6, 0
	s_mov_b32 s0, 0
                                        ; implicit-def: $vgpr1
	s_branch .LBB66_2482
.LBB66_2444:
	s_mov_b32 s7, -1
	s_mov_b32 s6, 0
	s_mov_b32 s0, 0
                                        ; implicit-def: $vgpr1
	s_branch .LBB66_2463
.LBB66_2445:
	s_mov_b32 s7, -1
	s_mov_b32 s6, 0
	s_mov_b32 s0, 0
                                        ; implicit-def: $vgpr1
	s_branch .LBB66_2458
.LBB66_2446:
	s_cbranch_execnz .LBB66_2449
; %bb.2447:
	s_or_b32 s11, s11, exec_lo
                                        ; implicit-def: $vgpr5
	s_cbranch_execz .LBB66_2371
	s_branch .LBB66_2372
.LBB66_2448:
	s_mov_b32 s7, -1
	s_mov_b32 s6, 0
	s_mov_b32 s0, 0
	s_branch .LBB66_2452
.LBB66_2449:
	s_trap 2
	s_sendmsg_rtn_b32 s0, sendmsg(MSG_RTN_GET_DOORBELL)
	s_mov_b32 ttmp2, m0
	s_waitcnt lgkmcnt(0)
	s_and_b32 s0, s0, 0x3ff
	s_delay_alu instid0(SALU_CYCLE_1) | instskip(NEXT) | instid1(SALU_CYCLE_1)
	s_bitset1_b32 s0, 10
	s_mov_b32 m0, s0
	s_sendmsg sendmsg(MSG_INTERRUPT)
	s_mov_b32 m0, ttmp2
.LBB66_2450:                            ; =>This Inner Loop Header: Depth=1
	s_sethalt 5
	s_branch .LBB66_2450
.LBB66_2451:
	s_mov_b32 s0, -1
	s_mov_b32 s6, 0
.LBB66_2452:
                                        ; implicit-def: $vgpr1
.LBB66_2453:
	s_and_b32 vcc_lo, exec_lo, s7
	s_cbranch_vccz .LBB66_2457
; %bb.2454:
	v_cmp_eq_u16_e32 vcc_lo, 44, v7
	s_cbranch_vccz .LBB66_2456
; %bb.2455:
	global_load_u8 v1, v[5:6], off
	s_mov_b32 s0, 0
	s_mov_b32 s6, -1
	s_waitcnt vmcnt(0)
	v_lshlrev_b32_e32 v3, 23, v1
	v_cmp_ne_u32_e32 vcc_lo, 0xff, v1
	s_delay_alu instid0(VALU_DEP_2) | instskip(SKIP_1) | instid1(VALU_DEP_2)
	v_cndmask_b32_e32 v3, 0x7f800001, v3, vcc_lo
	v_cmp_ne_u32_e32 vcc_lo, 0, v1
	v_cndmask_b32_e32 v1, 0x400000, v3, vcc_lo
	s_branch .LBB66_2457
.LBB66_2456:
	s_mov_b32 s0, -1
                                        ; implicit-def: $vgpr1
.LBB66_2457:
	s_mov_b32 s7, 0
.LBB66_2458:
	s_delay_alu instid0(SALU_CYCLE_1)
	s_and_b32 vcc_lo, exec_lo, s7
	s_cbranch_vccz .LBB66_2462
; %bb.2459:
	v_cmp_eq_u16_e32 vcc_lo, 29, v7
	s_cbranch_vccz .LBB66_2461
; %bb.2460:
	global_load_b64 v[12:13], v[5:6], off
	s_mov_b32 s0, 0
	s_mov_b32 s6, -1
	s_mov_b32 s7, 0
	s_waitcnt vmcnt(0)
	v_clz_i32_u32_e32 v1, v13
	s_delay_alu instid0(VALU_DEP_1) | instskip(NEXT) | instid1(VALU_DEP_1)
	v_min_u32_e32 v1, 32, v1
	v_lshlrev_b64 v[12:13], v1, v[12:13]
	v_sub_nc_u32_e32 v1, 32, v1
	s_delay_alu instid0(VALU_DEP_2) | instskip(NEXT) | instid1(VALU_DEP_1)
	v_min_u32_e32 v3, 1, v12
	v_or_b32_e32 v3, v13, v3
	s_delay_alu instid0(VALU_DEP_1) | instskip(NEXT) | instid1(VALU_DEP_1)
	v_cvt_f32_u32_e32 v3, v3
	v_ldexp_f32 v1, v3, v1
	s_branch .LBB66_2463
.LBB66_2461:
	s_mov_b32 s0, -1
                                        ; implicit-def: $vgpr1
.LBB66_2462:
	s_mov_b32 s7, 0
.LBB66_2463:
	s_delay_alu instid0(SALU_CYCLE_1)
	s_and_b32 vcc_lo, exec_lo, s7
	s_cbranch_vccz .LBB66_2481
; %bb.2464:
	v_cmp_gt_i16_e32 vcc_lo, 27, v7
	s_cbranch_vccnz .LBB66_2467
; %bb.2465:
	v_cmp_lt_i16_e32 vcc_lo, 27, v7
	s_cbranch_vccz .LBB66_2468
; %bb.2466:
	global_load_b32 v1, v[5:6], off
	s_mov_b32 s6, 0
	s_waitcnt vmcnt(0)
	v_cvt_f32_u32_e32 v1, v1
	s_branch .LBB66_2469
.LBB66_2467:
	s_mov_b32 s6, -1
                                        ; implicit-def: $vgpr1
	s_branch .LBB66_2472
.LBB66_2468:
	s_mov_b32 s6, -1
                                        ; implicit-def: $vgpr1
.LBB66_2469:
	s_delay_alu instid0(SALU_CYCLE_1)
	s_and_not1_b32 vcc_lo, exec_lo, s6
	s_cbranch_vccnz .LBB66_2471
; %bb.2470:
	global_load_u16 v1, v[5:6], off
	s_waitcnt vmcnt(0)
	v_cvt_f32_u32_e32 v1, v1
.LBB66_2471:
	s_mov_b32 s6, 0
.LBB66_2472:
	s_delay_alu instid0(SALU_CYCLE_1)
	s_and_not1_b32 vcc_lo, exec_lo, s6
	s_cbranch_vccnz .LBB66_2480
; %bb.2473:
	global_load_u8 v3, v[5:6], off
	s_mov_b32 s6, 0
	s_mov_b32 s9, exec_lo
                                        ; implicit-def: $sgpr7
	s_waitcnt vmcnt(0)
	v_cmpx_lt_i16_e32 0x7f, v3
	s_xor_b32 s9, exec_lo, s9
	s_cbranch_execz .LBB66_2494
; %bb.2474:
	s_mov_b32 s6, -1
	s_mov_b32 s14, exec_lo
                                        ; implicit-def: $sgpr7
	v_cmpx_eq_u16_e32 0x80, v3
; %bb.2475:
	s_mov_b32 s7, 0x7f800001
	s_xor_b32 s6, exec_lo, -1
; %bb.2476:
	s_or_b32 exec_lo, exec_lo, s14
	s_delay_alu instid0(SALU_CYCLE_1)
	s_and_b32 s6, s6, exec_lo
	s_or_saveexec_b32 s9, s9
	v_mov_b32_e32 v1, s7
	s_xor_b32 exec_lo, exec_lo, s9
	s_cbranch_execnz .LBB66_2495
.LBB66_2477:
	s_or_b32 exec_lo, exec_lo, s9
	s_and_saveexec_b32 s7, s6
	s_cbranch_execz .LBB66_2479
.LBB66_2478:
	v_and_b32_e32 v1, 0xffff, v3
	v_lshlrev_b32_e32 v3, 24, v3
	s_delay_alu instid0(VALU_DEP_2) | instskip(NEXT) | instid1(VALU_DEP_2)
	v_and_b32_e32 v12, 7, v1
	v_and_b32_e32 v3, 0x80000000, v3
	s_delay_alu instid0(VALU_DEP_2) | instskip(NEXT) | instid1(VALU_DEP_1)
	v_clz_i32_u32_e32 v13, v12
	v_min_u32_e32 v13, 32, v13
	s_delay_alu instid0(VALU_DEP_1) | instskip(SKIP_1) | instid1(VALU_DEP_2)
	v_subrev_nc_u32_e32 v14, 28, v13
	v_sub_nc_u32_e32 v13, 29, v13
	v_lshlrev_b32_e32 v14, v14, v1
	v_bfe_u32 v1, v1, 3, 4
	s_delay_alu instid0(VALU_DEP_1) | instskip(NEXT) | instid1(VALU_DEP_3)
	v_cmp_eq_u32_e32 vcc_lo, 0, v1
	v_dual_cndmask_b32 v1, v1, v13 :: v_dual_and_b32 v14, 7, v14
	s_delay_alu instid0(VALU_DEP_1) | instskip(NEXT) | instid1(VALU_DEP_2)
	v_cndmask_b32_e32 v12, v12, v14, vcc_lo
	v_lshl_add_u32 v1, v1, 23, 0x3b800000
	s_delay_alu instid0(VALU_DEP_2) | instskip(NEXT) | instid1(VALU_DEP_1)
	v_lshlrev_b32_e32 v12, 20, v12
	v_or3_b32 v1, v3, v1, v12
.LBB66_2479:
	s_or_b32 exec_lo, exec_lo, s7
.LBB66_2480:
	s_mov_b32 s6, -1
.LBB66_2481:
	s_mov_b32 s7, 0
.LBB66_2482:
	s_delay_alu instid0(SALU_CYCLE_1)
	s_and_b32 vcc_lo, exec_lo, s7
	s_cbranch_vccz .LBB66_2515
; %bb.2483:
	v_cmp_lt_i16_e32 vcc_lo, 22, v7
	s_cbranch_vccz .LBB66_2493
; %bb.2484:
	v_cmp_gt_i16_e32 vcc_lo, 24, v7
	s_cbranch_vccnz .LBB66_2496
; %bb.2485:
	v_cmp_lt_i16_e32 vcc_lo, 24, v7
	s_cbranch_vccz .LBB66_2497
; %bb.2486:
	global_load_u8 v3, v[5:6], off
	s_mov_b32 s7, exec_lo
                                        ; implicit-def: $sgpr6
	s_waitcnt vmcnt(0)
	v_cmpx_lt_i16_e32 0x7f, v3
	s_xor_b32 s7, exec_lo, s7
	s_cbranch_execz .LBB66_2509
; %bb.2487:
	s_mov_b32 s1, -1
	s_mov_b32 s9, exec_lo
                                        ; implicit-def: $sgpr6
	v_cmpx_eq_u16_e32 0x80, v3
; %bb.2488:
	s_mov_b32 s6, 0x7f800001
	s_xor_b32 s1, exec_lo, -1
; %bb.2489:
	s_or_b32 exec_lo, exec_lo, s9
	s_delay_alu instid0(SALU_CYCLE_1)
	s_and_b32 s1, s1, exec_lo
	s_or_saveexec_b32 s7, s7
	v_mov_b32_e32 v1, s6
	s_xor_b32 exec_lo, exec_lo, s7
	s_cbranch_execnz .LBB66_2510
.LBB66_2490:
	s_or_b32 exec_lo, exec_lo, s7
	s_and_saveexec_b32 s6, s1
	s_cbranch_execz .LBB66_2492
.LBB66_2491:
	v_and_b32_e32 v1, 0xffff, v3
	v_lshlrev_b32_e32 v3, 24, v3
	s_delay_alu instid0(VALU_DEP_2) | instskip(NEXT) | instid1(VALU_DEP_2)
	v_and_b32_e32 v12, 3, v1
	v_and_b32_e32 v3, 0x80000000, v3
	s_delay_alu instid0(VALU_DEP_2) | instskip(NEXT) | instid1(VALU_DEP_1)
	v_clz_i32_u32_e32 v13, v12
	v_min_u32_e32 v13, 32, v13
	s_delay_alu instid0(VALU_DEP_1) | instskip(SKIP_1) | instid1(VALU_DEP_2)
	v_subrev_nc_u32_e32 v14, 29, v13
	v_sub_nc_u32_e32 v13, 30, v13
	v_lshlrev_b32_e32 v14, v14, v1
	v_bfe_u32 v1, v1, 2, 5
	s_delay_alu instid0(VALU_DEP_1) | instskip(NEXT) | instid1(VALU_DEP_3)
	v_cmp_eq_u32_e32 vcc_lo, 0, v1
	v_dual_cndmask_b32 v1, v1, v13 :: v_dual_and_b32 v14, 3, v14
	s_delay_alu instid0(VALU_DEP_1) | instskip(NEXT) | instid1(VALU_DEP_2)
	v_cndmask_b32_e32 v12, v12, v14, vcc_lo
	v_lshl_add_u32 v1, v1, 23, 0x37800000
	s_delay_alu instid0(VALU_DEP_2) | instskip(NEXT) | instid1(VALU_DEP_1)
	v_lshlrev_b32_e32 v12, 21, v12
	v_or3_b32 v1, v3, v1, v12
.LBB66_2492:
	s_or_b32 exec_lo, exec_lo, s6
	s_mov_b32 s1, 0
	s_branch .LBB66_2498
.LBB66_2493:
	s_mov_b32 s1, -1
                                        ; implicit-def: $vgpr1
	s_branch .LBB66_2504
.LBB66_2494:
	s_or_saveexec_b32 s9, s9
	v_mov_b32_e32 v1, s7
	s_xor_b32 exec_lo, exec_lo, s9
	s_cbranch_execz .LBB66_2477
.LBB66_2495:
	v_cmp_ne_u16_e32 vcc_lo, 0, v3
	v_mov_b32_e32 v1, 0
	s_and_not1_b32 s6, s6, exec_lo
	s_and_b32 s7, vcc_lo, exec_lo
	s_delay_alu instid0(SALU_CYCLE_1)
	s_or_b32 s6, s6, s7
	s_or_b32 exec_lo, exec_lo, s9
	s_and_saveexec_b32 s7, s6
	s_cbranch_execnz .LBB66_2478
	s_branch .LBB66_2479
.LBB66_2496:
	s_mov_b32 s1, -1
                                        ; implicit-def: $vgpr1
	s_branch .LBB66_2501
.LBB66_2497:
	s_mov_b32 s1, -1
                                        ; implicit-def: $vgpr1
.LBB66_2498:
	s_delay_alu instid0(SALU_CYCLE_1)
	s_and_b32 vcc_lo, exec_lo, s1
	s_cbranch_vccz .LBB66_2500
; %bb.2499:
	global_load_u8 v1, v[5:6], off
	s_waitcnt vmcnt(0)
	v_lshlrev_b32_e32 v1, 24, v1
	s_delay_alu instid0(VALU_DEP_1) | instskip(NEXT) | instid1(VALU_DEP_1)
	v_and_b32_e32 v3, 0x7f000000, v1
	v_clz_i32_u32_e32 v12, v3
	v_cmp_ne_u32_e32 vcc_lo, 0, v3
	v_add_nc_u32_e32 v14, 0x1000000, v3
	s_delay_alu instid0(VALU_DEP_3) | instskip(NEXT) | instid1(VALU_DEP_1)
	v_min_u32_e32 v12, 32, v12
	v_sub_nc_u32_e64 v12, v12, 4 clamp
	s_delay_alu instid0(VALU_DEP_1) | instskip(SKIP_1) | instid1(VALU_DEP_2)
	v_lshlrev_b32_e32 v13, v12, v3
	v_lshlrev_b32_e32 v12, 23, v12
	v_lshrrev_b32_e32 v13, 4, v13
	s_delay_alu instid0(VALU_DEP_1) | instskip(SKIP_1) | instid1(VALU_DEP_2)
	v_sub_nc_u32_e32 v12, v13, v12
	v_ashrrev_i32_e32 v13, 8, v14
	v_add_nc_u32_e32 v12, 0x3c000000, v12
	s_delay_alu instid0(VALU_DEP_1) | instskip(NEXT) | instid1(VALU_DEP_1)
	v_and_or_b32 v12, 0x7f800000, v13, v12
	v_cndmask_b32_e32 v3, 0, v12, vcc_lo
	s_delay_alu instid0(VALU_DEP_1)
	v_and_or_b32 v1, 0x80000000, v1, v3
.LBB66_2500:
	s_mov_b32 s1, 0
.LBB66_2501:
	s_delay_alu instid0(SALU_CYCLE_1)
	s_and_not1_b32 vcc_lo, exec_lo, s1
	s_cbranch_vccnz .LBB66_2503
; %bb.2502:
	global_load_u8 v1, v[5:6], off
	s_waitcnt vmcnt(0)
	v_lshlrev_b32_e32 v3, 25, v1
	v_lshlrev_b16 v1, 8, v1
	s_delay_alu instid0(VALU_DEP_2) | instskip(NEXT) | instid1(VALU_DEP_2)
	v_lshrrev_b32_e32 v12, 4, v3
	v_and_or_b32 v13, 0x7f00, v1, 0.5
	v_bfe_i32 v1, v1, 0, 16
	s_delay_alu instid0(VALU_DEP_3) | instskip(NEXT) | instid1(VALU_DEP_1)
	v_or_b32_e32 v12, 0x70000000, v12
	v_dual_add_f32 v13, -0.5, v13 :: v_dual_mul_f32 v12, 0x7800000, v12
	v_cmp_gt_u32_e32 vcc_lo, 0x8000000, v3
	s_delay_alu instid0(VALU_DEP_2) | instskip(NEXT) | instid1(VALU_DEP_1)
	v_cndmask_b32_e32 v3, v12, v13, vcc_lo
	v_and_or_b32 v1, 0x80000000, v1, v3
.LBB66_2503:
	s_mov_b32 s1, 0
	s_mov_b32 s6, -1
.LBB66_2504:
	s_and_not1_b32 vcc_lo, exec_lo, s1
	s_mov_b32 s1, 0
	s_cbranch_vccnz .LBB66_2515
; %bb.2505:
	v_cmp_lt_i16_e32 vcc_lo, 14, v7
	s_cbranch_vccz .LBB66_2508
; %bb.2506:
	v_cmp_eq_u16_e32 vcc_lo, 15, v7
	s_cbranch_vccz .LBB66_2511
; %bb.2507:
	global_load_u16 v1, v[5:6], off
	s_mov_b32 s0, 0
	s_mov_b32 s6, -1
	s_waitcnt vmcnt(0)
	v_lshlrev_b32_e32 v1, 16, v1
	s_branch .LBB66_2513
.LBB66_2508:
	s_mov_b32 s1, -1
	s_branch .LBB66_2512
.LBB66_2509:
	s_or_saveexec_b32 s7, s7
	v_mov_b32_e32 v1, s6
	s_xor_b32 exec_lo, exec_lo, s7
	s_cbranch_execz .LBB66_2490
.LBB66_2510:
	v_cmp_ne_u16_e32 vcc_lo, 0, v3
	v_mov_b32_e32 v1, 0
	s_and_not1_b32 s1, s1, exec_lo
	s_and_b32 s6, vcc_lo, exec_lo
	s_delay_alu instid0(SALU_CYCLE_1)
	s_or_b32 s1, s1, s6
	s_or_b32 exec_lo, exec_lo, s7
	s_and_saveexec_b32 s6, s1
	s_cbranch_execnz .LBB66_2491
	s_branch .LBB66_2492
.LBB66_2511:
	s_mov_b32 s0, -1
.LBB66_2512:
                                        ; implicit-def: $vgpr1
.LBB66_2513:
	s_and_b32 vcc_lo, exec_lo, s1
	s_mov_b32 s1, 0
	s_cbranch_vccz .LBB66_2515
; %bb.2514:
	v_cmp_ne_u16_e64 s0, 11, v7
	s_mov_b32 s1, -1
                                        ; implicit-def: $vgpr1
.LBB66_2515:
	s_delay_alu instid0(VALU_DEP_1)
	s_and_b32 vcc_lo, exec_lo, s0
	s_cbranch_vccnz .LBB66_2580
; %bb.2516:
	s_and_not1_b32 vcc_lo, exec_lo, s1
	s_cbranch_vccnz .LBB66_2518
.LBB66_2517:
	global_load_u8 v1, v[5:6], off
	s_mov_b32 s6, -1
	s_waitcnt vmcnt(0)
	v_cmp_ne_u16_e32 vcc_lo, 0, v1
	v_cndmask_b32_e64 v1, 0, 1.0, vcc_lo
.LBB66_2518:
	s_mov_b32 s0, 0
.LBB66_2519:
	s_delay_alu instid0(SALU_CYCLE_1)
	s_and_b32 vcc_lo, exec_lo, s0
	s_cbranch_vccz .LBB66_2568
; %bb.2520:
	v_cmp_gt_i16_e32 vcc_lo, 5, v7
	s_cbranch_vccnz .LBB66_2525
; %bb.2521:
	v_cmp_gt_i16_e32 vcc_lo, 8, v7
	s_cbranch_vccnz .LBB66_2526
	;; [unrolled: 3-line block ×3, first 2 shown]
; %bb.2523:
	v_cmp_lt_i16_e32 vcc_lo, 9, v7
	s_cbranch_vccz .LBB66_2528
; %bb.2524:
	global_load_b64 v[12:13], v[5:6], off
	s_mov_b32 s0, 0
	s_waitcnt vmcnt(0)
	v_cvt_f32_f64_e32 v1, v[12:13]
	s_branch .LBB66_2529
.LBB66_2525:
	s_mov_b32 s0, -1
                                        ; implicit-def: $vgpr1
	s_branch .LBB66_2547
.LBB66_2526:
	s_mov_b32 s0, -1
                                        ; implicit-def: $vgpr1
	s_branch .LBB66_2535
.LBB66_2527:
	s_mov_b32 s0, -1
                                        ; implicit-def: $vgpr1
	s_branch .LBB66_2532
.LBB66_2528:
	s_mov_b32 s0, -1
                                        ; implicit-def: $vgpr1
.LBB66_2529:
	s_delay_alu instid0(SALU_CYCLE_1)
	s_and_not1_b32 vcc_lo, exec_lo, s0
	s_cbranch_vccnz .LBB66_2531
; %bb.2530:
	global_load_b32 v1, v[5:6], off
.LBB66_2531:
	s_mov_b32 s0, 0
.LBB66_2532:
	s_delay_alu instid0(SALU_CYCLE_1)
	s_and_not1_b32 vcc_lo, exec_lo, s0
	s_cbranch_vccnz .LBB66_2534
; %bb.2533:
	global_load_b32 v1, v[5:6], off
	s_waitcnt vmcnt(0)
	v_cvt_f32_f16_e32 v1, v1
.LBB66_2534:
	s_mov_b32 s0, 0
.LBB66_2535:
	s_delay_alu instid0(SALU_CYCLE_1)
	s_and_not1_b32 vcc_lo, exec_lo, s0
	s_cbranch_vccnz .LBB66_2546
; %bb.2536:
	v_cmp_gt_i16_e32 vcc_lo, 6, v7
	s_cbranch_vccnz .LBB66_2539
; %bb.2537:
	v_cmp_lt_i16_e32 vcc_lo, 6, v7
	s_cbranch_vccz .LBB66_2540
; %bb.2538:
	global_load_b64 v[12:13], v[5:6], off
	s_mov_b32 s0, 0
	s_waitcnt vmcnt(0)
	v_cvt_f32_f64_e32 v1, v[12:13]
	s_branch .LBB66_2541
.LBB66_2539:
	s_mov_b32 s0, -1
                                        ; implicit-def: $vgpr1
	s_branch .LBB66_2544
.LBB66_2540:
	s_mov_b32 s0, -1
                                        ; implicit-def: $vgpr1
.LBB66_2541:
	s_delay_alu instid0(SALU_CYCLE_1)
	s_and_not1_b32 vcc_lo, exec_lo, s0
	s_cbranch_vccnz .LBB66_2543
; %bb.2542:
	global_load_b32 v1, v[5:6], off
.LBB66_2543:
	s_mov_b32 s0, 0
.LBB66_2544:
	s_delay_alu instid0(SALU_CYCLE_1)
	s_and_not1_b32 vcc_lo, exec_lo, s0
	s_cbranch_vccnz .LBB66_2546
; %bb.2545:
	global_load_u16 v1, v[5:6], off
	s_waitcnt vmcnt(0)
	v_cvt_f32_f16_e32 v1, v1
.LBB66_2546:
	s_mov_b32 s0, 0
.LBB66_2547:
	s_delay_alu instid0(SALU_CYCLE_1)
	s_and_not1_b32 vcc_lo, exec_lo, s0
	s_cbranch_vccnz .LBB66_2567
; %bb.2548:
	v_cmp_gt_i16_e32 vcc_lo, 2, v7
	s_cbranch_vccnz .LBB66_2552
; %bb.2549:
	v_cmp_gt_i16_e32 vcc_lo, 3, v7
	s_cbranch_vccnz .LBB66_2553
; %bb.2550:
	v_cmp_lt_i16_e32 vcc_lo, 3, v7
	s_cbranch_vccz .LBB66_2554
; %bb.2551:
	global_load_b64 v[12:13], v[5:6], off
	s_mov_b32 s0, 0
	s_waitcnt vmcnt(0)
	v_xor_b32_e32 v1, v12, v13
	v_cls_i32_e32 v3, v13
	s_delay_alu instid0(VALU_DEP_2) | instskip(NEXT) | instid1(VALU_DEP_2)
	v_ashrrev_i32_e32 v1, 31, v1
	v_add_nc_u32_e32 v3, -1, v3
	s_delay_alu instid0(VALU_DEP_2) | instskip(NEXT) | instid1(VALU_DEP_1)
	v_add_nc_u32_e32 v1, 32, v1
	v_min_u32_e32 v1, v3, v1
	s_delay_alu instid0(VALU_DEP_1) | instskip(SKIP_1) | instid1(VALU_DEP_2)
	v_lshlrev_b64 v[12:13], v1, v[12:13]
	v_sub_nc_u32_e32 v1, 32, v1
	v_min_u32_e32 v3, 1, v12
	s_delay_alu instid0(VALU_DEP_1) | instskip(NEXT) | instid1(VALU_DEP_1)
	v_or_b32_e32 v3, v13, v3
	v_cvt_f32_i32_e32 v3, v3
	s_delay_alu instid0(VALU_DEP_1)
	v_ldexp_f32 v1, v3, v1
	s_branch .LBB66_2555
.LBB66_2552:
	s_mov_b32 s0, -1
                                        ; implicit-def: $vgpr1
	s_branch .LBB66_2561
.LBB66_2553:
	s_mov_b32 s0, -1
                                        ; implicit-def: $vgpr1
	s_branch .LBB66_2558
.LBB66_2554:
	s_mov_b32 s0, -1
                                        ; implicit-def: $vgpr1
.LBB66_2555:
	s_delay_alu instid0(SALU_CYCLE_1)
	s_and_not1_b32 vcc_lo, exec_lo, s0
	s_cbranch_vccnz .LBB66_2557
; %bb.2556:
	global_load_b32 v1, v[5:6], off
	s_waitcnt vmcnt(0)
	v_cvt_f32_i32_e32 v1, v1
.LBB66_2557:
	s_mov_b32 s0, 0
.LBB66_2558:
	s_delay_alu instid0(SALU_CYCLE_1)
	s_and_not1_b32 vcc_lo, exec_lo, s0
	s_cbranch_vccnz .LBB66_2560
; %bb.2559:
	global_load_i16 v1, v[5:6], off
	s_waitcnt vmcnt(0)
	v_cvt_f32_i32_e32 v1, v1
.LBB66_2560:
	s_mov_b32 s0, 0
.LBB66_2561:
	s_delay_alu instid0(SALU_CYCLE_1)
	s_and_not1_b32 vcc_lo, exec_lo, s0
	s_cbranch_vccnz .LBB66_2567
; %bb.2562:
	v_cmp_lt_i16_e32 vcc_lo, 0, v7
	s_mov_b32 s0, 0
	s_cbranch_vccz .LBB66_2564
; %bb.2563:
	global_load_i8 v1, v[5:6], off
	s_waitcnt vmcnt(0)
	v_cvt_f32_i32_e32 v1, v1
	s_branch .LBB66_2565
.LBB66_2564:
	s_mov_b32 s0, -1
                                        ; implicit-def: $vgpr1
.LBB66_2565:
	s_delay_alu instid0(SALU_CYCLE_1)
	s_and_not1_b32 vcc_lo, exec_lo, s0
	s_cbranch_vccnz .LBB66_2567
; %bb.2566:
	global_load_u8 v1, v[5:6], off
	s_waitcnt vmcnt(0)
	v_cvt_f32_ubyte0_e32 v1, v1
.LBB66_2567:
	s_mov_b32 s6, -1
.LBB66_2568:
	s_delay_alu instid0(SALU_CYCLE_1)
	s_and_not1_b32 vcc_lo, exec_lo, s6
	s_cbranch_vccnz .LBB66_2793
; %bb.2569:
	v_add_nc_u32_e32 v3, s10, v11
	v_cmp_gt_i16_e32 vcc_lo, 11, v8
	s_delay_alu instid0(VALU_DEP_2) | instskip(SKIP_1) | instid1(VALU_DEP_1)
	v_ashrrev_i32_e32 v6, 31, v3
	v_add_co_u32 v5, s0, s2, v3
	v_add_co_ci_u32_e64 v6, s0, s3, v6, s0
	s_cbranch_vccnz .LBB66_2576
; %bb.2570:
	v_cmp_lt_i16_e32 vcc_lo, 25, v8
	s_mov_b32 s1, 0
	s_cbranch_vccz .LBB66_2577
; %bb.2571:
	v_cmp_lt_i16_e32 vcc_lo, 28, v8
	s_cbranch_vccz .LBB66_2578
; %bb.2572:
	v_cmp_lt_i16_e32 vcc_lo, 43, v8
	;; [unrolled: 3-line block ×3, first 2 shown]
	s_cbranch_vccz .LBB66_2582
; %bb.2574:
	v_cmp_eq_u16_e32 vcc_lo, 46, v8
	s_mov_b32 s3, 0
	s_cbranch_vccz .LBB66_2585
; %bb.2575:
	global_load_b32 v3, v[5:6], off
	s_mov_b32 s0, 0
	s_mov_b32 s2, -1
	s_waitcnt vmcnt(0)
	v_lshlrev_b32_e32 v3, 16, v3
	s_branch .LBB66_2587
.LBB66_2576:
	s_mov_b32 s0, -1
	s_mov_b32 s2, 0
                                        ; implicit-def: $vgpr3
	s_branch .LBB66_2653
.LBB66_2577:
	s_mov_b32 s3, -1
	s_mov_b32 s2, 0
	s_mov_b32 s0, 0
                                        ; implicit-def: $vgpr3
	s_branch .LBB66_2616
.LBB66_2578:
	s_mov_b32 s3, -1
	s_mov_b32 s2, 0
	s_mov_b32 s0, 0
                                        ; implicit-def: $vgpr3
	s_branch .LBB66_2597
.LBB66_2579:
	s_mov_b32 s3, -1
	s_mov_b32 s2, 0
	s_mov_b32 s0, 0
                                        ; implicit-def: $vgpr3
	s_branch .LBB66_2592
.LBB66_2580:
	s_cbranch_execnz .LBB66_2583
; %bb.2581:
	s_or_b32 s11, s11, exec_lo
                                        ; implicit-def: $vgpr1
	s_cbranch_execz .LBB66_2517
	s_branch .LBB66_2518
.LBB66_2582:
	s_mov_b32 s3, -1
	s_mov_b32 s2, 0
	s_mov_b32 s0, 0
	s_branch .LBB66_2586
.LBB66_2583:
	s_trap 2
	s_sendmsg_rtn_b32 s0, sendmsg(MSG_RTN_GET_DOORBELL)
	s_mov_b32 ttmp2, m0
	s_waitcnt lgkmcnt(0)
	s_and_b32 s0, s0, 0x3ff
	s_delay_alu instid0(SALU_CYCLE_1) | instskip(NEXT) | instid1(SALU_CYCLE_1)
	s_bitset1_b32 s0, 10
	s_mov_b32 m0, s0
	s_sendmsg sendmsg(MSG_INTERRUPT)
	s_mov_b32 m0, ttmp2
.LBB66_2584:                            ; =>This Inner Loop Header: Depth=1
	s_sethalt 5
	s_branch .LBB66_2584
.LBB66_2585:
	s_mov_b32 s0, -1
	s_mov_b32 s2, 0
.LBB66_2586:
                                        ; implicit-def: $vgpr3
.LBB66_2587:
	s_and_b32 vcc_lo, exec_lo, s3
	s_cbranch_vccz .LBB66_2591
; %bb.2588:
	v_cmp_eq_u16_e32 vcc_lo, 44, v8
	s_cbranch_vccz .LBB66_2590
; %bb.2589:
	global_load_u8 v3, v[5:6], off
	s_mov_b32 s0, 0
	s_mov_b32 s2, -1
	s_waitcnt vmcnt(0)
	v_lshlrev_b32_e32 v7, 23, v3
	v_cmp_ne_u32_e32 vcc_lo, 0xff, v3
	s_delay_alu instid0(VALU_DEP_2) | instskip(SKIP_1) | instid1(VALU_DEP_2)
	v_cndmask_b32_e32 v7, 0x7f800001, v7, vcc_lo
	v_cmp_ne_u32_e32 vcc_lo, 0, v3
	v_cndmask_b32_e32 v3, 0x400000, v7, vcc_lo
	s_branch .LBB66_2591
.LBB66_2590:
	s_mov_b32 s0, -1
                                        ; implicit-def: $vgpr3
.LBB66_2591:
	s_mov_b32 s3, 0
.LBB66_2592:
	s_delay_alu instid0(SALU_CYCLE_1)
	s_and_b32 vcc_lo, exec_lo, s3
	s_cbranch_vccz .LBB66_2596
; %bb.2593:
	v_cmp_eq_u16_e32 vcc_lo, 29, v8
	s_cbranch_vccz .LBB66_2595
; %bb.2594:
	global_load_b64 v[11:12], v[5:6], off
	s_mov_b32 s0, 0
	s_mov_b32 s2, -1
	s_mov_b32 s3, 0
	s_waitcnt vmcnt(0)
	v_clz_i32_u32_e32 v3, v12
	s_delay_alu instid0(VALU_DEP_1) | instskip(NEXT) | instid1(VALU_DEP_1)
	v_min_u32_e32 v3, 32, v3
	v_lshlrev_b64 v[11:12], v3, v[11:12]
	v_sub_nc_u32_e32 v3, 32, v3
	s_delay_alu instid0(VALU_DEP_2) | instskip(NEXT) | instid1(VALU_DEP_1)
	v_min_u32_e32 v7, 1, v11
	v_or_b32_e32 v7, v12, v7
	s_delay_alu instid0(VALU_DEP_1) | instskip(NEXT) | instid1(VALU_DEP_1)
	v_cvt_f32_u32_e32 v7, v7
	v_ldexp_f32 v3, v7, v3
	s_branch .LBB66_2597
.LBB66_2595:
	s_mov_b32 s0, -1
                                        ; implicit-def: $vgpr3
.LBB66_2596:
	s_mov_b32 s3, 0
.LBB66_2597:
	s_delay_alu instid0(SALU_CYCLE_1)
	s_and_b32 vcc_lo, exec_lo, s3
	s_cbranch_vccz .LBB66_2615
; %bb.2598:
	v_cmp_gt_i16_e32 vcc_lo, 27, v8
	s_cbranch_vccnz .LBB66_2601
; %bb.2599:
	v_cmp_lt_i16_e32 vcc_lo, 27, v8
	s_cbranch_vccz .LBB66_2602
; %bb.2600:
	global_load_b32 v3, v[5:6], off
	s_mov_b32 s2, 0
	s_waitcnt vmcnt(0)
	v_cvt_f32_u32_e32 v3, v3
	s_branch .LBB66_2603
.LBB66_2601:
	s_mov_b32 s2, -1
                                        ; implicit-def: $vgpr3
	s_branch .LBB66_2606
.LBB66_2602:
	s_mov_b32 s2, -1
                                        ; implicit-def: $vgpr3
.LBB66_2603:
	s_delay_alu instid0(SALU_CYCLE_1)
	s_and_not1_b32 vcc_lo, exec_lo, s2
	s_cbranch_vccnz .LBB66_2605
; %bb.2604:
	global_load_u16 v3, v[5:6], off
	s_waitcnt vmcnt(0)
	v_cvt_f32_u32_e32 v3, v3
.LBB66_2605:
	s_mov_b32 s2, 0
.LBB66_2606:
	s_delay_alu instid0(SALU_CYCLE_1)
	s_and_not1_b32 vcc_lo, exec_lo, s2
	s_cbranch_vccnz .LBB66_2614
; %bb.2607:
	global_load_u8 v7, v[5:6], off
	s_mov_b32 s2, 0
	s_mov_b32 s6, exec_lo
                                        ; implicit-def: $sgpr3
	s_waitcnt vmcnt(0)
	v_cmpx_lt_i16_e32 0x7f, v7
	s_xor_b32 s6, exec_lo, s6
	s_cbranch_execz .LBB66_2628
; %bb.2608:
	s_mov_b32 s2, -1
	s_mov_b32 s7, exec_lo
                                        ; implicit-def: $sgpr3
	v_cmpx_eq_u16_e32 0x80, v7
; %bb.2609:
	s_mov_b32 s3, 0x7f800001
	s_xor_b32 s2, exec_lo, -1
; %bb.2610:
	s_or_b32 exec_lo, exec_lo, s7
	s_delay_alu instid0(SALU_CYCLE_1)
	s_and_b32 s2, s2, exec_lo
	s_or_saveexec_b32 s6, s6
	v_mov_b32_e32 v3, s3
	s_xor_b32 exec_lo, exec_lo, s6
	s_cbranch_execnz .LBB66_2629
.LBB66_2611:
	s_or_b32 exec_lo, exec_lo, s6
	s_and_saveexec_b32 s3, s2
	s_cbranch_execz .LBB66_2613
.LBB66_2612:
	v_and_b32_e32 v3, 0xffff, v7
	v_lshlrev_b32_e32 v7, 24, v7
	s_delay_alu instid0(VALU_DEP_2) | instskip(NEXT) | instid1(VALU_DEP_2)
	v_and_b32_e32 v11, 7, v3
	v_and_b32_e32 v7, 0x80000000, v7
	s_delay_alu instid0(VALU_DEP_2) | instskip(NEXT) | instid1(VALU_DEP_1)
	v_clz_i32_u32_e32 v12, v11
	v_min_u32_e32 v12, 32, v12
	s_delay_alu instid0(VALU_DEP_1) | instskip(SKIP_1) | instid1(VALU_DEP_2)
	v_subrev_nc_u32_e32 v13, 28, v12
	v_sub_nc_u32_e32 v12, 29, v12
	v_lshlrev_b32_e32 v13, v13, v3
	v_bfe_u32 v3, v3, 3, 4
	s_delay_alu instid0(VALU_DEP_2) | instskip(NEXT) | instid1(VALU_DEP_2)
	v_and_b32_e32 v13, 7, v13
	v_cmp_eq_u32_e32 vcc_lo, 0, v3
	v_cndmask_b32_e32 v3, v3, v12, vcc_lo
	s_delay_alu instid0(VALU_DEP_3) | instskip(NEXT) | instid1(VALU_DEP_2)
	v_cndmask_b32_e32 v11, v11, v13, vcc_lo
	v_lshl_add_u32 v3, v3, 23, 0x3b800000
	s_delay_alu instid0(VALU_DEP_2) | instskip(NEXT) | instid1(VALU_DEP_1)
	v_lshlrev_b32_e32 v11, 20, v11
	v_or3_b32 v3, v7, v3, v11
.LBB66_2613:
	s_or_b32 exec_lo, exec_lo, s3
.LBB66_2614:
	s_mov_b32 s2, -1
.LBB66_2615:
	s_mov_b32 s3, 0
.LBB66_2616:
	s_delay_alu instid0(SALU_CYCLE_1)
	s_and_b32 vcc_lo, exec_lo, s3
	s_cbranch_vccz .LBB66_2649
; %bb.2617:
	v_cmp_lt_i16_e32 vcc_lo, 22, v8
	s_cbranch_vccz .LBB66_2627
; %bb.2618:
	v_cmp_gt_i16_e32 vcc_lo, 24, v8
	s_cbranch_vccnz .LBB66_2630
; %bb.2619:
	v_cmp_lt_i16_e32 vcc_lo, 24, v8
	s_cbranch_vccz .LBB66_2631
; %bb.2620:
	global_load_u8 v7, v[5:6], off
	s_mov_b32 s3, exec_lo
                                        ; implicit-def: $sgpr2
	s_waitcnt vmcnt(0)
	v_cmpx_lt_i16_e32 0x7f, v7
	s_xor_b32 s3, exec_lo, s3
	s_cbranch_execz .LBB66_2643
; %bb.2621:
	s_mov_b32 s1, -1
	s_mov_b32 s6, exec_lo
                                        ; implicit-def: $sgpr2
	v_cmpx_eq_u16_e32 0x80, v7
; %bb.2622:
	s_mov_b32 s2, 0x7f800001
	s_xor_b32 s1, exec_lo, -1
; %bb.2623:
	s_or_b32 exec_lo, exec_lo, s6
	s_delay_alu instid0(SALU_CYCLE_1)
	s_and_b32 s1, s1, exec_lo
	s_or_saveexec_b32 s3, s3
	v_mov_b32_e32 v3, s2
	s_xor_b32 exec_lo, exec_lo, s3
	s_cbranch_execnz .LBB66_2644
.LBB66_2624:
	s_or_b32 exec_lo, exec_lo, s3
	s_and_saveexec_b32 s2, s1
	s_cbranch_execz .LBB66_2626
.LBB66_2625:
	v_and_b32_e32 v3, 0xffff, v7
	v_lshlrev_b32_e32 v7, 24, v7
	s_delay_alu instid0(VALU_DEP_2) | instskip(NEXT) | instid1(VALU_DEP_2)
	v_and_b32_e32 v11, 3, v3
	v_and_b32_e32 v7, 0x80000000, v7
	s_delay_alu instid0(VALU_DEP_2) | instskip(NEXT) | instid1(VALU_DEP_1)
	v_clz_i32_u32_e32 v12, v11
	v_min_u32_e32 v12, 32, v12
	s_delay_alu instid0(VALU_DEP_1) | instskip(SKIP_1) | instid1(VALU_DEP_2)
	v_subrev_nc_u32_e32 v13, 29, v12
	v_sub_nc_u32_e32 v12, 30, v12
	v_lshlrev_b32_e32 v13, v13, v3
	v_bfe_u32 v3, v3, 2, 5
	s_delay_alu instid0(VALU_DEP_2) | instskip(NEXT) | instid1(VALU_DEP_2)
	v_and_b32_e32 v13, 3, v13
	v_cmp_eq_u32_e32 vcc_lo, 0, v3
	v_cndmask_b32_e32 v3, v3, v12, vcc_lo
	s_delay_alu instid0(VALU_DEP_3) | instskip(NEXT) | instid1(VALU_DEP_2)
	v_cndmask_b32_e32 v11, v11, v13, vcc_lo
	v_lshl_add_u32 v3, v3, 23, 0x37800000
	s_delay_alu instid0(VALU_DEP_2) | instskip(NEXT) | instid1(VALU_DEP_1)
	v_lshlrev_b32_e32 v11, 21, v11
	v_or3_b32 v3, v7, v3, v11
.LBB66_2626:
	s_or_b32 exec_lo, exec_lo, s2
	s_mov_b32 s1, 0
	s_branch .LBB66_2632
.LBB66_2627:
	s_mov_b32 s1, -1
                                        ; implicit-def: $vgpr3
	s_branch .LBB66_2638
.LBB66_2628:
	s_or_saveexec_b32 s6, s6
	v_mov_b32_e32 v3, s3
	s_xor_b32 exec_lo, exec_lo, s6
	s_cbranch_execz .LBB66_2611
.LBB66_2629:
	v_cmp_ne_u16_e32 vcc_lo, 0, v7
	v_mov_b32_e32 v3, 0
	s_and_not1_b32 s2, s2, exec_lo
	s_and_b32 s3, vcc_lo, exec_lo
	s_delay_alu instid0(SALU_CYCLE_1)
	s_or_b32 s2, s2, s3
	s_or_b32 exec_lo, exec_lo, s6
	s_and_saveexec_b32 s3, s2
	s_cbranch_execnz .LBB66_2612
	s_branch .LBB66_2613
.LBB66_2630:
	s_mov_b32 s1, -1
                                        ; implicit-def: $vgpr3
	s_branch .LBB66_2635
.LBB66_2631:
	s_mov_b32 s1, -1
                                        ; implicit-def: $vgpr3
.LBB66_2632:
	s_delay_alu instid0(SALU_CYCLE_1)
	s_and_b32 vcc_lo, exec_lo, s1
	s_cbranch_vccz .LBB66_2634
; %bb.2633:
	global_load_u8 v3, v[5:6], off
	s_waitcnt vmcnt(0)
	v_lshlrev_b32_e32 v3, 24, v3
	s_delay_alu instid0(VALU_DEP_1) | instskip(NEXT) | instid1(VALU_DEP_1)
	v_and_b32_e32 v7, 0x7f000000, v3
	v_clz_i32_u32_e32 v11, v7
	v_add_nc_u32_e32 v13, 0x1000000, v7
	v_cmp_ne_u32_e32 vcc_lo, 0, v7
	s_delay_alu instid0(VALU_DEP_3) | instskip(NEXT) | instid1(VALU_DEP_1)
	v_min_u32_e32 v11, 32, v11
	v_sub_nc_u32_e64 v11, v11, 4 clamp
	s_delay_alu instid0(VALU_DEP_1) | instskip(SKIP_1) | instid1(VALU_DEP_2)
	v_lshlrev_b32_e32 v12, v11, v7
	v_lshlrev_b32_e32 v11, 23, v11
	v_lshrrev_b32_e32 v12, 4, v12
	s_delay_alu instid0(VALU_DEP_1) | instskip(SKIP_1) | instid1(VALU_DEP_2)
	v_sub_nc_u32_e32 v11, v12, v11
	v_ashrrev_i32_e32 v12, 8, v13
	v_add_nc_u32_e32 v11, 0x3c000000, v11
	s_delay_alu instid0(VALU_DEP_1) | instskip(NEXT) | instid1(VALU_DEP_1)
	v_and_or_b32 v11, 0x7f800000, v12, v11
	v_cndmask_b32_e32 v7, 0, v11, vcc_lo
	s_delay_alu instid0(VALU_DEP_1)
	v_and_or_b32 v3, 0x80000000, v3, v7
.LBB66_2634:
	s_mov_b32 s1, 0
.LBB66_2635:
	s_delay_alu instid0(SALU_CYCLE_1)
	s_and_not1_b32 vcc_lo, exec_lo, s1
	s_cbranch_vccnz .LBB66_2637
; %bb.2636:
	global_load_u8 v3, v[5:6], off
	s_waitcnt vmcnt(0)
	v_lshlrev_b32_e32 v7, 25, v3
	v_lshlrev_b16 v3, 8, v3
	s_delay_alu instid0(VALU_DEP_1) | instskip(SKIP_1) | instid1(VALU_DEP_2)
	v_and_or_b32 v12, 0x7f00, v3, 0.5
	v_bfe_i32 v3, v3, 0, 16
	v_add_f32_e32 v12, -0.5, v12
	v_lshrrev_b32_e32 v11, 4, v7
	v_cmp_gt_u32_e32 vcc_lo, 0x8000000, v7
	s_delay_alu instid0(VALU_DEP_2) | instskip(NEXT) | instid1(VALU_DEP_1)
	v_or_b32_e32 v11, 0x70000000, v11
	v_mul_f32_e32 v11, 0x7800000, v11
	s_delay_alu instid0(VALU_DEP_1) | instskip(NEXT) | instid1(VALU_DEP_1)
	v_cndmask_b32_e32 v7, v11, v12, vcc_lo
	v_and_or_b32 v3, 0x80000000, v3, v7
.LBB66_2637:
	s_mov_b32 s1, 0
	s_mov_b32 s2, -1
.LBB66_2638:
	s_and_not1_b32 vcc_lo, exec_lo, s1
	s_mov_b32 s1, 0
	s_cbranch_vccnz .LBB66_2649
; %bb.2639:
	v_cmp_lt_i16_e32 vcc_lo, 14, v8
	s_cbranch_vccz .LBB66_2642
; %bb.2640:
	v_cmp_eq_u16_e32 vcc_lo, 15, v8
	s_cbranch_vccz .LBB66_2645
; %bb.2641:
	global_load_u16 v3, v[5:6], off
	s_mov_b32 s0, 0
	s_mov_b32 s2, -1
	s_waitcnt vmcnt(0)
	v_lshlrev_b32_e32 v3, 16, v3
	s_branch .LBB66_2647
.LBB66_2642:
	s_mov_b32 s1, -1
	s_branch .LBB66_2646
.LBB66_2643:
	s_or_saveexec_b32 s3, s3
	v_mov_b32_e32 v3, s2
	s_xor_b32 exec_lo, exec_lo, s3
	s_cbranch_execz .LBB66_2624
.LBB66_2644:
	v_cmp_ne_u16_e32 vcc_lo, 0, v7
	v_mov_b32_e32 v3, 0
	s_and_not1_b32 s1, s1, exec_lo
	s_and_b32 s2, vcc_lo, exec_lo
	s_delay_alu instid0(SALU_CYCLE_1)
	s_or_b32 s1, s1, s2
	s_or_b32 exec_lo, exec_lo, s3
	s_and_saveexec_b32 s2, s1
	s_cbranch_execnz .LBB66_2625
	s_branch .LBB66_2626
.LBB66_2645:
	s_mov_b32 s0, -1
.LBB66_2646:
                                        ; implicit-def: $vgpr3
.LBB66_2647:
	s_and_b32 vcc_lo, exec_lo, s1
	s_mov_b32 s1, 0
	s_cbranch_vccz .LBB66_2649
; %bb.2648:
	v_cmp_ne_u16_e64 s0, 11, v8
	s_mov_b32 s1, -1
                                        ; implicit-def: $vgpr3
.LBB66_2649:
	s_delay_alu instid0(VALU_DEP_1)
	s_and_b32 vcc_lo, exec_lo, s0
	s_cbranch_vccnz .LBB66_3195
; %bb.2650:
	s_and_not1_b32 vcc_lo, exec_lo, s1
	s_cbranch_vccnz .LBB66_2652
.LBB66_2651:
	global_load_u8 v3, v[5:6], off
	s_mov_b32 s2, -1
	s_waitcnt vmcnt(0)
	v_cmp_ne_u16_e32 vcc_lo, 0, v3
	v_cndmask_b32_e64 v3, 0, 1.0, vcc_lo
.LBB66_2652:
	s_mov_b32 s0, 0
.LBB66_2653:
	s_delay_alu instid0(SALU_CYCLE_1)
	s_and_b32 vcc_lo, exec_lo, s0
	s_cbranch_vccz .LBB66_2702
; %bb.2654:
	v_cmp_gt_i16_e32 vcc_lo, 5, v8
	s_cbranch_vccnz .LBB66_2659
; %bb.2655:
	v_cmp_gt_i16_e32 vcc_lo, 8, v8
	s_cbranch_vccnz .LBB66_2660
; %bb.2656:
	v_cmp_gt_i16_e32 vcc_lo, 9, v8
	s_cbranch_vccnz .LBB66_2661
; %bb.2657:
	v_cmp_lt_i16_e32 vcc_lo, 9, v8
	s_cbranch_vccz .LBB66_2662
; %bb.2658:
	global_load_b64 v[11:12], v[5:6], off
	s_mov_b32 s0, 0
	s_waitcnt vmcnt(0)
	v_cvt_f32_f64_e32 v3, v[11:12]
	s_branch .LBB66_2663
.LBB66_2659:
	s_mov_b32 s0, -1
                                        ; implicit-def: $vgpr3
	s_branch .LBB66_2681
.LBB66_2660:
	s_mov_b32 s0, -1
                                        ; implicit-def: $vgpr3
	s_branch .LBB66_2669
.LBB66_2661:
	s_mov_b32 s0, -1
                                        ; implicit-def: $vgpr3
	s_branch .LBB66_2666
.LBB66_2662:
	s_mov_b32 s0, -1
                                        ; implicit-def: $vgpr3
.LBB66_2663:
	s_delay_alu instid0(SALU_CYCLE_1)
	s_and_not1_b32 vcc_lo, exec_lo, s0
	s_cbranch_vccnz .LBB66_2665
; %bb.2664:
	global_load_b32 v3, v[5:6], off
.LBB66_2665:
	s_mov_b32 s0, 0
.LBB66_2666:
	s_delay_alu instid0(SALU_CYCLE_1)
	s_and_not1_b32 vcc_lo, exec_lo, s0
	s_cbranch_vccnz .LBB66_2668
; %bb.2667:
	global_load_b32 v3, v[5:6], off
	s_waitcnt vmcnt(0)
	v_cvt_f32_f16_e32 v3, v3
.LBB66_2668:
	s_mov_b32 s0, 0
.LBB66_2669:
	s_delay_alu instid0(SALU_CYCLE_1)
	s_and_not1_b32 vcc_lo, exec_lo, s0
	s_cbranch_vccnz .LBB66_2680
; %bb.2670:
	v_cmp_gt_i16_e32 vcc_lo, 6, v8
	s_cbranch_vccnz .LBB66_2673
; %bb.2671:
	v_cmp_lt_i16_e32 vcc_lo, 6, v8
	s_cbranch_vccz .LBB66_2674
; %bb.2672:
	global_load_b64 v[11:12], v[5:6], off
	s_mov_b32 s0, 0
	s_waitcnt vmcnt(0)
	v_cvt_f32_f64_e32 v3, v[11:12]
	s_branch .LBB66_2675
.LBB66_2673:
	s_mov_b32 s0, -1
                                        ; implicit-def: $vgpr3
	s_branch .LBB66_2678
.LBB66_2674:
	s_mov_b32 s0, -1
                                        ; implicit-def: $vgpr3
.LBB66_2675:
	s_delay_alu instid0(SALU_CYCLE_1)
	s_and_not1_b32 vcc_lo, exec_lo, s0
	s_cbranch_vccnz .LBB66_2677
; %bb.2676:
	global_load_b32 v3, v[5:6], off
.LBB66_2677:
	s_mov_b32 s0, 0
.LBB66_2678:
	s_delay_alu instid0(SALU_CYCLE_1)
	s_and_not1_b32 vcc_lo, exec_lo, s0
	s_cbranch_vccnz .LBB66_2680
; %bb.2679:
	global_load_u16 v3, v[5:6], off
	s_waitcnt vmcnt(0)
	v_cvt_f32_f16_e32 v3, v3
.LBB66_2680:
	s_mov_b32 s0, 0
.LBB66_2681:
	s_delay_alu instid0(SALU_CYCLE_1)
	s_and_not1_b32 vcc_lo, exec_lo, s0
	s_cbranch_vccnz .LBB66_2701
; %bb.2682:
	v_cmp_gt_i16_e32 vcc_lo, 2, v8
	s_cbranch_vccnz .LBB66_2686
; %bb.2683:
	v_cmp_gt_i16_e32 vcc_lo, 3, v8
	s_cbranch_vccnz .LBB66_2687
; %bb.2684:
	v_cmp_lt_i16_e32 vcc_lo, 3, v8
	s_cbranch_vccz .LBB66_2688
; %bb.2685:
	global_load_b64 v[11:12], v[5:6], off
	s_mov_b32 s0, 0
	s_waitcnt vmcnt(0)
	v_xor_b32_e32 v3, v11, v12
	v_cls_i32_e32 v7, v12
	s_delay_alu instid0(VALU_DEP_2) | instskip(NEXT) | instid1(VALU_DEP_2)
	v_ashrrev_i32_e32 v3, 31, v3
	v_add_nc_u32_e32 v7, -1, v7
	s_delay_alu instid0(VALU_DEP_2) | instskip(NEXT) | instid1(VALU_DEP_1)
	v_add_nc_u32_e32 v3, 32, v3
	v_min_u32_e32 v3, v7, v3
	s_delay_alu instid0(VALU_DEP_1) | instskip(SKIP_1) | instid1(VALU_DEP_2)
	v_lshlrev_b64 v[11:12], v3, v[11:12]
	v_sub_nc_u32_e32 v3, 32, v3
	v_min_u32_e32 v7, 1, v11
	s_delay_alu instid0(VALU_DEP_1) | instskip(NEXT) | instid1(VALU_DEP_1)
	v_or_b32_e32 v7, v12, v7
	v_cvt_f32_i32_e32 v7, v7
	s_delay_alu instid0(VALU_DEP_1)
	v_ldexp_f32 v3, v7, v3
	s_branch .LBB66_2689
.LBB66_2686:
	s_mov_b32 s0, -1
                                        ; implicit-def: $vgpr3
	s_branch .LBB66_2695
.LBB66_2687:
	s_mov_b32 s0, -1
                                        ; implicit-def: $vgpr3
	s_branch .LBB66_2692
.LBB66_2688:
	s_mov_b32 s0, -1
                                        ; implicit-def: $vgpr3
.LBB66_2689:
	s_delay_alu instid0(SALU_CYCLE_1)
	s_and_not1_b32 vcc_lo, exec_lo, s0
	s_cbranch_vccnz .LBB66_2691
; %bb.2690:
	global_load_b32 v3, v[5:6], off
	s_waitcnt vmcnt(0)
	v_cvt_f32_i32_e32 v3, v3
.LBB66_2691:
	s_mov_b32 s0, 0
.LBB66_2692:
	s_delay_alu instid0(SALU_CYCLE_1)
	s_and_not1_b32 vcc_lo, exec_lo, s0
	s_cbranch_vccnz .LBB66_2694
; %bb.2693:
	global_load_i16 v3, v[5:6], off
	s_waitcnt vmcnt(0)
	v_cvt_f32_i32_e32 v3, v3
.LBB66_2694:
	s_mov_b32 s0, 0
.LBB66_2695:
	s_delay_alu instid0(SALU_CYCLE_1)
	s_and_not1_b32 vcc_lo, exec_lo, s0
	s_cbranch_vccnz .LBB66_2701
; %bb.2696:
	v_cmp_lt_i16_e32 vcc_lo, 0, v8
	s_mov_b32 s0, 0
	s_cbranch_vccz .LBB66_2698
; %bb.2697:
	global_load_i8 v3, v[5:6], off
	s_waitcnt vmcnt(0)
	v_cvt_f32_i32_e32 v3, v3
	s_branch .LBB66_2699
.LBB66_2698:
	s_mov_b32 s0, -1
                                        ; implicit-def: $vgpr3
.LBB66_2699:
	s_delay_alu instid0(SALU_CYCLE_1)
	s_and_not1_b32 vcc_lo, exec_lo, s0
	s_cbranch_vccnz .LBB66_2701
; %bb.2700:
	global_load_u8 v3, v[5:6], off
	s_waitcnt vmcnt(0)
	v_cvt_f32_ubyte0_e32 v3, v3
.LBB66_2701:
	s_mov_b32 s2, -1
.LBB66_2702:
	s_delay_alu instid0(SALU_CYCLE_1)
	s_and_not1_b32 vcc_lo, exec_lo, s2
	s_cbranch_vccnz .LBB66_2793
; %bb.2703:
	s_waitcnt vmcnt(0)
	s_delay_alu instid0(VALU_DEP_1) | instskip(SKIP_1) | instid1(VALU_DEP_1)
	v_trunc_f32_e32 v5, v3
	s_mov_b32 s2, exec_lo
	v_mul_f32_e64 v6, 0x2f800000, |v5|
	s_delay_alu instid0(VALU_DEP_1) | instskip(NEXT) | instid1(VALU_DEP_1)
	v_floor_f32_e32 v6, v6
	v_fma_f32 v7, 0xcf800000, v6, |v5|
	v_ashrrev_i32_e32 v5, 31, v5
	v_cvt_u32_f32_e32 v6, v6
	s_delay_alu instid0(VALU_DEP_3) | instskip(NEXT) | instid1(VALU_DEP_2)
	v_cvt_u32_f32_e32 v7, v7
	v_xor_b32_e32 v6, v6, v5
	s_delay_alu instid0(VALU_DEP_2) | instskip(NEXT) | instid1(VALU_DEP_1)
	v_xor_b32_e32 v7, v7, v5
	v_sub_co_u32 v7, vcc_lo, v7, v5
	s_delay_alu instid0(VALU_DEP_3) | instskip(SKIP_2) | instid1(VALU_DEP_3)
	v_sub_co_ci_u32_e32 v5, vcc_lo, v6, v5, vcc_lo
	v_cmp_class_f32_e64 vcc_lo, v3, 0x1f8
	v_mov_b32_e32 v6, 0
	v_dual_cndmask_b32 v8, -1, v5 :: v_dual_cndmask_b32 v7, -1, v7
	s_delay_alu instid0(VALU_DEP_1)
	v_cmpx_lt_i64_e32 -1, v[7:8]
	s_cbranch_execz .LBB66_2715
; %bb.2704:
	v_mov_b32_e32 v6, 1.0
	s_mov_b32 s3, exec_lo
	v_cmpx_lt_i64_e32 0, v[7:8]
	s_cbranch_execz .LBB66_2714
; %bb.2705:
                                        ; implicit-def: $vgpr6
	s_mov_b32 s0, exec_lo
	v_cmpx_ne_u64_e32 1, v[7:8]
	s_xor_b32 s6, exec_lo, s0
	s_cbranch_execz .LBB66_2711
; %bb.2706:
	v_mov_b32_e32 v6, 0x7fc00000
	s_mov_b32 s7, exec_lo
	v_cmpx_gt_u64_e32 0x81, v[7:8]
	s_cbranch_execz .LBB66_2710
; %bb.2707:
	v_add_f32_e32 v1, v1, v1
	v_lshlrev_b64 v[7:8], 1, v[7:8]
	v_mov_b32_e32 v3, 1.0
	s_mov_b64 s[0:1], 2
	s_mov_b32 s9, 0
	v_mov_b32_e32 v6, v1
.LBB66_2708:                            ; =>This Inner Loop Header: Depth=1
	s_clz_i32_u32 s10, s1
	s_delay_alu instid0(SALU_CYCLE_1) | instskip(NEXT) | instid1(SALU_CYCLE_1)
	s_min_u32 s10, s10, 32
	s_lshl_b64 s[14:15], s[0:1], s10
	s_sub_i32 s10, 32, s10
	s_min_u32 s14, s14, 1
	s_delay_alu instid0(SALU_CYCLE_1) | instskip(SKIP_3) | instid1(SALU_CYCLE_1)
	s_or_b32 s14, s15, s14
	s_add_u32 s0, s0, 2
	v_cvt_f32_u32_e32 v5, s14
	s_addc_u32 s1, s1, 0
	v_cmp_ge_u64_e32 vcc_lo, s[0:1], v[7:8]
	s_delay_alu instid0(VALU_DEP_2) | instskip(SKIP_1) | instid1(VALU_DEP_1)
	v_ldexp_f32 v5, v5, s10
	s_or_b32 s9, vcc_lo, s9
	v_mul_f32_e32 v5, v3, v5
	v_mov_b32_e32 v3, v6
	s_delay_alu instid0(VALU_DEP_2)
	v_fma_f32 v6, v1, v6, -v5
	s_and_not1_b32 exec_lo, exec_lo, s9
	s_cbranch_execnz .LBB66_2708
; %bb.2709:
	s_or_b32 exec_lo, exec_lo, s9
.LBB66_2710:
	s_delay_alu instid0(SALU_CYCLE_1)
	s_or_b32 exec_lo, exec_lo, s7
                                        ; implicit-def: $vgpr1
.LBB66_2711:
	s_and_not1_saveexec_b32 s0, s6
; %bb.2712:
	v_add_f32_e32 v6, v1, v1
; %bb.2713:
	s_or_b32 exec_lo, exec_lo, s0
.LBB66_2714:
	s_delay_alu instid0(SALU_CYCLE_1)
	s_or_b32 exec_lo, exec_lo, s3
.LBB66_2715:
	s_delay_alu instid0(SALU_CYCLE_1) | instskip(SKIP_2) | instid1(VALU_DEP_1)
	s_or_b32 exec_lo, exec_lo, s2
	v_mul_lo_u32 v3, s8, v10
	v_and_b32_e32 v11, 0xff, v9
	v_cmp_gt_i16_e32 vcc_lo, 11, v11
	s_delay_alu instid0(VALU_DEP_3) | instskip(SKIP_1) | instid1(VALU_DEP_1)
	v_ashrrev_i32_e32 v1, 31, v3
	v_add_co_u32 v7, s0, s4, v3
	v_add_co_ci_u32_e64 v8, s0, s5, v1, s0
	s_cbranch_vccnz .LBB66_2838
; %bb.2716:
	v_cmp_lt_i16_e32 vcc_lo, 25, v11
	s_mov_b32 s3, -1
	s_mov_b32 s1, 0
	s_mov_b32 s2, 0
	;; [unrolled: 1-line block ×3, first 2 shown]
	s_cbranch_vccz .LBB66_2749
; %bb.2717:
	v_cmp_lt_i16_e32 vcc_lo, 28, v11
	s_cbranch_vccz .LBB66_2732
; %bb.2718:
	v_cmp_lt_i16_e32 vcc_lo, 43, v11
	;; [unrolled: 3-line block ×3, first 2 shown]
	s_cbranch_vccz .LBB66_2722
; %bb.2720:
	v_cmp_eq_u16_e32 vcc_lo, 46, v11
	s_mov_b32 s0, -1
	s_mov_b32 s3, 0
	s_cbranch_vccz .LBB66_2722
; %bb.2721:
	v_bfe_u32 v1, v0, 16, 1
	v_cmp_o_f32_e32 vcc_lo, v0, v0
	s_mov_b32 s0, 0
	s_mov_b32 s2, -1
	s_delay_alu instid0(VALU_DEP_2) | instskip(NEXT) | instid1(VALU_DEP_1)
	v_add3_u32 v1, v0, v1, 0x7fff
	v_lshrrev_b32_e32 v1, 16, v1
	s_delay_alu instid0(VALU_DEP_1)
	v_cndmask_b32_e32 v1, 0x7fc0, v1, vcc_lo
	global_store_b32 v[7:8], v1, off
.LBB66_2722:
	s_and_b32 vcc_lo, exec_lo, s3
	s_cbranch_vccz .LBB66_2727
; %bb.2723:
	v_cmp_eq_u16_e32 vcc_lo, 44, v11
	s_mov_b32 s0, -1
	s_cbranch_vccz .LBB66_2727
; %bb.2724:
	v_bfe_u32 v5, v0, 23, 8
	v_mov_b32_e32 v1, 0xff
	s_mov_b32 s2, exec_lo
	s_delay_alu instid0(VALU_DEP_2)
	v_cmpx_ne_u32_e32 0xff, v5
; %bb.2725:
	v_and_b32_e32 v1, 0x400000, v0
	v_and_or_b32 v5, 0x3fffff, v0, v5
	s_delay_alu instid0(VALU_DEP_2) | instskip(NEXT) | instid1(VALU_DEP_2)
	v_cmp_ne_u32_e32 vcc_lo, 0, v1
	v_cmp_ne_u32_e64 s0, 0, v5
	v_lshrrev_b32_e32 v1, 23, v0
	s_delay_alu instid0(VALU_DEP_2) | instskip(NEXT) | instid1(SALU_CYCLE_1)
	s_and_b32 s0, vcc_lo, s0
	v_cndmask_b32_e64 v5, 0, 1, s0
	s_delay_alu instid0(VALU_DEP_1)
	v_add_nc_u32_e32 v1, v1, v5
; %bb.2726:
	s_or_b32 exec_lo, exec_lo, s2
	s_mov_b32 s0, 0
	s_mov_b32 s2, -1
	global_store_b8 v[7:8], v1, off
.LBB66_2727:
	s_mov_b32 s3, 0
.LBB66_2728:
	s_delay_alu instid0(SALU_CYCLE_1)
	s_and_b32 vcc_lo, exec_lo, s3
	s_cbranch_vccz .LBB66_2731
; %bb.2729:
	v_cmp_eq_u16_e32 vcc_lo, 29, v11
	s_mov_b32 s0, -1
	s_cbranch_vccz .LBB66_2731
; %bb.2730:
	v_trunc_f32_e32 v1, v0
	s_mov_b32 s0, 0
	s_mov_b32 s2, -1
	s_delay_alu instid0(VALU_DEP_1) | instskip(NEXT) | instid1(VALU_DEP_1)
	v_mul_f32_e32 v5, 0x2f800000, v1
	v_floor_f32_e32 v5, v5
	s_delay_alu instid0(VALU_DEP_1) | instskip(SKIP_1) | instid1(VALU_DEP_2)
	v_fmamk_f32 v1, v5, 0xcf800000, v1
	v_cvt_u32_f32_e32 v10, v5
	v_cvt_u32_f32_e32 v9, v1
	global_store_b64 v[7:8], v[9:10], off
.LBB66_2731:
	s_mov_b32 s3, 0
.LBB66_2732:
	s_delay_alu instid0(SALU_CYCLE_1)
	s_and_b32 vcc_lo, exec_lo, s3
	s_cbranch_vccz .LBB66_2748
; %bb.2733:
	v_cmp_gt_i16_e32 vcc_lo, 27, v11
	s_mov_b32 s2, -1
	s_cbranch_vccnz .LBB66_2739
; %bb.2734:
	v_cmp_lt_i16_e32 vcc_lo, 27, v11
	v_cvt_u32_f32_e32 v1, v0
	s_cbranch_vccz .LBB66_2736
; %bb.2735:
	s_mov_b32 s2, 0
	global_store_b32 v[7:8], v1, off
.LBB66_2736:
	s_and_not1_b32 vcc_lo, exec_lo, s2
	s_cbranch_vccnz .LBB66_2738
; %bb.2737:
	global_store_b16 v[7:8], v1, off
.LBB66_2738:
	s_mov_b32 s2, 0
.LBB66_2739:
	s_delay_alu instid0(SALU_CYCLE_1)
	s_and_not1_b32 vcc_lo, exec_lo, s2
	s_cbranch_vccnz .LBB66_2747
; %bb.2740:
	v_and_b32_e32 v1, 0x7fffffff, v0
	v_mov_b32_e32 v5, 0x80
	s_mov_b32 s2, exec_lo
	s_delay_alu instid0(VALU_DEP_2)
	v_cmpx_gt_u32_e32 0x43800000, v1
	s_cbranch_execz .LBB66_2746
; %bb.2741:
	v_cmp_lt_u32_e32 vcc_lo, 0x3bffffff, v1
	s_mov_b32 s3, 0
                                        ; implicit-def: $vgpr1
	s_and_saveexec_b32 s6, vcc_lo
	s_delay_alu instid0(SALU_CYCLE_1)
	s_xor_b32 s6, exec_lo, s6
	s_cbranch_execz .LBB66_3197
; %bb.2742:
	v_bfe_u32 v1, v0, 20, 1
	s_mov_b32 s3, exec_lo
	s_delay_alu instid0(VALU_DEP_1) | instskip(NEXT) | instid1(VALU_DEP_1)
	v_add3_u32 v1, v0, v1, 0x487ffff
	v_lshrrev_b32_e32 v1, 20, v1
	s_or_saveexec_b32 s6, s6
                                        ; implicit-def: $sgpr7
	s_delay_alu instid0(SALU_CYCLE_1)
	s_xor_b32 exec_lo, exec_lo, s6
	s_cbranch_execnz .LBB66_3198
.LBB66_2743:
	s_or_b32 exec_lo, exec_lo, s6
	v_mov_b32_e32 v5, s7
	s_and_saveexec_b32 s6, s3
.LBB66_2744:
	v_lshrrev_b32_e32 v5, 24, v0
	s_delay_alu instid0(VALU_DEP_1)
	v_and_or_b32 v5, 0x80, v5, v1
.LBB66_2745:
	s_or_b32 exec_lo, exec_lo, s6
.LBB66_2746:
	s_delay_alu instid0(SALU_CYCLE_1)
	s_or_b32 exec_lo, exec_lo, s2
	global_store_b8 v[7:8], v5, off
.LBB66_2747:
	s_mov_b32 s2, -1
.LBB66_2748:
	s_mov_b32 s3, 0
.LBB66_2749:
	s_delay_alu instid0(SALU_CYCLE_1)
	s_and_b32 vcc_lo, exec_lo, s3
	s_cbranch_vccz .LBB66_2789
; %bb.2750:
	v_cmp_lt_i16_e32 vcc_lo, 22, v11
	s_mov_b32 s1, -1
	s_cbranch_vccz .LBB66_2782
; %bb.2751:
	v_cmp_gt_i16_e32 vcc_lo, 24, v11
	s_cbranch_vccnz .LBB66_2771
; %bb.2752:
	v_cmp_lt_i16_e32 vcc_lo, 24, v11
	s_cbranch_vccz .LBB66_2760
; %bb.2753:
	v_and_b32_e32 v1, 0x7fffffff, v0
	v_mov_b32_e32 v5, 0x80
	s_mov_b32 s1, exec_lo
	s_delay_alu instid0(VALU_DEP_2)
	v_cmpx_gt_u32_e32 0x47800000, v1
	s_cbranch_execz .LBB66_2759
; %bb.2754:
	v_cmp_lt_u32_e32 vcc_lo, 0x37ffffff, v1
	s_mov_b32 s2, 0
                                        ; implicit-def: $vgpr1
	s_and_saveexec_b32 s3, vcc_lo
	s_delay_alu instid0(SALU_CYCLE_1)
	s_xor_b32 s3, exec_lo, s3
	s_cbranch_execz .LBB66_3203
; %bb.2755:
	v_bfe_u32 v1, v0, 21, 1
	s_mov_b32 s2, exec_lo
	s_delay_alu instid0(VALU_DEP_1) | instskip(NEXT) | instid1(VALU_DEP_1)
	v_add3_u32 v1, v0, v1, 0x88fffff
	v_lshrrev_b32_e32 v1, 21, v1
	s_or_saveexec_b32 s3, s3
                                        ; implicit-def: $sgpr6
	s_delay_alu instid0(SALU_CYCLE_1)
	s_xor_b32 exec_lo, exec_lo, s3
	s_cbranch_execnz .LBB66_3204
.LBB66_2756:
	s_or_b32 exec_lo, exec_lo, s3
	v_mov_b32_e32 v5, s6
	s_and_saveexec_b32 s3, s2
.LBB66_2757:
	v_lshrrev_b32_e32 v5, 24, v0
	s_delay_alu instid0(VALU_DEP_1)
	v_and_or_b32 v5, 0x80, v5, v1
.LBB66_2758:
	s_or_b32 exec_lo, exec_lo, s3
.LBB66_2759:
	s_delay_alu instid0(SALU_CYCLE_1)
	s_or_b32 exec_lo, exec_lo, s1
	s_mov_b32 s1, 0
	global_store_b8 v[7:8], v5, off
.LBB66_2760:
	s_and_b32 vcc_lo, exec_lo, s1
	s_cbranch_vccz .LBB66_2770
; %bb.2761:
	v_and_b32_e32 v5, 0x7fffffff, v0
	s_mov_b32 s1, exec_lo
                                        ; implicit-def: $vgpr1
	s_delay_alu instid0(VALU_DEP_1)
	v_cmpx_gt_u32_e32 0x43f00000, v5
	s_xor_b32 s1, exec_lo, s1
	s_cbranch_execz .LBB66_2767
; %bb.2762:
	s_mov_b32 s2, exec_lo
                                        ; implicit-def: $vgpr1
	v_cmpx_lt_u32_e32 0x3c7fffff, v5
	s_xor_b32 s2, exec_lo, s2
; %bb.2763:
	v_bfe_u32 v1, v0, 20, 1
	s_delay_alu instid0(VALU_DEP_1) | instskip(NEXT) | instid1(VALU_DEP_1)
	v_add3_u32 v1, v0, v1, 0x407ffff
	v_and_b32_e32 v5, 0xff00000, v1
	v_lshrrev_b32_e32 v1, 20, v1
	s_delay_alu instid0(VALU_DEP_2) | instskip(NEXT) | instid1(VALU_DEP_2)
	v_cmp_ne_u32_e32 vcc_lo, 0x7f00000, v5
	v_cndmask_b32_e32 v1, 0x7e, v1, vcc_lo
; %bb.2764:
	s_and_not1_saveexec_b32 s2, s2
; %bb.2765:
	v_add_f32_e64 v1, 0x46800000, |v0|
; %bb.2766:
	s_or_b32 exec_lo, exec_lo, s2
                                        ; implicit-def: $vgpr5
.LBB66_2767:
	s_and_not1_saveexec_b32 s1, s1
; %bb.2768:
	v_mov_b32_e32 v1, 0x7f
	v_cmp_lt_u32_e32 vcc_lo, 0x7f800000, v5
	s_delay_alu instid0(VALU_DEP_2)
	v_cndmask_b32_e32 v1, 0x7e, v1, vcc_lo
; %bb.2769:
	s_or_b32 exec_lo, exec_lo, s1
	v_lshrrev_b32_e32 v5, 24, v0
	s_delay_alu instid0(VALU_DEP_1)
	v_and_or_b32 v1, 0x80, v5, v1
	global_store_b8 v[7:8], v1, off
.LBB66_2770:
	s_mov_b32 s1, 0
.LBB66_2771:
	s_delay_alu instid0(SALU_CYCLE_1)
	s_and_not1_b32 vcc_lo, exec_lo, s1
	s_cbranch_vccnz .LBB66_2781
; %bb.2772:
	v_and_b32_e32 v5, 0x7fffffff, v0
	s_mov_b32 s1, exec_lo
                                        ; implicit-def: $vgpr1
	s_delay_alu instid0(VALU_DEP_1)
	v_cmpx_gt_u32_e32 0x47800000, v5
	s_xor_b32 s1, exec_lo, s1
	s_cbranch_execz .LBB66_2778
; %bb.2773:
	s_mov_b32 s2, exec_lo
                                        ; implicit-def: $vgpr1
	v_cmpx_lt_u32_e32 0x387fffff, v5
	s_xor_b32 s2, exec_lo, s2
; %bb.2774:
	v_bfe_u32 v1, v0, 21, 1
	s_delay_alu instid0(VALU_DEP_1) | instskip(NEXT) | instid1(VALU_DEP_1)
	v_add3_u32 v1, v0, v1, 0x80fffff
	v_lshrrev_b32_e32 v1, 21, v1
; %bb.2775:
	s_and_not1_saveexec_b32 s2, s2
; %bb.2776:
	v_add_f32_e64 v1, 0x43000000, |v0|
; %bb.2777:
	s_or_b32 exec_lo, exec_lo, s2
                                        ; implicit-def: $vgpr5
.LBB66_2778:
	s_and_not1_saveexec_b32 s1, s1
; %bb.2779:
	v_mov_b32_e32 v1, 0x7f
	v_cmp_lt_u32_e32 vcc_lo, 0x7f800000, v5
	s_delay_alu instid0(VALU_DEP_2)
	v_cndmask_b32_e32 v1, 0x7c, v1, vcc_lo
; %bb.2780:
	s_or_b32 exec_lo, exec_lo, s1
	v_lshrrev_b32_e32 v5, 24, v0
	s_delay_alu instid0(VALU_DEP_1)
	v_and_or_b32 v1, 0x80, v5, v1
	global_store_b8 v[7:8], v1, off
.LBB66_2781:
	s_mov_b32 s1, 0
	s_mov_b32 s2, -1
.LBB66_2782:
	s_and_not1_b32 vcc_lo, exec_lo, s1
	s_mov_b32 s1, 0
	s_cbranch_vccnz .LBB66_2789
; %bb.2783:
	v_cmp_lt_i16_e32 vcc_lo, 14, v11
	s_mov_b32 s1, -1
	s_cbranch_vccz .LBB66_2787
; %bb.2784:
	v_cmp_eq_u16_e32 vcc_lo, 15, v11
	s_mov_b32 s0, -1
	s_cbranch_vccz .LBB66_2786
; %bb.2785:
	v_bfe_u32 v1, v0, 16, 1
	v_cmp_o_f32_e32 vcc_lo, v0, v0
	s_mov_b32 s0, 0
	s_mov_b32 s2, -1
	s_delay_alu instid0(VALU_DEP_2) | instskip(NEXT) | instid1(VALU_DEP_1)
	v_add3_u32 v1, v0, v1, 0x7fff
	v_lshrrev_b32_e32 v1, 16, v1
	s_delay_alu instid0(VALU_DEP_1)
	v_cndmask_b32_e32 v1, 0x7fc0, v1, vcc_lo
	global_store_b16 v[7:8], v1, off
.LBB66_2786:
	s_mov_b32 s1, 0
.LBB66_2787:
	s_delay_alu instid0(SALU_CYCLE_1)
	s_and_b32 vcc_lo, exec_lo, s1
	s_mov_b32 s1, 0
	s_cbranch_vccz .LBB66_2789
; %bb.2788:
	v_cmp_ne_u16_e64 s0, 11, v11
	s_mov_b32 s1, -1
.LBB66_2789:
	s_delay_alu instid0(VALU_DEP_1)
	s_and_b32 vcc_lo, exec_lo, s0
	s_cbranch_vccnz .LBB66_3201
; %bb.2790:
	s_and_not1_b32 vcc_lo, exec_lo, s1
	s_cbranch_vccnz .LBB66_2792
.LBB66_2791:
	v_cmp_neq_f32_e32 vcc_lo, 0, v0
	s_mov_b32 s2, -1
	v_cndmask_b32_e64 v1, 0, 1, vcc_lo
	global_store_b8 v[7:8], v1, off
.LBB66_2792:
	s_mov_b32 s0, 0
	s_branch .LBB66_2839
.LBB66_2793:
	s_mov_b32 s0, 0
	s_mov_b32 s1, 0
                                        ; implicit-def: $vgpr11
                                        ; implicit-def: $vgpr0_vgpr1
                                        ; implicit-def: $vgpr6
.LBB66_2794:
	s_and_not1_b32 s2, s13, exec_lo
	s_and_b32 s3, s11, exec_lo
	s_and_b32 s0, s0, exec_lo
	s_and_b32 s11, s1, exec_lo
	s_or_b32 s13, s2, s3
.LBB66_2795:
	s_or_b32 exec_lo, exec_lo, s12
	s_and_saveexec_b32 s1, s13
	s_cbranch_execz .LBB66_2798
; %bb.2796:
	; divergent unreachable
	s_or_b32 exec_lo, exec_lo, s1
	s_and_saveexec_b32 s1, s11
	s_delay_alu instid0(SALU_CYCLE_1)
	s_xor_b32 s1, exec_lo, s1
	s_cbranch_execnz .LBB66_2799
.LBB66_2797:
	s_or_b32 exec_lo, exec_lo, s1
	s_and_saveexec_b32 s1, s0
	s_cbranch_execnz .LBB66_2800
	s_branch .LBB66_2837
.LBB66_2798:
	s_or_b32 exec_lo, exec_lo, s1
	s_and_saveexec_b32 s1, s11
	s_delay_alu instid0(SALU_CYCLE_1)
	s_xor_b32 s1, exec_lo, s1
	s_cbranch_execz .LBB66_2797
.LBB66_2799:
	s_waitcnt vmcnt(0)
	v_cmp_neq_f32_e32 vcc_lo, 0, v6
	v_cndmask_b32_e64 v2, 0, 1, vcc_lo
	global_store_b8 v[0:1], v2, off
	s_or_b32 exec_lo, exec_lo, s1
	s_and_saveexec_b32 s1, s0
	s_cbranch_execz .LBB66_2837
.LBB66_2800:
	s_waitcnt vmcnt(0)
	v_cmp_gt_i16_e32 vcc_lo, 5, v11
	s_mov_b32 s0, -1
	s_cbranch_vccnz .LBB66_2821
; %bb.2801:
	v_cmp_gt_i16_e32 vcc_lo, 8, v11
	s_cbranch_vccnz .LBB66_2811
; %bb.2802:
	v_cmp_gt_i16_e32 vcc_lo, 9, v11
	s_cbranch_vccnz .LBB66_2808
; %bb.2803:
	v_cmp_lt_i16_e32 vcc_lo, 9, v11
	s_cbranch_vccz .LBB66_2805
; %bb.2804:
	v_cvt_f64_f32_e32 v[2:3], v6
	v_mov_b32_e32 v4, 0
	s_mov_b32 s0, 0
	s_delay_alu instid0(VALU_DEP_1)
	v_mov_b32_e32 v5, v4
	global_store_b128 v[0:1], v[2:5], off
.LBB66_2805:
	s_and_not1_b32 vcc_lo, exec_lo, s0
	s_cbranch_vccnz .LBB66_2807
; %bb.2806:
	v_mov_b32_e32 v7, 0
	global_store_b64 v[0:1], v[6:7], off
.LBB66_2807:
	s_mov_b32 s0, 0
.LBB66_2808:
	s_delay_alu instid0(SALU_CYCLE_1)
	s_and_not1_b32 vcc_lo, exec_lo, s0
	s_cbranch_vccnz .LBB66_2810
; %bb.2809:
	v_cvt_f16_f32_e32 v2, v6
	s_delay_alu instid0(VALU_DEP_1)
	v_and_b32_e32 v2, 0xffff, v2
	global_store_b32 v[0:1], v2, off
.LBB66_2810:
	s_mov_b32 s0, 0
.LBB66_2811:
	s_delay_alu instid0(SALU_CYCLE_1)
	s_and_not1_b32 vcc_lo, exec_lo, s0
	s_cbranch_vccnz .LBB66_2820
; %bb.2812:
	v_cmp_gt_i16_e32 vcc_lo, 6, v11
	s_mov_b32 s0, -1
	s_cbranch_vccnz .LBB66_2818
; %bb.2813:
	v_cmp_lt_i16_e32 vcc_lo, 6, v11
	s_cbranch_vccz .LBB66_2815
; %bb.2814:
	v_cvt_f64_f32_e32 v[2:3], v6
	s_mov_b32 s0, 0
	global_store_b64 v[0:1], v[2:3], off
.LBB66_2815:
	s_and_not1_b32 vcc_lo, exec_lo, s0
	s_cbranch_vccnz .LBB66_2817
; %bb.2816:
	global_store_b32 v[0:1], v6, off
.LBB66_2817:
	s_mov_b32 s0, 0
.LBB66_2818:
	s_delay_alu instid0(SALU_CYCLE_1)
	s_and_not1_b32 vcc_lo, exec_lo, s0
	s_cbranch_vccnz .LBB66_2820
; %bb.2819:
	v_cvt_f16_f32_e32 v2, v6
	global_store_b16 v[0:1], v2, off
.LBB66_2820:
	s_mov_b32 s0, 0
.LBB66_2821:
	s_delay_alu instid0(SALU_CYCLE_1)
	s_and_not1_b32 vcc_lo, exec_lo, s0
	s_cbranch_vccnz .LBB66_2837
; %bb.2822:
	v_cmp_gt_i16_e32 vcc_lo, 2, v11
	s_mov_b32 s0, -1
	s_cbranch_vccnz .LBB66_2832
; %bb.2823:
	v_cmp_gt_i16_e32 vcc_lo, 3, v11
	s_cbranch_vccnz .LBB66_2829
; %bb.2824:
	v_cmp_lt_i16_e32 vcc_lo, 3, v11
	s_cbranch_vccz .LBB66_2826
; %bb.2825:
	v_trunc_f32_e32 v2, v6
	s_mov_b32 s0, 0
	s_delay_alu instid0(VALU_DEP_1) | instskip(SKIP_1) | instid1(VALU_DEP_2)
	v_mul_f32_e64 v3, 0x2f800000, |v2|
	v_ashrrev_i32_e32 v5, 31, v2
	v_floor_f32_e32 v3, v3
	s_delay_alu instid0(VALU_DEP_1) | instskip(SKIP_1) | instid1(VALU_DEP_2)
	v_fma_f32 v4, 0xcf800000, v3, |v2|
	v_cvt_u32_f32_e32 v3, v3
	v_cvt_u32_f32_e32 v2, v4
	s_delay_alu instid0(VALU_DEP_2) | instskip(NEXT) | instid1(VALU_DEP_2)
	v_xor_b32_e32 v3, v3, v5
	v_xor_b32_e32 v2, v2, v5
	s_delay_alu instid0(VALU_DEP_1) | instskip(NEXT) | instid1(VALU_DEP_3)
	v_sub_co_u32 v2, vcc_lo, v2, v5
	v_sub_co_ci_u32_e32 v3, vcc_lo, v3, v5, vcc_lo
	global_store_b64 v[0:1], v[2:3], off
.LBB66_2826:
	s_and_not1_b32 vcc_lo, exec_lo, s0
	s_cbranch_vccnz .LBB66_2828
; %bb.2827:
	v_cvt_i32_f32_e32 v2, v6
	global_store_b32 v[0:1], v2, off
.LBB66_2828:
	s_mov_b32 s0, 0
.LBB66_2829:
	s_delay_alu instid0(SALU_CYCLE_1)
	s_and_not1_b32 vcc_lo, exec_lo, s0
	s_cbranch_vccnz .LBB66_2831
; %bb.2830:
	v_cvt_i32_f32_e32 v2, v6
	global_store_b16 v[0:1], v2, off
.LBB66_2831:
	s_mov_b32 s0, 0
.LBB66_2832:
	s_delay_alu instid0(SALU_CYCLE_1)
	s_and_not1_b32 vcc_lo, exec_lo, s0
	s_cbranch_vccnz .LBB66_2837
; %bb.2833:
	v_cmp_lt_i16_e32 vcc_lo, 0, v11
	s_mov_b32 s0, -1
	s_cbranch_vccz .LBB66_2835
; %bb.2834:
	v_cvt_i32_f32_e32 v2, v6
	s_mov_b32 s0, 0
	global_store_b8 v[0:1], v2, off
.LBB66_2835:
	s_and_not1_b32 vcc_lo, exec_lo, s0
	s_cbranch_vccnz .LBB66_2837
; %bb.2836:
	v_trunc_f32_e32 v2, v6
	s_delay_alu instid0(VALU_DEP_1) | instskip(NEXT) | instid1(VALU_DEP_1)
	v_mul_f32_e64 v3, 0x2f800000, |v2|
	v_floor_f32_e32 v3, v3
	s_delay_alu instid0(VALU_DEP_1) | instskip(SKIP_1) | instid1(VALU_DEP_2)
	v_fma_f32 v3, 0xcf800000, v3, |v2|
	v_ashrrev_i32_e32 v2, 31, v2
	v_cvt_u32_f32_e32 v3, v3
	s_delay_alu instid0(VALU_DEP_1) | instskip(NEXT) | instid1(VALU_DEP_1)
	v_xor_b32_e32 v3, v3, v2
	v_sub_nc_u32_e32 v2, v3, v2
	global_store_b8 v[0:1], v2, off
	s_nop 0
	s_sendmsg sendmsg(MSG_DEALLOC_VGPRS)
	s_endpgm
.LBB66_2837:
	s_nop 0
	s_sendmsg sendmsg(MSG_DEALLOC_VGPRS)
	s_endpgm
.LBB66_2838:
	s_mov_b32 s0, -1
	s_mov_b32 s2, 0
.LBB66_2839:
	s_and_b32 vcc_lo, exec_lo, s0
	s_cbranch_vccz .LBB66_2878
; %bb.2840:
	v_cmp_gt_i16_e32 vcc_lo, 5, v11
	s_mov_b32 s0, -1
	s_cbranch_vccnz .LBB66_2861
; %bb.2841:
	v_cmp_gt_i16_e32 vcc_lo, 8, v11
	s_cbranch_vccnz .LBB66_2851
; %bb.2842:
	v_cmp_gt_i16_e32 vcc_lo, 9, v11
	s_cbranch_vccnz .LBB66_2848
; %bb.2843:
	v_cmp_lt_i16_e32 vcc_lo, 9, v11
	s_cbranch_vccz .LBB66_2845
; %bb.2844:
	v_cvt_f64_f32_e32 v[12:13], v0
	v_mov_b32_e32 v14, 0
	s_mov_b32 s0, 0
	s_delay_alu instid0(VALU_DEP_1)
	v_mov_b32_e32 v15, v14
	global_store_b128 v[7:8], v[12:15], off
.LBB66_2845:
	s_and_not1_b32 vcc_lo, exec_lo, s0
	s_cbranch_vccnz .LBB66_2847
; %bb.2846:
	v_mov_b32_e32 v1, 0
	global_store_b64 v[7:8], v[0:1], off
.LBB66_2847:
	s_mov_b32 s0, 0
.LBB66_2848:
	s_delay_alu instid0(SALU_CYCLE_1)
	s_and_not1_b32 vcc_lo, exec_lo, s0
	s_cbranch_vccnz .LBB66_2850
; %bb.2849:
	v_cvt_f16_f32_e32 v1, v0
	s_delay_alu instid0(VALU_DEP_1)
	v_and_b32_e32 v1, 0xffff, v1
	global_store_b32 v[7:8], v1, off
.LBB66_2850:
	s_mov_b32 s0, 0
.LBB66_2851:
	s_delay_alu instid0(SALU_CYCLE_1)
	s_and_not1_b32 vcc_lo, exec_lo, s0
	s_cbranch_vccnz .LBB66_2860
; %bb.2852:
	v_cmp_gt_i16_e32 vcc_lo, 6, v11
	s_mov_b32 s0, -1
	s_cbranch_vccnz .LBB66_2858
; %bb.2853:
	v_cmp_lt_i16_e32 vcc_lo, 6, v11
	s_cbranch_vccz .LBB66_2855
; %bb.2854:
	v_cvt_f64_f32_e32 v[9:10], v0
	s_mov_b32 s0, 0
	global_store_b64 v[7:8], v[9:10], off
.LBB66_2855:
	s_and_not1_b32 vcc_lo, exec_lo, s0
	s_cbranch_vccnz .LBB66_2857
; %bb.2856:
	global_store_b32 v[7:8], v0, off
.LBB66_2857:
	s_mov_b32 s0, 0
.LBB66_2858:
	s_delay_alu instid0(SALU_CYCLE_1)
	s_and_not1_b32 vcc_lo, exec_lo, s0
	s_cbranch_vccnz .LBB66_2860
; %bb.2859:
	v_cvt_f16_f32_e32 v1, v0
	global_store_b16 v[7:8], v1, off
.LBB66_2860:
	s_mov_b32 s0, 0
.LBB66_2861:
	s_delay_alu instid0(SALU_CYCLE_1)
	s_and_not1_b32 vcc_lo, exec_lo, s0
	s_cbranch_vccnz .LBB66_2877
; %bb.2862:
	v_cmp_gt_i16_e32 vcc_lo, 2, v11
	s_mov_b32 s0, -1
	s_cbranch_vccnz .LBB66_2872
; %bb.2863:
	v_cmp_gt_i16_e32 vcc_lo, 3, v11
	s_cbranch_vccnz .LBB66_2869
; %bb.2864:
	v_cmp_lt_i16_e32 vcc_lo, 3, v11
	s_cbranch_vccz .LBB66_2866
; %bb.2865:
	v_trunc_f32_e32 v1, v0
	s_mov_b32 s0, 0
	s_delay_alu instid0(VALU_DEP_1) | instskip(NEXT) | instid1(VALU_DEP_1)
	v_mul_f32_e64 v5, 0x2f800000, |v1|
	v_floor_f32_e32 v5, v5
	s_delay_alu instid0(VALU_DEP_1) | instskip(SKIP_2) | instid1(VALU_DEP_3)
	v_fma_f32 v9, 0xcf800000, v5, |v1|
	v_ashrrev_i32_e32 v1, 31, v1
	v_cvt_u32_f32_e32 v5, v5
	v_cvt_u32_f32_e32 v9, v9
	s_delay_alu instid0(VALU_DEP_2) | instskip(NEXT) | instid1(VALU_DEP_2)
	v_xor_b32_e32 v5, v5, v1
	v_xor_b32_e32 v9, v9, v1
	s_delay_alu instid0(VALU_DEP_1) | instskip(NEXT) | instid1(VALU_DEP_3)
	v_sub_co_u32 v9, vcc_lo, v9, v1
	v_sub_co_ci_u32_e32 v10, vcc_lo, v5, v1, vcc_lo
	global_store_b64 v[7:8], v[9:10], off
.LBB66_2866:
	s_and_not1_b32 vcc_lo, exec_lo, s0
	s_cbranch_vccnz .LBB66_2868
; %bb.2867:
	v_cvt_i32_f32_e32 v1, v0
	global_store_b32 v[7:8], v1, off
.LBB66_2868:
	s_mov_b32 s0, 0
.LBB66_2869:
	s_delay_alu instid0(SALU_CYCLE_1)
	s_and_not1_b32 vcc_lo, exec_lo, s0
	s_cbranch_vccnz .LBB66_2871
; %bb.2870:
	v_cvt_i32_f32_e32 v1, v0
	global_store_b16 v[7:8], v1, off
.LBB66_2871:
	s_mov_b32 s0, 0
.LBB66_2872:
	s_delay_alu instid0(SALU_CYCLE_1)
	s_and_not1_b32 vcc_lo, exec_lo, s0
	s_cbranch_vccnz .LBB66_2877
; %bb.2873:
	v_cmp_lt_i16_e32 vcc_lo, 0, v11
	s_mov_b32 s0, -1
	s_cbranch_vccz .LBB66_2875
; %bb.2874:
	v_cvt_i32_f32_e32 v1, v0
	s_mov_b32 s0, 0
	global_store_b8 v[7:8], v1, off
.LBB66_2875:
	s_and_not1_b32 vcc_lo, exec_lo, s0
	s_cbranch_vccnz .LBB66_2877
; %bb.2876:
	v_trunc_f32_e32 v0, v0
	s_delay_alu instid0(VALU_DEP_1) | instskip(NEXT) | instid1(VALU_DEP_1)
	v_mul_f32_e64 v1, 0x2f800000, |v0|
	v_floor_f32_e32 v1, v1
	s_delay_alu instid0(VALU_DEP_1) | instskip(SKIP_1) | instid1(VALU_DEP_2)
	v_fma_f32 v1, 0xcf800000, v1, |v0|
	v_ashrrev_i32_e32 v0, 31, v0
	v_cvt_u32_f32_e32 v1, v1
	s_delay_alu instid0(VALU_DEP_1) | instskip(NEXT) | instid1(VALU_DEP_1)
	v_xor_b32_e32 v1, v1, v0
	v_sub_nc_u32_e32 v0, v1, v0
	global_store_b8 v[7:8], v0, off
.LBB66_2877:
	s_mov_b32 s2, -1
.LBB66_2878:
	s_delay_alu instid0(SALU_CYCLE_1)
	s_and_not1_b32 vcc_lo, exec_lo, s2
	s_cbranch_vccnz .LBB66_3193
; %bb.2879:
	s_lshl_b32 s1, s8, 7
	v_cmp_gt_i16_e32 vcc_lo, 11, v11
	v_add_nc_u32_e32 v5, s1, v3
	s_delay_alu instid0(VALU_DEP_1) | instskip(SKIP_1) | instid1(VALU_DEP_1)
	v_ashrrev_i32_e32 v1, 31, v5
	v_add_co_u32 v0, s0, s4, v5
	v_add_co_ci_u32_e64 v1, s0, s5, v1, s0
	s_cbranch_vccnz .LBB66_2957
; %bb.2880:
	v_cmp_lt_i16_e32 vcc_lo, 25, v11
	s_mov_b32 s6, -1
	s_mov_b32 s2, 0
	s_mov_b32 s3, 0
	;; [unrolled: 1-line block ×3, first 2 shown]
	s_cbranch_vccz .LBB66_2913
; %bb.2881:
	v_cmp_lt_i16_e32 vcc_lo, 28, v11
	s_cbranch_vccz .LBB66_2896
; %bb.2882:
	v_cmp_lt_i16_e32 vcc_lo, 43, v11
	;; [unrolled: 3-line block ×3, first 2 shown]
	s_cbranch_vccz .LBB66_2886
; %bb.2884:
	v_cmp_eq_u16_e32 vcc_lo, 46, v11
	s_mov_b32 s0, -1
	s_mov_b32 s6, 0
	s_cbranch_vccz .LBB66_2886
; %bb.2885:
	v_bfe_u32 v3, v2, 16, 1
	v_cmp_o_f32_e32 vcc_lo, v2, v2
	s_mov_b32 s0, 0
	s_mov_b32 s3, -1
	s_delay_alu instid0(VALU_DEP_2) | instskip(NEXT) | instid1(VALU_DEP_1)
	v_add3_u32 v3, v2, v3, 0x7fff
	v_lshrrev_b32_e32 v3, 16, v3
	s_delay_alu instid0(VALU_DEP_1)
	v_cndmask_b32_e32 v3, 0x7fc0, v3, vcc_lo
	global_store_b32 v[0:1], v3, off
.LBB66_2886:
	s_and_b32 vcc_lo, exec_lo, s6
	s_cbranch_vccz .LBB66_2891
; %bb.2887:
	v_cmp_eq_u16_e32 vcc_lo, 44, v11
	s_mov_b32 s0, -1
	s_cbranch_vccz .LBB66_2891
; %bb.2888:
	v_bfe_u32 v7, v2, 23, 8
	v_mov_b32_e32 v3, 0xff
	s_mov_b32 s3, exec_lo
	s_delay_alu instid0(VALU_DEP_2)
	v_cmpx_ne_u32_e32 0xff, v7
; %bb.2889:
	v_and_b32_e32 v3, 0x400000, v2
	v_and_or_b32 v7, 0x3fffff, v2, v7
	s_delay_alu instid0(VALU_DEP_2) | instskip(NEXT) | instid1(VALU_DEP_2)
	v_cmp_ne_u32_e32 vcc_lo, 0, v3
	v_cmp_ne_u32_e64 s0, 0, v7
	v_lshrrev_b32_e32 v3, 23, v2
	s_delay_alu instid0(VALU_DEP_2) | instskip(NEXT) | instid1(SALU_CYCLE_1)
	s_and_b32 s0, vcc_lo, s0
	v_cndmask_b32_e64 v7, 0, 1, s0
	s_delay_alu instid0(VALU_DEP_1)
	v_add_nc_u32_e32 v3, v3, v7
; %bb.2890:
	s_or_b32 exec_lo, exec_lo, s3
	s_mov_b32 s0, 0
	s_mov_b32 s3, -1
	global_store_b8 v[0:1], v3, off
.LBB66_2891:
	s_mov_b32 s6, 0
.LBB66_2892:
	s_delay_alu instid0(SALU_CYCLE_1)
	s_and_b32 vcc_lo, exec_lo, s6
	s_cbranch_vccz .LBB66_2895
; %bb.2893:
	v_cmp_eq_u16_e32 vcc_lo, 29, v11
	s_mov_b32 s0, -1
	s_cbranch_vccz .LBB66_2895
; %bb.2894:
	v_trunc_f32_e32 v3, v2
	s_mov_b32 s0, 0
	s_mov_b32 s3, -1
	s_delay_alu instid0(VALU_DEP_1) | instskip(NEXT) | instid1(VALU_DEP_1)
	v_mul_f32_e32 v7, 0x2f800000, v3
	v_floor_f32_e32 v7, v7
	s_delay_alu instid0(VALU_DEP_1) | instskip(SKIP_1) | instid1(VALU_DEP_2)
	v_fmamk_f32 v3, v7, 0xcf800000, v3
	v_cvt_u32_f32_e32 v8, v7
	v_cvt_u32_f32_e32 v7, v3
	global_store_b64 v[0:1], v[7:8], off
.LBB66_2895:
	s_mov_b32 s6, 0
.LBB66_2896:
	s_delay_alu instid0(SALU_CYCLE_1)
	s_and_b32 vcc_lo, exec_lo, s6
	s_cbranch_vccz .LBB66_2912
; %bb.2897:
	v_cmp_gt_i16_e32 vcc_lo, 27, v11
	s_mov_b32 s3, -1
	s_cbranch_vccnz .LBB66_2903
; %bb.2898:
	v_cmp_lt_i16_e32 vcc_lo, 27, v11
	v_cvt_u32_f32_e32 v3, v2
	s_cbranch_vccz .LBB66_2900
; %bb.2899:
	s_mov_b32 s3, 0
	global_store_b32 v[0:1], v3, off
.LBB66_2900:
	s_and_not1_b32 vcc_lo, exec_lo, s3
	s_cbranch_vccnz .LBB66_2902
; %bb.2901:
	global_store_b16 v[0:1], v3, off
.LBB66_2902:
	s_mov_b32 s3, 0
.LBB66_2903:
	s_delay_alu instid0(SALU_CYCLE_1)
	s_and_not1_b32 vcc_lo, exec_lo, s3
	s_cbranch_vccnz .LBB66_2911
; %bb.2904:
	v_and_b32_e32 v3, 0x7fffffff, v2
	v_mov_b32_e32 v7, 0x80
	s_mov_b32 s3, exec_lo
	s_delay_alu instid0(VALU_DEP_2)
	v_cmpx_gt_u32_e32 0x43800000, v3
	s_cbranch_execz .LBB66_2910
; %bb.2905:
	v_cmp_lt_u32_e32 vcc_lo, 0x3bffffff, v3
	s_mov_b32 s6, 0
                                        ; implicit-def: $vgpr3
	s_and_saveexec_b32 s7, vcc_lo
	s_delay_alu instid0(SALU_CYCLE_1)
	s_xor_b32 s7, exec_lo, s7
	s_cbranch_execz .LBB66_3205
; %bb.2906:
	v_bfe_u32 v3, v2, 20, 1
	s_mov_b32 s6, exec_lo
	s_delay_alu instid0(VALU_DEP_1) | instskip(NEXT) | instid1(VALU_DEP_1)
	v_add3_u32 v3, v2, v3, 0x487ffff
	v_lshrrev_b32_e32 v3, 20, v3
	s_or_saveexec_b32 s7, s7
                                        ; implicit-def: $sgpr8
	s_delay_alu instid0(SALU_CYCLE_1)
	s_xor_b32 exec_lo, exec_lo, s7
	s_cbranch_execnz .LBB66_3206
.LBB66_2907:
	s_or_b32 exec_lo, exec_lo, s7
	v_mov_b32_e32 v7, s8
	s_and_saveexec_b32 s7, s6
.LBB66_2908:
	v_lshrrev_b32_e32 v7, 24, v2
	s_delay_alu instid0(VALU_DEP_1)
	v_and_or_b32 v7, 0x80, v7, v3
.LBB66_2909:
	s_or_b32 exec_lo, exec_lo, s7
.LBB66_2910:
	s_delay_alu instid0(SALU_CYCLE_1)
	s_or_b32 exec_lo, exec_lo, s3
	global_store_b8 v[0:1], v7, off
.LBB66_2911:
	s_mov_b32 s3, -1
.LBB66_2912:
	s_mov_b32 s6, 0
.LBB66_2913:
	s_delay_alu instid0(SALU_CYCLE_1)
	s_and_b32 vcc_lo, exec_lo, s6
	s_cbranch_vccz .LBB66_2953
; %bb.2914:
	v_cmp_lt_i16_e32 vcc_lo, 22, v11
	s_mov_b32 s2, -1
	s_cbranch_vccz .LBB66_2946
; %bb.2915:
	v_cmp_gt_i16_e32 vcc_lo, 24, v11
	s_cbranch_vccnz .LBB66_2935
; %bb.2916:
	v_cmp_lt_i16_e32 vcc_lo, 24, v11
	s_cbranch_vccz .LBB66_2924
; %bb.2917:
	v_and_b32_e32 v3, 0x7fffffff, v2
	v_mov_b32_e32 v7, 0x80
	s_mov_b32 s2, exec_lo
	s_delay_alu instid0(VALU_DEP_2)
	v_cmpx_gt_u32_e32 0x47800000, v3
	s_cbranch_execz .LBB66_2923
; %bb.2918:
	v_cmp_lt_u32_e32 vcc_lo, 0x37ffffff, v3
	s_mov_b32 s3, 0
                                        ; implicit-def: $vgpr3
	s_and_saveexec_b32 s6, vcc_lo
	s_delay_alu instid0(SALU_CYCLE_1)
	s_xor_b32 s6, exec_lo, s6
	s_cbranch_execz .LBB66_3211
; %bb.2919:
	v_bfe_u32 v3, v2, 21, 1
	s_mov_b32 s3, exec_lo
	s_delay_alu instid0(VALU_DEP_1) | instskip(NEXT) | instid1(VALU_DEP_1)
	v_add3_u32 v3, v2, v3, 0x88fffff
	v_lshrrev_b32_e32 v3, 21, v3
	s_or_saveexec_b32 s6, s6
                                        ; implicit-def: $sgpr7
	s_delay_alu instid0(SALU_CYCLE_1)
	s_xor_b32 exec_lo, exec_lo, s6
	s_cbranch_execnz .LBB66_3212
.LBB66_2920:
	s_or_b32 exec_lo, exec_lo, s6
	v_mov_b32_e32 v7, s7
	s_and_saveexec_b32 s6, s3
.LBB66_2921:
	v_lshrrev_b32_e32 v7, 24, v2
	s_delay_alu instid0(VALU_DEP_1)
	v_and_or_b32 v7, 0x80, v7, v3
.LBB66_2922:
	s_or_b32 exec_lo, exec_lo, s6
.LBB66_2923:
	s_delay_alu instid0(SALU_CYCLE_1)
	s_or_b32 exec_lo, exec_lo, s2
	s_mov_b32 s2, 0
	global_store_b8 v[0:1], v7, off
.LBB66_2924:
	s_and_b32 vcc_lo, exec_lo, s2
	s_cbranch_vccz .LBB66_2934
; %bb.2925:
	v_and_b32_e32 v7, 0x7fffffff, v2
	s_mov_b32 s2, exec_lo
                                        ; implicit-def: $vgpr3
	s_delay_alu instid0(VALU_DEP_1)
	v_cmpx_gt_u32_e32 0x43f00000, v7
	s_xor_b32 s2, exec_lo, s2
	s_cbranch_execz .LBB66_2931
; %bb.2926:
	s_mov_b32 s3, exec_lo
                                        ; implicit-def: $vgpr3
	v_cmpx_lt_u32_e32 0x3c7fffff, v7
	s_xor_b32 s3, exec_lo, s3
; %bb.2927:
	v_bfe_u32 v3, v2, 20, 1
	s_delay_alu instid0(VALU_DEP_1) | instskip(NEXT) | instid1(VALU_DEP_1)
	v_add3_u32 v3, v2, v3, 0x407ffff
	v_and_b32_e32 v7, 0xff00000, v3
	v_lshrrev_b32_e32 v3, 20, v3
	s_delay_alu instid0(VALU_DEP_2) | instskip(NEXT) | instid1(VALU_DEP_2)
	v_cmp_ne_u32_e32 vcc_lo, 0x7f00000, v7
	v_cndmask_b32_e32 v3, 0x7e, v3, vcc_lo
; %bb.2928:
	s_and_not1_saveexec_b32 s3, s3
; %bb.2929:
	v_add_f32_e64 v3, 0x46800000, |v2|
; %bb.2930:
	s_or_b32 exec_lo, exec_lo, s3
                                        ; implicit-def: $vgpr7
.LBB66_2931:
	s_and_not1_saveexec_b32 s2, s2
; %bb.2932:
	v_mov_b32_e32 v3, 0x7f
	v_cmp_lt_u32_e32 vcc_lo, 0x7f800000, v7
	s_delay_alu instid0(VALU_DEP_2)
	v_cndmask_b32_e32 v3, 0x7e, v3, vcc_lo
; %bb.2933:
	s_or_b32 exec_lo, exec_lo, s2
	v_lshrrev_b32_e32 v7, 24, v2
	s_delay_alu instid0(VALU_DEP_1)
	v_and_or_b32 v3, 0x80, v7, v3
	global_store_b8 v[0:1], v3, off
.LBB66_2934:
	s_mov_b32 s2, 0
.LBB66_2935:
	s_delay_alu instid0(SALU_CYCLE_1)
	s_and_not1_b32 vcc_lo, exec_lo, s2
	s_cbranch_vccnz .LBB66_2945
; %bb.2936:
	v_and_b32_e32 v7, 0x7fffffff, v2
	s_mov_b32 s2, exec_lo
                                        ; implicit-def: $vgpr3
	s_delay_alu instid0(VALU_DEP_1)
	v_cmpx_gt_u32_e32 0x47800000, v7
	s_xor_b32 s2, exec_lo, s2
	s_cbranch_execz .LBB66_2942
; %bb.2937:
	s_mov_b32 s3, exec_lo
                                        ; implicit-def: $vgpr3
	v_cmpx_lt_u32_e32 0x387fffff, v7
	s_xor_b32 s3, exec_lo, s3
; %bb.2938:
	v_bfe_u32 v3, v2, 21, 1
	s_delay_alu instid0(VALU_DEP_1) | instskip(NEXT) | instid1(VALU_DEP_1)
	v_add3_u32 v3, v2, v3, 0x80fffff
	v_lshrrev_b32_e32 v3, 21, v3
; %bb.2939:
	s_and_not1_saveexec_b32 s3, s3
; %bb.2940:
	v_add_f32_e64 v3, 0x43000000, |v2|
; %bb.2941:
	s_or_b32 exec_lo, exec_lo, s3
                                        ; implicit-def: $vgpr7
.LBB66_2942:
	s_and_not1_saveexec_b32 s2, s2
; %bb.2943:
	v_mov_b32_e32 v3, 0x7f
	v_cmp_lt_u32_e32 vcc_lo, 0x7f800000, v7
	s_delay_alu instid0(VALU_DEP_2)
	v_cndmask_b32_e32 v3, 0x7c, v3, vcc_lo
; %bb.2944:
	s_or_b32 exec_lo, exec_lo, s2
	v_lshrrev_b32_e32 v7, 24, v2
	s_delay_alu instid0(VALU_DEP_1)
	v_and_or_b32 v3, 0x80, v7, v3
	global_store_b8 v[0:1], v3, off
.LBB66_2945:
	s_mov_b32 s2, 0
	s_mov_b32 s3, -1
.LBB66_2946:
	s_and_not1_b32 vcc_lo, exec_lo, s2
	s_mov_b32 s2, 0
	s_cbranch_vccnz .LBB66_2953
; %bb.2947:
	v_cmp_lt_i16_e32 vcc_lo, 14, v11
	s_mov_b32 s2, -1
	s_cbranch_vccz .LBB66_2951
; %bb.2948:
	v_cmp_eq_u16_e32 vcc_lo, 15, v11
	s_mov_b32 s0, -1
	s_cbranch_vccz .LBB66_2950
; %bb.2949:
	v_bfe_u32 v3, v2, 16, 1
	v_cmp_o_f32_e32 vcc_lo, v2, v2
	s_mov_b32 s0, 0
	s_mov_b32 s3, -1
	s_delay_alu instid0(VALU_DEP_2) | instskip(NEXT) | instid1(VALU_DEP_1)
	v_add3_u32 v3, v2, v3, 0x7fff
	v_lshrrev_b32_e32 v3, 16, v3
	s_delay_alu instid0(VALU_DEP_1)
	v_cndmask_b32_e32 v3, 0x7fc0, v3, vcc_lo
	global_store_b16 v[0:1], v3, off
.LBB66_2950:
	s_mov_b32 s2, 0
.LBB66_2951:
	s_delay_alu instid0(SALU_CYCLE_1)
	s_and_b32 vcc_lo, exec_lo, s2
	s_mov_b32 s2, 0
	s_cbranch_vccz .LBB66_2953
; %bb.2952:
	v_cmp_ne_u16_e64 s0, 11, v11
	s_mov_b32 s2, -1
.LBB66_2953:
	s_delay_alu instid0(VALU_DEP_1)
	s_and_b32 vcc_lo, exec_lo, s0
	s_cbranch_vccnz .LBB66_3209
; %bb.2954:
	s_and_not1_b32 vcc_lo, exec_lo, s2
	s_cbranch_vccnz .LBB66_2956
.LBB66_2955:
	v_cmp_neq_f32_e32 vcc_lo, 0, v2
	s_mov_b32 s3, -1
	v_cndmask_b32_e64 v3, 0, 1, vcc_lo
	global_store_b8 v[0:1], v3, off
.LBB66_2956:
	s_mov_b32 s0, 0
	s_branch .LBB66_2958
.LBB66_2957:
	s_mov_b32 s0, -1
	s_mov_b32 s3, 0
.LBB66_2958:
	s_and_b32 vcc_lo, exec_lo, s0
	s_cbranch_vccz .LBB66_2997
; %bb.2959:
	v_cmp_gt_i16_e32 vcc_lo, 5, v11
	s_mov_b32 s0, -1
	s_cbranch_vccnz .LBB66_2980
; %bb.2960:
	v_cmp_gt_i16_e32 vcc_lo, 8, v11
	s_cbranch_vccnz .LBB66_2970
; %bb.2961:
	v_cmp_gt_i16_e32 vcc_lo, 9, v11
	s_cbranch_vccnz .LBB66_2967
; %bb.2962:
	v_cmp_lt_i16_e32 vcc_lo, 9, v11
	s_cbranch_vccz .LBB66_2964
; %bb.2963:
	v_cvt_f64_f32_e32 v[7:8], v2
	v_mov_b32_e32 v9, 0
	s_mov_b32 s0, 0
	s_delay_alu instid0(VALU_DEP_1)
	v_mov_b32_e32 v10, v9
	global_store_b128 v[0:1], v[7:10], off
.LBB66_2964:
	s_and_not1_b32 vcc_lo, exec_lo, s0
	s_cbranch_vccnz .LBB66_2966
; %bb.2965:
	v_mov_b32_e32 v3, 0
	global_store_b64 v[0:1], v[2:3], off
.LBB66_2966:
	s_mov_b32 s0, 0
.LBB66_2967:
	s_delay_alu instid0(SALU_CYCLE_1)
	s_and_not1_b32 vcc_lo, exec_lo, s0
	s_cbranch_vccnz .LBB66_2969
; %bb.2968:
	v_cvt_f16_f32_e32 v3, v2
	s_delay_alu instid0(VALU_DEP_1)
	v_and_b32_e32 v3, 0xffff, v3
	global_store_b32 v[0:1], v3, off
.LBB66_2969:
	s_mov_b32 s0, 0
.LBB66_2970:
	s_delay_alu instid0(SALU_CYCLE_1)
	s_and_not1_b32 vcc_lo, exec_lo, s0
	s_cbranch_vccnz .LBB66_2979
; %bb.2971:
	v_cmp_gt_i16_e32 vcc_lo, 6, v11
	s_mov_b32 s0, -1
	s_cbranch_vccnz .LBB66_2977
; %bb.2972:
	v_cmp_lt_i16_e32 vcc_lo, 6, v11
	s_cbranch_vccz .LBB66_2974
; %bb.2973:
	v_cvt_f64_f32_e32 v[7:8], v2
	s_mov_b32 s0, 0
	global_store_b64 v[0:1], v[7:8], off
.LBB66_2974:
	s_and_not1_b32 vcc_lo, exec_lo, s0
	s_cbranch_vccnz .LBB66_2976
; %bb.2975:
	global_store_b32 v[0:1], v2, off
.LBB66_2976:
	s_mov_b32 s0, 0
.LBB66_2977:
	s_delay_alu instid0(SALU_CYCLE_1)
	s_and_not1_b32 vcc_lo, exec_lo, s0
	s_cbranch_vccnz .LBB66_2979
; %bb.2978:
	v_cvt_f16_f32_e32 v3, v2
	global_store_b16 v[0:1], v3, off
.LBB66_2979:
	s_mov_b32 s0, 0
.LBB66_2980:
	s_delay_alu instid0(SALU_CYCLE_1)
	s_and_not1_b32 vcc_lo, exec_lo, s0
	s_cbranch_vccnz .LBB66_2996
; %bb.2981:
	v_cmp_gt_i16_e32 vcc_lo, 2, v11
	s_mov_b32 s0, -1
	s_cbranch_vccnz .LBB66_2991
; %bb.2982:
	v_cmp_gt_i16_e32 vcc_lo, 3, v11
	s_cbranch_vccnz .LBB66_2988
; %bb.2983:
	v_cmp_lt_i16_e32 vcc_lo, 3, v11
	s_cbranch_vccz .LBB66_2985
; %bb.2984:
	v_trunc_f32_e32 v3, v2
	s_mov_b32 s0, 0
	s_delay_alu instid0(VALU_DEP_1) | instskip(NEXT) | instid1(VALU_DEP_1)
	v_mul_f32_e64 v7, 0x2f800000, |v3|
	v_floor_f32_e32 v7, v7
	s_delay_alu instid0(VALU_DEP_1) | instskip(SKIP_2) | instid1(VALU_DEP_3)
	v_fma_f32 v8, 0xcf800000, v7, |v3|
	v_ashrrev_i32_e32 v3, 31, v3
	v_cvt_u32_f32_e32 v7, v7
	v_cvt_u32_f32_e32 v8, v8
	s_delay_alu instid0(VALU_DEP_2) | instskip(NEXT) | instid1(VALU_DEP_2)
	v_xor_b32_e32 v9, v7, v3
	v_xor_b32_e32 v8, v8, v3
	s_delay_alu instid0(VALU_DEP_1) | instskip(NEXT) | instid1(VALU_DEP_3)
	v_sub_co_u32 v7, vcc_lo, v8, v3
	v_sub_co_ci_u32_e32 v8, vcc_lo, v9, v3, vcc_lo
	global_store_b64 v[0:1], v[7:8], off
.LBB66_2985:
	s_and_not1_b32 vcc_lo, exec_lo, s0
	s_cbranch_vccnz .LBB66_2987
; %bb.2986:
	v_cvt_i32_f32_e32 v3, v2
	global_store_b32 v[0:1], v3, off
.LBB66_2987:
	s_mov_b32 s0, 0
.LBB66_2988:
	s_delay_alu instid0(SALU_CYCLE_1)
	s_and_not1_b32 vcc_lo, exec_lo, s0
	s_cbranch_vccnz .LBB66_2990
; %bb.2989:
	v_cvt_i32_f32_e32 v3, v2
	global_store_b16 v[0:1], v3, off
.LBB66_2990:
	s_mov_b32 s0, 0
.LBB66_2991:
	s_delay_alu instid0(SALU_CYCLE_1)
	s_and_not1_b32 vcc_lo, exec_lo, s0
	s_cbranch_vccnz .LBB66_2996
; %bb.2992:
	v_cmp_lt_i16_e32 vcc_lo, 0, v11
	s_mov_b32 s0, -1
	s_cbranch_vccz .LBB66_2994
; %bb.2993:
	v_cvt_i32_f32_e32 v3, v2
	s_mov_b32 s0, 0
	global_store_b8 v[0:1], v3, off
.LBB66_2994:
	s_and_not1_b32 vcc_lo, exec_lo, s0
	s_cbranch_vccnz .LBB66_2996
; %bb.2995:
	v_trunc_f32_e32 v2, v2
	s_delay_alu instid0(VALU_DEP_1) | instskip(NEXT) | instid1(VALU_DEP_1)
	v_mul_f32_e64 v3, 0x2f800000, |v2|
	v_floor_f32_e32 v3, v3
	s_delay_alu instid0(VALU_DEP_1) | instskip(SKIP_1) | instid1(VALU_DEP_2)
	v_fma_f32 v3, 0xcf800000, v3, |v2|
	v_ashrrev_i32_e32 v2, 31, v2
	v_cvt_u32_f32_e32 v3, v3
	s_delay_alu instid0(VALU_DEP_1) | instskip(NEXT) | instid1(VALU_DEP_1)
	v_xor_b32_e32 v3, v3, v2
	v_sub_nc_u32_e32 v2, v3, v2
	global_store_b8 v[0:1], v2, off
.LBB66_2996:
	s_mov_b32 s3, -1
.LBB66_2997:
	s_delay_alu instid0(SALU_CYCLE_1)
	s_and_not1_b32 vcc_lo, exec_lo, s3
	s_cbranch_vccnz .LBB66_3193
; %bb.2998:
	v_add_nc_u32_e32 v2, s1, v5
	v_cmp_gt_i16_e32 vcc_lo, 11, v11
	s_delay_alu instid0(VALU_DEP_2) | instskip(SKIP_1) | instid1(VALU_DEP_1)
	v_ashrrev_i32_e32 v1, 31, v2
	v_add_co_u32 v0, s0, s4, v2
	v_add_co_ci_u32_e64 v1, s0, s5, v1, s0
	s_cbranch_vccnz .LBB66_3076
; %bb.2999:
	v_cmp_lt_i16_e32 vcc_lo, 25, v11
	s_mov_b32 s6, -1
	s_mov_b32 s2, 0
	s_mov_b32 s3, 0
	;; [unrolled: 1-line block ×3, first 2 shown]
	s_cbranch_vccz .LBB66_3032
; %bb.3000:
	v_cmp_lt_i16_e32 vcc_lo, 28, v11
	s_cbranch_vccz .LBB66_3015
; %bb.3001:
	v_cmp_lt_i16_e32 vcc_lo, 43, v11
	;; [unrolled: 3-line block ×3, first 2 shown]
	s_cbranch_vccz .LBB66_3005
; %bb.3003:
	v_cmp_eq_u16_e32 vcc_lo, 46, v11
	s_mov_b32 s0, -1
	s_mov_b32 s6, 0
	s_cbranch_vccz .LBB66_3005
; %bb.3004:
	v_bfe_u32 v3, v4, 16, 1
	v_cmp_o_f32_e32 vcc_lo, v4, v4
	s_mov_b32 s0, 0
	s_mov_b32 s3, -1
	s_delay_alu instid0(VALU_DEP_2) | instskip(NEXT) | instid1(VALU_DEP_1)
	v_add3_u32 v3, v4, v3, 0x7fff
	v_lshrrev_b32_e32 v3, 16, v3
	s_delay_alu instid0(VALU_DEP_1)
	v_cndmask_b32_e32 v3, 0x7fc0, v3, vcc_lo
	global_store_b32 v[0:1], v3, off
.LBB66_3005:
	s_and_b32 vcc_lo, exec_lo, s6
	s_cbranch_vccz .LBB66_3010
; %bb.3006:
	v_cmp_eq_u16_e32 vcc_lo, 44, v11
	s_mov_b32 s0, -1
	s_cbranch_vccz .LBB66_3010
; %bb.3007:
	v_bfe_u32 v5, v4, 23, 8
	v_mov_b32_e32 v3, 0xff
	s_mov_b32 s3, exec_lo
	s_delay_alu instid0(VALU_DEP_2)
	v_cmpx_ne_u32_e32 0xff, v5
; %bb.3008:
	v_and_b32_e32 v3, 0x400000, v4
	v_and_or_b32 v5, 0x3fffff, v4, v5
	s_delay_alu instid0(VALU_DEP_2) | instskip(NEXT) | instid1(VALU_DEP_2)
	v_cmp_ne_u32_e32 vcc_lo, 0, v3
	v_cmp_ne_u32_e64 s0, 0, v5
	v_lshrrev_b32_e32 v3, 23, v4
	s_delay_alu instid0(VALU_DEP_2) | instskip(NEXT) | instid1(SALU_CYCLE_1)
	s_and_b32 s0, vcc_lo, s0
	v_cndmask_b32_e64 v5, 0, 1, s0
	s_delay_alu instid0(VALU_DEP_1)
	v_add_nc_u32_e32 v3, v3, v5
; %bb.3009:
	s_or_b32 exec_lo, exec_lo, s3
	s_mov_b32 s0, 0
	s_mov_b32 s3, -1
	global_store_b8 v[0:1], v3, off
.LBB66_3010:
	s_mov_b32 s6, 0
.LBB66_3011:
	s_delay_alu instid0(SALU_CYCLE_1)
	s_and_b32 vcc_lo, exec_lo, s6
	s_cbranch_vccz .LBB66_3014
; %bb.3012:
	v_cmp_eq_u16_e32 vcc_lo, 29, v11
	s_mov_b32 s0, -1
	s_cbranch_vccz .LBB66_3014
; %bb.3013:
	v_trunc_f32_e32 v3, v4
	s_mov_b32 s0, 0
	s_mov_b32 s3, -1
	s_delay_alu instid0(VALU_DEP_1) | instskip(NEXT) | instid1(VALU_DEP_1)
	v_mul_f32_e32 v5, 0x2f800000, v3
	v_floor_f32_e32 v5, v5
	s_delay_alu instid0(VALU_DEP_1) | instskip(SKIP_1) | instid1(VALU_DEP_2)
	v_fmamk_f32 v3, v5, 0xcf800000, v3
	v_cvt_u32_f32_e32 v8, v5
	v_cvt_u32_f32_e32 v7, v3
	global_store_b64 v[0:1], v[7:8], off
.LBB66_3014:
	s_mov_b32 s6, 0
.LBB66_3015:
	s_delay_alu instid0(SALU_CYCLE_1)
	s_and_b32 vcc_lo, exec_lo, s6
	s_cbranch_vccz .LBB66_3031
; %bb.3016:
	v_cmp_gt_i16_e32 vcc_lo, 27, v11
	s_mov_b32 s3, -1
	s_cbranch_vccnz .LBB66_3022
; %bb.3017:
	v_cmp_lt_i16_e32 vcc_lo, 27, v11
	s_cbranch_vccz .LBB66_3019
; %bb.3018:
	v_cvt_u32_f32_e32 v3, v4
	s_mov_b32 s3, 0
	global_store_b32 v[0:1], v3, off
.LBB66_3019:
	s_and_not1_b32 vcc_lo, exec_lo, s3
	s_cbranch_vccnz .LBB66_3021
; %bb.3020:
	v_cvt_u32_f32_e32 v3, v4
	global_store_b16 v[0:1], v3, off
.LBB66_3021:
	s_mov_b32 s3, 0
.LBB66_3022:
	s_delay_alu instid0(SALU_CYCLE_1)
	s_and_not1_b32 vcc_lo, exec_lo, s3
	s_cbranch_vccnz .LBB66_3030
; %bb.3023:
	v_and_b32_e32 v3, 0x7fffffff, v4
	v_mov_b32_e32 v5, 0x80
	s_mov_b32 s3, exec_lo
	s_delay_alu instid0(VALU_DEP_2)
	v_cmpx_gt_u32_e32 0x43800000, v3
	s_cbranch_execz .LBB66_3029
; %bb.3024:
	v_cmp_lt_u32_e32 vcc_lo, 0x3bffffff, v3
	s_mov_b32 s6, 0
                                        ; implicit-def: $vgpr3
	s_and_saveexec_b32 s7, vcc_lo
	s_delay_alu instid0(SALU_CYCLE_1)
	s_xor_b32 s7, exec_lo, s7
	s_cbranch_execz .LBB66_3213
; %bb.3025:
	v_bfe_u32 v3, v4, 20, 1
	s_mov_b32 s6, exec_lo
	s_delay_alu instid0(VALU_DEP_1) | instskip(NEXT) | instid1(VALU_DEP_1)
	v_add3_u32 v3, v4, v3, 0x487ffff
	v_lshrrev_b32_e32 v3, 20, v3
	s_or_saveexec_b32 s7, s7
                                        ; implicit-def: $sgpr8
	s_delay_alu instid0(SALU_CYCLE_1)
	s_xor_b32 exec_lo, exec_lo, s7
	s_cbranch_execnz .LBB66_3214
.LBB66_3026:
	s_or_b32 exec_lo, exec_lo, s7
	v_mov_b32_e32 v5, s8
	s_and_saveexec_b32 s7, s6
.LBB66_3027:
	v_lshrrev_b32_e32 v5, 24, v4
	s_delay_alu instid0(VALU_DEP_1)
	v_and_or_b32 v5, 0x80, v5, v3
.LBB66_3028:
	s_or_b32 exec_lo, exec_lo, s7
.LBB66_3029:
	s_delay_alu instid0(SALU_CYCLE_1)
	s_or_b32 exec_lo, exec_lo, s3
	global_store_b8 v[0:1], v5, off
.LBB66_3030:
	s_mov_b32 s3, -1
.LBB66_3031:
	s_mov_b32 s6, 0
.LBB66_3032:
	s_delay_alu instid0(SALU_CYCLE_1)
	s_and_b32 vcc_lo, exec_lo, s6
	s_cbranch_vccz .LBB66_3072
; %bb.3033:
	v_cmp_lt_i16_e32 vcc_lo, 22, v11
	s_mov_b32 s2, -1
	s_cbranch_vccz .LBB66_3065
; %bb.3034:
	v_cmp_gt_i16_e32 vcc_lo, 24, v11
	s_cbranch_vccnz .LBB66_3054
; %bb.3035:
	v_cmp_lt_i16_e32 vcc_lo, 24, v11
	s_cbranch_vccz .LBB66_3043
; %bb.3036:
	v_and_b32_e32 v3, 0x7fffffff, v4
	v_mov_b32_e32 v5, 0x80
	s_mov_b32 s2, exec_lo
	s_delay_alu instid0(VALU_DEP_2)
	v_cmpx_gt_u32_e32 0x47800000, v3
	s_cbranch_execz .LBB66_3042
; %bb.3037:
	v_cmp_lt_u32_e32 vcc_lo, 0x37ffffff, v3
	s_mov_b32 s3, 0
                                        ; implicit-def: $vgpr3
	s_and_saveexec_b32 s6, vcc_lo
	s_delay_alu instid0(SALU_CYCLE_1)
	s_xor_b32 s6, exec_lo, s6
	s_cbranch_execz .LBB66_3219
; %bb.3038:
	v_bfe_u32 v3, v4, 21, 1
	s_mov_b32 s3, exec_lo
	s_delay_alu instid0(VALU_DEP_1) | instskip(NEXT) | instid1(VALU_DEP_1)
	v_add3_u32 v3, v4, v3, 0x88fffff
	v_lshrrev_b32_e32 v3, 21, v3
	s_or_saveexec_b32 s6, s6
                                        ; implicit-def: $sgpr7
	s_delay_alu instid0(SALU_CYCLE_1)
	s_xor_b32 exec_lo, exec_lo, s6
	s_cbranch_execnz .LBB66_3220
.LBB66_3039:
	s_or_b32 exec_lo, exec_lo, s6
	v_mov_b32_e32 v5, s7
	s_and_saveexec_b32 s6, s3
.LBB66_3040:
	v_lshrrev_b32_e32 v5, 24, v4
	s_delay_alu instid0(VALU_DEP_1)
	v_and_or_b32 v5, 0x80, v5, v3
.LBB66_3041:
	s_or_b32 exec_lo, exec_lo, s6
.LBB66_3042:
	s_delay_alu instid0(SALU_CYCLE_1)
	s_or_b32 exec_lo, exec_lo, s2
	s_mov_b32 s2, 0
	global_store_b8 v[0:1], v5, off
.LBB66_3043:
	s_and_b32 vcc_lo, exec_lo, s2
	s_cbranch_vccz .LBB66_3053
; %bb.3044:
	v_and_b32_e32 v5, 0x7fffffff, v4
	s_mov_b32 s2, exec_lo
                                        ; implicit-def: $vgpr3
	s_delay_alu instid0(VALU_DEP_1)
	v_cmpx_gt_u32_e32 0x43f00000, v5
	s_xor_b32 s2, exec_lo, s2
	s_cbranch_execz .LBB66_3050
; %bb.3045:
	s_mov_b32 s3, exec_lo
                                        ; implicit-def: $vgpr3
	v_cmpx_lt_u32_e32 0x3c7fffff, v5
	s_xor_b32 s3, exec_lo, s3
; %bb.3046:
	v_bfe_u32 v3, v4, 20, 1
	s_delay_alu instid0(VALU_DEP_1) | instskip(NEXT) | instid1(VALU_DEP_1)
	v_add3_u32 v3, v4, v3, 0x407ffff
	v_and_b32_e32 v5, 0xff00000, v3
	v_lshrrev_b32_e32 v3, 20, v3
	s_delay_alu instid0(VALU_DEP_2) | instskip(NEXT) | instid1(VALU_DEP_2)
	v_cmp_ne_u32_e32 vcc_lo, 0x7f00000, v5
	v_cndmask_b32_e32 v3, 0x7e, v3, vcc_lo
; %bb.3047:
	s_and_not1_saveexec_b32 s3, s3
; %bb.3048:
	v_add_f32_e64 v3, 0x46800000, |v4|
; %bb.3049:
	s_or_b32 exec_lo, exec_lo, s3
                                        ; implicit-def: $vgpr5
.LBB66_3050:
	s_and_not1_saveexec_b32 s2, s2
; %bb.3051:
	v_mov_b32_e32 v3, 0x7f
	v_cmp_lt_u32_e32 vcc_lo, 0x7f800000, v5
	s_delay_alu instid0(VALU_DEP_2)
	v_cndmask_b32_e32 v3, 0x7e, v3, vcc_lo
; %bb.3052:
	s_or_b32 exec_lo, exec_lo, s2
	v_lshrrev_b32_e32 v5, 24, v4
	s_delay_alu instid0(VALU_DEP_1)
	v_and_or_b32 v3, 0x80, v5, v3
	global_store_b8 v[0:1], v3, off
.LBB66_3053:
	s_mov_b32 s2, 0
.LBB66_3054:
	s_delay_alu instid0(SALU_CYCLE_1)
	s_and_not1_b32 vcc_lo, exec_lo, s2
	s_cbranch_vccnz .LBB66_3064
; %bb.3055:
	v_and_b32_e32 v5, 0x7fffffff, v4
	s_mov_b32 s2, exec_lo
                                        ; implicit-def: $vgpr3
	s_delay_alu instid0(VALU_DEP_1)
	v_cmpx_gt_u32_e32 0x47800000, v5
	s_xor_b32 s2, exec_lo, s2
	s_cbranch_execz .LBB66_3061
; %bb.3056:
	s_mov_b32 s3, exec_lo
                                        ; implicit-def: $vgpr3
	v_cmpx_lt_u32_e32 0x387fffff, v5
	s_xor_b32 s3, exec_lo, s3
; %bb.3057:
	v_bfe_u32 v3, v4, 21, 1
	s_delay_alu instid0(VALU_DEP_1) | instskip(NEXT) | instid1(VALU_DEP_1)
	v_add3_u32 v3, v4, v3, 0x80fffff
	v_lshrrev_b32_e32 v3, 21, v3
; %bb.3058:
	s_and_not1_saveexec_b32 s3, s3
; %bb.3059:
	v_add_f32_e64 v3, 0x43000000, |v4|
; %bb.3060:
	s_or_b32 exec_lo, exec_lo, s3
                                        ; implicit-def: $vgpr5
.LBB66_3061:
	s_and_not1_saveexec_b32 s2, s2
; %bb.3062:
	v_mov_b32_e32 v3, 0x7f
	v_cmp_lt_u32_e32 vcc_lo, 0x7f800000, v5
	s_delay_alu instid0(VALU_DEP_2)
	v_cndmask_b32_e32 v3, 0x7c, v3, vcc_lo
; %bb.3063:
	s_or_b32 exec_lo, exec_lo, s2
	v_lshrrev_b32_e32 v5, 24, v4
	s_delay_alu instid0(VALU_DEP_1)
	v_and_or_b32 v3, 0x80, v5, v3
	global_store_b8 v[0:1], v3, off
.LBB66_3064:
	s_mov_b32 s2, 0
	s_mov_b32 s3, -1
.LBB66_3065:
	s_and_not1_b32 vcc_lo, exec_lo, s2
	s_mov_b32 s2, 0
	s_cbranch_vccnz .LBB66_3072
; %bb.3066:
	v_cmp_lt_i16_e32 vcc_lo, 14, v11
	s_mov_b32 s2, -1
	s_cbranch_vccz .LBB66_3070
; %bb.3067:
	v_cmp_eq_u16_e32 vcc_lo, 15, v11
	s_mov_b32 s0, -1
	s_cbranch_vccz .LBB66_3069
; %bb.3068:
	v_bfe_u32 v3, v4, 16, 1
	v_cmp_o_f32_e32 vcc_lo, v4, v4
	s_mov_b32 s0, 0
	s_mov_b32 s3, -1
	s_delay_alu instid0(VALU_DEP_2) | instskip(NEXT) | instid1(VALU_DEP_1)
	v_add3_u32 v3, v4, v3, 0x7fff
	v_lshrrev_b32_e32 v3, 16, v3
	s_delay_alu instid0(VALU_DEP_1)
	v_cndmask_b32_e32 v3, 0x7fc0, v3, vcc_lo
	global_store_b16 v[0:1], v3, off
.LBB66_3069:
	s_mov_b32 s2, 0
.LBB66_3070:
	s_delay_alu instid0(SALU_CYCLE_1)
	s_and_b32 vcc_lo, exec_lo, s2
	s_mov_b32 s2, 0
	s_cbranch_vccz .LBB66_3072
; %bb.3071:
	v_cmp_ne_u16_e64 s0, 11, v11
	s_mov_b32 s2, -1
.LBB66_3072:
	s_delay_alu instid0(VALU_DEP_1)
	s_and_b32 vcc_lo, exec_lo, s0
	s_cbranch_vccnz .LBB66_3217
; %bb.3073:
	s_and_not1_b32 vcc_lo, exec_lo, s2
	s_cbranch_vccnz .LBB66_3075
.LBB66_3074:
	v_cmp_neq_f32_e32 vcc_lo, 0, v4
	s_mov_b32 s3, -1
	v_cndmask_b32_e64 v3, 0, 1, vcc_lo
	global_store_b8 v[0:1], v3, off
.LBB66_3075:
	s_mov_b32 s0, 0
	s_branch .LBB66_3077
.LBB66_3076:
	s_mov_b32 s0, -1
	s_mov_b32 s3, 0
.LBB66_3077:
	s_and_b32 vcc_lo, exec_lo, s0
	s_cbranch_vccz .LBB66_3116
; %bb.3078:
	v_cmp_gt_i16_e32 vcc_lo, 5, v11
	s_mov_b32 s0, -1
	s_cbranch_vccnz .LBB66_3099
; %bb.3079:
	v_cmp_gt_i16_e32 vcc_lo, 8, v11
	s_cbranch_vccnz .LBB66_3089
; %bb.3080:
	v_cmp_gt_i16_e32 vcc_lo, 9, v11
	s_cbranch_vccnz .LBB66_3086
; %bb.3081:
	v_cmp_lt_i16_e32 vcc_lo, 9, v11
	s_cbranch_vccz .LBB66_3083
; %bb.3082:
	v_cvt_f64_f32_e32 v[7:8], v4
	v_mov_b32_e32 v9, 0
	s_mov_b32 s0, 0
	s_delay_alu instid0(VALU_DEP_1)
	v_mov_b32_e32 v10, v9
	global_store_b128 v[0:1], v[7:10], off
.LBB66_3083:
	s_and_not1_b32 vcc_lo, exec_lo, s0
	s_cbranch_vccnz .LBB66_3085
; %bb.3084:
	v_mov_b32_e32 v5, 0
	global_store_b64 v[0:1], v[4:5], off
.LBB66_3085:
	s_mov_b32 s0, 0
.LBB66_3086:
	s_delay_alu instid0(SALU_CYCLE_1)
	s_and_not1_b32 vcc_lo, exec_lo, s0
	s_cbranch_vccnz .LBB66_3088
; %bb.3087:
	v_cvt_f16_f32_e32 v3, v4
	s_delay_alu instid0(VALU_DEP_1)
	v_and_b32_e32 v3, 0xffff, v3
	global_store_b32 v[0:1], v3, off
.LBB66_3088:
	s_mov_b32 s0, 0
.LBB66_3089:
	s_delay_alu instid0(SALU_CYCLE_1)
	s_and_not1_b32 vcc_lo, exec_lo, s0
	s_cbranch_vccnz .LBB66_3098
; %bb.3090:
	v_cmp_gt_i16_e32 vcc_lo, 6, v11
	s_mov_b32 s0, -1
	s_cbranch_vccnz .LBB66_3096
; %bb.3091:
	v_cmp_lt_i16_e32 vcc_lo, 6, v11
	s_cbranch_vccz .LBB66_3093
; %bb.3092:
	v_cvt_f64_f32_e32 v[7:8], v4
	s_mov_b32 s0, 0
	global_store_b64 v[0:1], v[7:8], off
.LBB66_3093:
	s_and_not1_b32 vcc_lo, exec_lo, s0
	s_cbranch_vccnz .LBB66_3095
; %bb.3094:
	global_store_b32 v[0:1], v4, off
.LBB66_3095:
	s_mov_b32 s0, 0
.LBB66_3096:
	s_delay_alu instid0(SALU_CYCLE_1)
	s_and_not1_b32 vcc_lo, exec_lo, s0
	s_cbranch_vccnz .LBB66_3098
; %bb.3097:
	v_cvt_f16_f32_e32 v3, v4
	global_store_b16 v[0:1], v3, off
.LBB66_3098:
	s_mov_b32 s0, 0
.LBB66_3099:
	s_delay_alu instid0(SALU_CYCLE_1)
	s_and_not1_b32 vcc_lo, exec_lo, s0
	s_cbranch_vccnz .LBB66_3115
; %bb.3100:
	v_cmp_gt_i16_e32 vcc_lo, 2, v11
	s_mov_b32 s0, -1
	s_cbranch_vccnz .LBB66_3110
; %bb.3101:
	v_cmp_gt_i16_e32 vcc_lo, 3, v11
	s_cbranch_vccnz .LBB66_3107
; %bb.3102:
	v_cmp_lt_i16_e32 vcc_lo, 3, v11
	s_cbranch_vccz .LBB66_3104
; %bb.3103:
	v_trunc_f32_e32 v3, v4
	s_mov_b32 s0, 0
	s_delay_alu instid0(VALU_DEP_1) | instskip(NEXT) | instid1(VALU_DEP_1)
	v_mul_f32_e64 v5, 0x2f800000, |v3|
	v_floor_f32_e32 v5, v5
	s_delay_alu instid0(VALU_DEP_1) | instskip(SKIP_2) | instid1(VALU_DEP_3)
	v_fma_f32 v7, 0xcf800000, v5, |v3|
	v_ashrrev_i32_e32 v3, 31, v3
	v_cvt_u32_f32_e32 v5, v5
	v_cvt_u32_f32_e32 v7, v7
	s_delay_alu instid0(VALU_DEP_2) | instskip(NEXT) | instid1(VALU_DEP_2)
	v_xor_b32_e32 v5, v5, v3
	v_xor_b32_e32 v7, v7, v3
	s_delay_alu instid0(VALU_DEP_1) | instskip(NEXT) | instid1(VALU_DEP_3)
	v_sub_co_u32 v7, vcc_lo, v7, v3
	v_sub_co_ci_u32_e32 v8, vcc_lo, v5, v3, vcc_lo
	global_store_b64 v[0:1], v[7:8], off
.LBB66_3104:
	s_and_not1_b32 vcc_lo, exec_lo, s0
	s_cbranch_vccnz .LBB66_3106
; %bb.3105:
	v_cvt_i32_f32_e32 v3, v4
	global_store_b32 v[0:1], v3, off
.LBB66_3106:
	s_mov_b32 s0, 0
.LBB66_3107:
	s_delay_alu instid0(SALU_CYCLE_1)
	s_and_not1_b32 vcc_lo, exec_lo, s0
	s_cbranch_vccnz .LBB66_3109
; %bb.3108:
	v_cvt_i32_f32_e32 v3, v4
	global_store_b16 v[0:1], v3, off
.LBB66_3109:
	s_mov_b32 s0, 0
.LBB66_3110:
	s_delay_alu instid0(SALU_CYCLE_1)
	s_and_not1_b32 vcc_lo, exec_lo, s0
	s_cbranch_vccnz .LBB66_3115
; %bb.3111:
	v_cmp_lt_i16_e32 vcc_lo, 0, v11
	s_mov_b32 s0, -1
	s_cbranch_vccz .LBB66_3113
; %bb.3112:
	v_cvt_i32_f32_e32 v3, v4
	s_mov_b32 s0, 0
	global_store_b8 v[0:1], v3, off
.LBB66_3113:
	s_and_not1_b32 vcc_lo, exec_lo, s0
	s_cbranch_vccnz .LBB66_3115
; %bb.3114:
	v_trunc_f32_e32 v3, v4
	s_delay_alu instid0(VALU_DEP_1) | instskip(NEXT) | instid1(VALU_DEP_1)
	v_mul_f32_e64 v4, 0x2f800000, |v3|
	v_floor_f32_e32 v4, v4
	s_delay_alu instid0(VALU_DEP_1) | instskip(SKIP_1) | instid1(VALU_DEP_2)
	v_fma_f32 v4, 0xcf800000, v4, |v3|
	v_ashrrev_i32_e32 v3, 31, v3
	v_cvt_u32_f32_e32 v4, v4
	s_delay_alu instid0(VALU_DEP_1) | instskip(NEXT) | instid1(VALU_DEP_1)
	v_xor_b32_e32 v4, v4, v3
	v_sub_nc_u32_e32 v3, v4, v3
	global_store_b8 v[0:1], v3, off
.LBB66_3115:
	s_mov_b32 s3, -1
.LBB66_3116:
	s_delay_alu instid0(SALU_CYCLE_1)
	s_and_not1_b32 vcc_lo, exec_lo, s3
	s_cbranch_vccnz .LBB66_3193
; %bb.3117:
	v_add_nc_u32_e32 v0, s1, v2
	v_cmp_gt_i16_e32 vcc_lo, 11, v11
	s_delay_alu instid0(VALU_DEP_2) | instskip(SKIP_1) | instid1(VALU_DEP_1)
	v_ashrrev_i32_e32 v1, 31, v0
	v_add_co_u32 v0, s0, s4, v0
	v_add_co_ci_u32_e64 v1, s0, s5, v1, s0
	s_cbranch_vccnz .LBB66_3194
; %bb.3118:
	v_cmp_lt_i16_e32 vcc_lo, 25, v11
	s_mov_b32 s2, -1
	s_mov_b32 s1, 0
	s_mov_b32 s0, 0
	s_cbranch_vccz .LBB66_3151
; %bb.3119:
	v_cmp_lt_i16_e32 vcc_lo, 28, v11
	s_cbranch_vccz .LBB66_3135
; %bb.3120:
	v_cmp_lt_i16_e32 vcc_lo, 43, v11
	;; [unrolled: 3-line block ×3, first 2 shown]
	s_cbranch_vccz .LBB66_3125
; %bb.3122:
	v_cmp_eq_u16_e32 vcc_lo, 46, v11
	s_mov_b32 s0, -1
	s_cbranch_vccz .LBB66_3124
; %bb.3123:
	v_bfe_u32 v2, v6, 16, 1
	v_cmp_o_f32_e32 vcc_lo, v6, v6
	s_mov_b32 s0, 0
	s_delay_alu instid0(VALU_DEP_2) | instskip(NEXT) | instid1(VALU_DEP_1)
	v_add3_u32 v2, v6, v2, 0x7fff
	v_lshrrev_b32_e32 v2, 16, v2
	s_delay_alu instid0(VALU_DEP_1)
	v_cndmask_b32_e32 v2, 0x7fc0, v2, vcc_lo
	global_store_b32 v[0:1], v2, off
.LBB66_3124:
	s_mov_b32 s2, 0
.LBB66_3125:
	s_delay_alu instid0(SALU_CYCLE_1)
	s_and_b32 vcc_lo, exec_lo, s2
	s_cbranch_vccz .LBB66_3130
; %bb.3126:
	v_cmp_eq_u16_e32 vcc_lo, 44, v11
	s_mov_b32 s0, -1
	s_cbranch_vccz .LBB66_3130
; %bb.3127:
	v_bfe_u32 v3, v6, 23, 8
	v_mov_b32_e32 v2, 0xff
	s_mov_b32 s2, exec_lo
	s_delay_alu instid0(VALU_DEP_2)
	v_cmpx_ne_u32_e32 0xff, v3
; %bb.3128:
	v_and_b32_e32 v2, 0x400000, v6
	v_and_or_b32 v3, 0x3fffff, v6, v3
	s_delay_alu instid0(VALU_DEP_2) | instskip(NEXT) | instid1(VALU_DEP_2)
	v_cmp_ne_u32_e32 vcc_lo, 0, v2
	v_cmp_ne_u32_e64 s0, 0, v3
	v_lshrrev_b32_e32 v2, 23, v6
	s_delay_alu instid0(VALU_DEP_2) | instskip(NEXT) | instid1(SALU_CYCLE_1)
	s_and_b32 s0, vcc_lo, s0
	v_cndmask_b32_e64 v3, 0, 1, s0
	s_delay_alu instid0(VALU_DEP_1)
	v_add_nc_u32_e32 v2, v2, v3
; %bb.3129:
	s_or_b32 exec_lo, exec_lo, s2
	s_mov_b32 s0, 0
	global_store_b8 v[0:1], v2, off
.LBB66_3130:
	s_mov_b32 s2, 0
.LBB66_3131:
	s_delay_alu instid0(SALU_CYCLE_1)
	s_and_b32 vcc_lo, exec_lo, s2
	s_cbranch_vccz .LBB66_3134
; %bb.3132:
	v_cmp_eq_u16_e32 vcc_lo, 29, v11
	s_mov_b32 s0, -1
	s_cbranch_vccz .LBB66_3134
; %bb.3133:
	v_trunc_f32_e32 v2, v6
	s_mov_b32 s0, 0
	s_delay_alu instid0(VALU_DEP_1) | instskip(NEXT) | instid1(VALU_DEP_1)
	v_mul_f32_e32 v3, 0x2f800000, v2
	v_floor_f32_e32 v3, v3
	s_delay_alu instid0(VALU_DEP_1) | instskip(SKIP_1) | instid1(VALU_DEP_2)
	v_fmamk_f32 v2, v3, 0xcf800000, v2
	v_cvt_u32_f32_e32 v3, v3
	v_cvt_u32_f32_e32 v2, v2
	global_store_b64 v[0:1], v[2:3], off
.LBB66_3134:
	s_mov_b32 s2, 0
.LBB66_3135:
	s_delay_alu instid0(SALU_CYCLE_1)
	s_and_b32 vcc_lo, exec_lo, s2
	s_cbranch_vccz .LBB66_3150
; %bb.3136:
	v_cmp_gt_i16_e32 vcc_lo, 27, v11
	s_mov_b32 s2, -1
	s_cbranch_vccnz .LBB66_3142
; %bb.3137:
	v_cmp_lt_i16_e32 vcc_lo, 27, v11
	s_cbranch_vccz .LBB66_3139
; %bb.3138:
	v_cvt_u32_f32_e32 v2, v6
	s_mov_b32 s2, 0
	global_store_b32 v[0:1], v2, off
.LBB66_3139:
	s_and_not1_b32 vcc_lo, exec_lo, s2
	s_cbranch_vccnz .LBB66_3141
; %bb.3140:
	v_cvt_u32_f32_e32 v2, v6
	global_store_b16 v[0:1], v2, off
.LBB66_3141:
	s_mov_b32 s2, 0
.LBB66_3142:
	s_delay_alu instid0(SALU_CYCLE_1)
	s_and_not1_b32 vcc_lo, exec_lo, s2
	s_cbranch_vccnz .LBB66_3150
; %bb.3143:
	v_and_b32_e32 v2, 0x7fffffff, v6
	v_mov_b32_e32 v3, 0x80
	s_mov_b32 s2, exec_lo
	s_delay_alu instid0(VALU_DEP_2)
	v_cmpx_gt_u32_e32 0x43800000, v2
	s_cbranch_execz .LBB66_3149
; %bb.3144:
	v_cmp_lt_u32_e32 vcc_lo, 0x3bffffff, v2
	s_mov_b32 s3, 0
                                        ; implicit-def: $vgpr2
	s_and_saveexec_b32 s4, vcc_lo
	s_delay_alu instid0(SALU_CYCLE_1)
	s_xor_b32 s4, exec_lo, s4
	s_cbranch_execz .LBB66_3221
; %bb.3145:
	v_bfe_u32 v2, v6, 20, 1
	s_mov_b32 s3, exec_lo
	s_delay_alu instid0(VALU_DEP_1) | instskip(NEXT) | instid1(VALU_DEP_1)
	v_add3_u32 v2, v6, v2, 0x487ffff
	v_lshrrev_b32_e32 v2, 20, v2
	s_or_saveexec_b32 s4, s4
                                        ; implicit-def: $sgpr5
	s_delay_alu instid0(SALU_CYCLE_1)
	s_xor_b32 exec_lo, exec_lo, s4
	s_cbranch_execnz .LBB66_3222
.LBB66_3146:
	s_or_b32 exec_lo, exec_lo, s4
	v_mov_b32_e32 v3, s5
	s_and_saveexec_b32 s4, s3
.LBB66_3147:
	v_lshrrev_b32_e32 v3, 24, v6
	s_delay_alu instid0(VALU_DEP_1)
	v_and_or_b32 v3, 0x80, v3, v2
.LBB66_3148:
	s_or_b32 exec_lo, exec_lo, s4
.LBB66_3149:
	s_delay_alu instid0(SALU_CYCLE_1)
	s_or_b32 exec_lo, exec_lo, s2
	global_store_b8 v[0:1], v3, off
.LBB66_3150:
	s_mov_b32 s2, 0
.LBB66_3151:
	s_delay_alu instid0(SALU_CYCLE_1)
	s_and_b32 vcc_lo, exec_lo, s2
	s_cbranch_vccz .LBB66_3191
; %bb.3152:
	v_cmp_lt_i16_e32 vcc_lo, 22, v11
	s_mov_b32 s1, -1
	s_cbranch_vccz .LBB66_3184
; %bb.3153:
	v_cmp_gt_i16_e32 vcc_lo, 24, v11
	s_cbranch_vccnz .LBB66_3173
; %bb.3154:
	v_cmp_lt_i16_e32 vcc_lo, 24, v11
	s_cbranch_vccz .LBB66_3162
; %bb.3155:
	v_and_b32_e32 v2, 0x7fffffff, v6
	v_mov_b32_e32 v3, 0x80
	s_mov_b32 s1, exec_lo
	s_delay_alu instid0(VALU_DEP_2)
	v_cmpx_gt_u32_e32 0x47800000, v2
	s_cbranch_execz .LBB66_3161
; %bb.3156:
	v_cmp_lt_u32_e32 vcc_lo, 0x37ffffff, v2
	s_mov_b32 s2, 0
                                        ; implicit-def: $vgpr2
	s_and_saveexec_b32 s3, vcc_lo
	s_delay_alu instid0(SALU_CYCLE_1)
	s_xor_b32 s3, exec_lo, s3
	s_cbranch_execz .LBB66_3227
; %bb.3157:
	v_bfe_u32 v2, v6, 21, 1
	s_mov_b32 s2, exec_lo
	s_delay_alu instid0(VALU_DEP_1) | instskip(NEXT) | instid1(VALU_DEP_1)
	v_add3_u32 v2, v6, v2, 0x88fffff
	v_lshrrev_b32_e32 v2, 21, v2
	s_or_saveexec_b32 s3, s3
                                        ; implicit-def: $sgpr4
	s_delay_alu instid0(SALU_CYCLE_1)
	s_xor_b32 exec_lo, exec_lo, s3
	s_cbranch_execnz .LBB66_3228
.LBB66_3158:
	s_or_b32 exec_lo, exec_lo, s3
	v_mov_b32_e32 v3, s4
	s_and_saveexec_b32 s3, s2
.LBB66_3159:
	v_lshrrev_b32_e32 v3, 24, v6
	s_delay_alu instid0(VALU_DEP_1)
	v_and_or_b32 v3, 0x80, v3, v2
.LBB66_3160:
	s_or_b32 exec_lo, exec_lo, s3
.LBB66_3161:
	s_delay_alu instid0(SALU_CYCLE_1)
	s_or_b32 exec_lo, exec_lo, s1
	s_mov_b32 s1, 0
	global_store_b8 v[0:1], v3, off
.LBB66_3162:
	s_and_b32 vcc_lo, exec_lo, s1
	s_cbranch_vccz .LBB66_3172
; %bb.3163:
	v_and_b32_e32 v3, 0x7fffffff, v6
	s_mov_b32 s1, exec_lo
                                        ; implicit-def: $vgpr2
	s_delay_alu instid0(VALU_DEP_1)
	v_cmpx_gt_u32_e32 0x43f00000, v3
	s_xor_b32 s1, exec_lo, s1
	s_cbranch_execz .LBB66_3169
; %bb.3164:
	s_mov_b32 s2, exec_lo
                                        ; implicit-def: $vgpr2
	v_cmpx_lt_u32_e32 0x3c7fffff, v3
	s_xor_b32 s2, exec_lo, s2
; %bb.3165:
	v_bfe_u32 v2, v6, 20, 1
	s_delay_alu instid0(VALU_DEP_1) | instskip(NEXT) | instid1(VALU_DEP_1)
	v_add3_u32 v2, v6, v2, 0x407ffff
	v_and_b32_e32 v3, 0xff00000, v2
	v_lshrrev_b32_e32 v2, 20, v2
	s_delay_alu instid0(VALU_DEP_2) | instskip(NEXT) | instid1(VALU_DEP_2)
	v_cmp_ne_u32_e32 vcc_lo, 0x7f00000, v3
	v_cndmask_b32_e32 v2, 0x7e, v2, vcc_lo
; %bb.3166:
	s_and_not1_saveexec_b32 s2, s2
; %bb.3167:
	v_add_f32_e64 v2, 0x46800000, |v6|
; %bb.3168:
	s_or_b32 exec_lo, exec_lo, s2
                                        ; implicit-def: $vgpr3
.LBB66_3169:
	s_and_not1_saveexec_b32 s1, s1
; %bb.3170:
	v_mov_b32_e32 v2, 0x7f
	v_cmp_lt_u32_e32 vcc_lo, 0x7f800000, v3
	s_delay_alu instid0(VALU_DEP_2)
	v_cndmask_b32_e32 v2, 0x7e, v2, vcc_lo
; %bb.3171:
	s_or_b32 exec_lo, exec_lo, s1
	v_lshrrev_b32_e32 v3, 24, v6
	s_delay_alu instid0(VALU_DEP_1)
	v_and_or_b32 v2, 0x80, v3, v2
	global_store_b8 v[0:1], v2, off
.LBB66_3172:
	s_mov_b32 s1, 0
.LBB66_3173:
	s_delay_alu instid0(SALU_CYCLE_1)
	s_and_not1_b32 vcc_lo, exec_lo, s1
	s_cbranch_vccnz .LBB66_3183
; %bb.3174:
	v_and_b32_e32 v3, 0x7fffffff, v6
	s_mov_b32 s1, exec_lo
                                        ; implicit-def: $vgpr2
	s_delay_alu instid0(VALU_DEP_1)
	v_cmpx_gt_u32_e32 0x47800000, v3
	s_xor_b32 s1, exec_lo, s1
	s_cbranch_execz .LBB66_3180
; %bb.3175:
	s_mov_b32 s2, exec_lo
                                        ; implicit-def: $vgpr2
	v_cmpx_lt_u32_e32 0x387fffff, v3
	s_xor_b32 s2, exec_lo, s2
; %bb.3176:
	v_bfe_u32 v2, v6, 21, 1
	s_delay_alu instid0(VALU_DEP_1) | instskip(NEXT) | instid1(VALU_DEP_1)
	v_add3_u32 v2, v6, v2, 0x80fffff
	v_lshrrev_b32_e32 v2, 21, v2
; %bb.3177:
	s_and_not1_saveexec_b32 s2, s2
; %bb.3178:
	v_add_f32_e64 v2, 0x43000000, |v6|
; %bb.3179:
	s_or_b32 exec_lo, exec_lo, s2
                                        ; implicit-def: $vgpr3
.LBB66_3180:
	s_and_not1_saveexec_b32 s1, s1
; %bb.3181:
	v_mov_b32_e32 v2, 0x7f
	v_cmp_lt_u32_e32 vcc_lo, 0x7f800000, v3
	s_delay_alu instid0(VALU_DEP_2)
	v_cndmask_b32_e32 v2, 0x7c, v2, vcc_lo
; %bb.3182:
	s_or_b32 exec_lo, exec_lo, s1
	v_lshrrev_b32_e32 v3, 24, v6
	s_delay_alu instid0(VALU_DEP_1)
	v_and_or_b32 v2, 0x80, v3, v2
	global_store_b8 v[0:1], v2, off
.LBB66_3183:
	s_mov_b32 s1, 0
.LBB66_3184:
	s_delay_alu instid0(SALU_CYCLE_1)
	s_and_not1_b32 vcc_lo, exec_lo, s1
	s_mov_b32 s1, 0
	s_cbranch_vccnz .LBB66_3191
; %bb.3185:
	v_cmp_lt_i16_e32 vcc_lo, 14, v11
	s_mov_b32 s1, -1
	s_cbranch_vccz .LBB66_3189
; %bb.3186:
	v_cmp_eq_u16_e32 vcc_lo, 15, v11
	s_mov_b32 s0, -1
	s_cbranch_vccz .LBB66_3188
; %bb.3187:
	v_bfe_u32 v2, v6, 16, 1
	v_cmp_o_f32_e32 vcc_lo, v6, v6
	s_mov_b32 s0, 0
	s_delay_alu instid0(VALU_DEP_2) | instskip(NEXT) | instid1(VALU_DEP_1)
	v_add3_u32 v2, v6, v2, 0x7fff
	v_lshrrev_b32_e32 v2, 16, v2
	s_delay_alu instid0(VALU_DEP_1)
	v_cndmask_b32_e32 v2, 0x7fc0, v2, vcc_lo
	global_store_b16 v[0:1], v2, off
.LBB66_3188:
	s_mov_b32 s1, 0
.LBB66_3189:
	s_delay_alu instid0(SALU_CYCLE_1)
	s_and_b32 vcc_lo, exec_lo, s1
	s_mov_b32 s1, 0
	s_cbranch_vccz .LBB66_3191
; %bb.3190:
	v_cmp_ne_u16_e64 s0, 11, v11
	s_mov_b32 s1, -1
.LBB66_3191:
	s_delay_alu instid0(VALU_DEP_1)
	s_and_b32 vcc_lo, exec_lo, s0
	s_cbranch_vccnz .LBB66_3225
.LBB66_3192:
	s_mov_b32 s0, 0
	s_branch .LBB66_2794
.LBB66_3193:
	s_mov_b32 s0, 0
	s_mov_b32 s1, 0
                                        ; implicit-def: $vgpr11
                                        ; implicit-def: $vgpr0_vgpr1
	s_branch .LBB66_2794
.LBB66_3194:
	s_mov_b32 s1, 0
	s_mov_b32 s0, -1
	s_branch .LBB66_2794
.LBB66_3195:
	s_cbranch_execnz .LBB66_3199
; %bb.3196:
	s_or_b32 s11, s11, exec_lo
                                        ; implicit-def: $vgpr3
	s_cbranch_execz .LBB66_2651
	s_branch .LBB66_2652
.LBB66_3197:
	s_or_saveexec_b32 s6, s6
                                        ; implicit-def: $sgpr7
	s_delay_alu instid0(SALU_CYCLE_1)
	s_xor_b32 exec_lo, exec_lo, s6
	s_cbranch_execz .LBB66_2743
.LBB66_3198:
	v_add_f32_e64 v1, 0x46000000, |v0|
	s_and_not1_b32 s3, s3, exec_lo
	s_mov_b32 s7, 0
	s_delay_alu instid0(VALU_DEP_1) | instskip(NEXT) | instid1(VALU_DEP_1)
	v_and_b32_e32 v1, 0xff, v1
	v_cmp_ne_u32_e32 vcc_lo, 0, v1
	s_and_b32 s9, vcc_lo, exec_lo
	s_delay_alu instid0(SALU_CYCLE_1)
	s_or_b32 s3, s3, s9
	s_or_b32 exec_lo, exec_lo, s6
	v_mov_b32_e32 v5, s7
	s_and_saveexec_b32 s6, s3
	s_cbranch_execnz .LBB66_2744
	s_branch .LBB66_2745
.LBB66_3199:
	s_trap 2
	s_sendmsg_rtn_b32 s0, sendmsg(MSG_RTN_GET_DOORBELL)
	s_mov_b32 ttmp2, m0
	s_waitcnt lgkmcnt(0)
	s_and_b32 s0, s0, 0x3ff
	s_delay_alu instid0(SALU_CYCLE_1) | instskip(NEXT) | instid1(SALU_CYCLE_1)
	s_bitset1_b32 s0, 10
	s_mov_b32 m0, s0
	s_sendmsg sendmsg(MSG_INTERRUPT)
	s_mov_b32 m0, ttmp2
.LBB66_3200:                            ; =>This Inner Loop Header: Depth=1
	s_sethalt 5
	s_branch .LBB66_3200
.LBB66_3201:
	s_cbranch_execnz .LBB66_3207
; %bb.3202:
	s_or_b32 s11, s11, exec_lo
	s_cbranch_execz .LBB66_2791
	s_branch .LBB66_2792
.LBB66_3203:
	s_or_saveexec_b32 s3, s3
                                        ; implicit-def: $sgpr6
	s_delay_alu instid0(SALU_CYCLE_1)
	s_xor_b32 exec_lo, exec_lo, s3
	s_cbranch_execz .LBB66_2756
.LBB66_3204:
	v_add_f32_e64 v1, 0x42800000, |v0|
	s_and_not1_b32 s2, s2, exec_lo
	s_mov_b32 s6, 0
	s_delay_alu instid0(VALU_DEP_1) | instskip(NEXT) | instid1(VALU_DEP_1)
	v_and_b32_e32 v1, 0xff, v1
	v_cmp_ne_u32_e32 vcc_lo, 0, v1
	s_and_b32 s7, vcc_lo, exec_lo
	s_delay_alu instid0(SALU_CYCLE_1)
	s_or_b32 s2, s2, s7
	s_or_b32 exec_lo, exec_lo, s3
	v_mov_b32_e32 v5, s6
	s_and_saveexec_b32 s3, s2
	s_cbranch_execnz .LBB66_2757
	s_branch .LBB66_2758
.LBB66_3205:
	s_or_saveexec_b32 s7, s7
                                        ; implicit-def: $sgpr8
	s_delay_alu instid0(SALU_CYCLE_1)
	s_xor_b32 exec_lo, exec_lo, s7
	s_cbranch_execz .LBB66_2907
.LBB66_3206:
	v_add_f32_e64 v3, 0x46000000, |v2|
	s_and_not1_b32 s6, s6, exec_lo
	s_mov_b32 s8, 0
	s_delay_alu instid0(VALU_DEP_1) | instskip(NEXT) | instid1(VALU_DEP_1)
	v_and_b32_e32 v3, 0xff, v3
	v_cmp_ne_u32_e32 vcc_lo, 0, v3
	s_and_b32 s9, vcc_lo, exec_lo
	s_delay_alu instid0(SALU_CYCLE_1)
	s_or_b32 s6, s6, s9
	s_or_b32 exec_lo, exec_lo, s7
	v_mov_b32_e32 v7, s8
	s_and_saveexec_b32 s7, s6
	s_cbranch_execnz .LBB66_2908
	s_branch .LBB66_2909
.LBB66_3207:
	s_trap 2
	s_sendmsg_rtn_b32 s0, sendmsg(MSG_RTN_GET_DOORBELL)
	s_mov_b32 ttmp2, m0
	s_waitcnt lgkmcnt(0)
	s_and_b32 s0, s0, 0x3ff
	s_delay_alu instid0(SALU_CYCLE_1) | instskip(NEXT) | instid1(SALU_CYCLE_1)
	s_bitset1_b32 s0, 10
	s_mov_b32 m0, s0
	s_sendmsg sendmsg(MSG_INTERRUPT)
	s_mov_b32 m0, ttmp2
.LBB66_3208:                            ; =>This Inner Loop Header: Depth=1
	s_sethalt 5
	s_branch .LBB66_3208
.LBB66_3209:
	s_cbranch_execnz .LBB66_3215
; %bb.3210:
	s_or_b32 s11, s11, exec_lo
	s_cbranch_execz .LBB66_2955
	s_branch .LBB66_2956
.LBB66_3211:
	s_or_saveexec_b32 s6, s6
                                        ; implicit-def: $sgpr7
	s_delay_alu instid0(SALU_CYCLE_1)
	s_xor_b32 exec_lo, exec_lo, s6
	s_cbranch_execz .LBB66_2920
.LBB66_3212:
	v_add_f32_e64 v3, 0x42800000, |v2|
	s_and_not1_b32 s3, s3, exec_lo
	s_mov_b32 s7, 0
	s_delay_alu instid0(VALU_DEP_1) | instskip(NEXT) | instid1(VALU_DEP_1)
	v_and_b32_e32 v3, 0xff, v3
	v_cmp_ne_u32_e32 vcc_lo, 0, v3
	s_and_b32 s8, vcc_lo, exec_lo
	s_delay_alu instid0(SALU_CYCLE_1)
	s_or_b32 s3, s3, s8
	s_or_b32 exec_lo, exec_lo, s6
	v_mov_b32_e32 v7, s7
	s_and_saveexec_b32 s6, s3
	s_cbranch_execnz .LBB66_2921
	s_branch .LBB66_2922
.LBB66_3213:
	s_or_saveexec_b32 s7, s7
                                        ; implicit-def: $sgpr8
	s_delay_alu instid0(SALU_CYCLE_1)
	s_xor_b32 exec_lo, exec_lo, s7
	s_cbranch_execz .LBB66_3026
.LBB66_3214:
	v_add_f32_e64 v3, 0x46000000, |v4|
	s_and_not1_b32 s6, s6, exec_lo
	s_mov_b32 s8, 0
	s_delay_alu instid0(VALU_DEP_1) | instskip(NEXT) | instid1(VALU_DEP_1)
	v_and_b32_e32 v3, 0xff, v3
	v_cmp_ne_u32_e32 vcc_lo, 0, v3
	s_and_b32 s9, vcc_lo, exec_lo
	s_delay_alu instid0(SALU_CYCLE_1)
	s_or_b32 s6, s6, s9
	s_or_b32 exec_lo, exec_lo, s7
	v_mov_b32_e32 v5, s8
	s_and_saveexec_b32 s7, s6
	s_cbranch_execnz .LBB66_3027
	s_branch .LBB66_3028
.LBB66_3215:
	s_trap 2
	s_sendmsg_rtn_b32 s0, sendmsg(MSG_RTN_GET_DOORBELL)
	s_mov_b32 ttmp2, m0
	s_waitcnt lgkmcnt(0)
	s_and_b32 s0, s0, 0x3ff
	s_delay_alu instid0(SALU_CYCLE_1) | instskip(NEXT) | instid1(SALU_CYCLE_1)
	s_bitset1_b32 s0, 10
	s_mov_b32 m0, s0
	s_sendmsg sendmsg(MSG_INTERRUPT)
	s_mov_b32 m0, ttmp2
.LBB66_3216:                            ; =>This Inner Loop Header: Depth=1
	s_sethalt 5
	s_branch .LBB66_3216
.LBB66_3217:
	s_cbranch_execnz .LBB66_3223
; %bb.3218:
	s_or_b32 s11, s11, exec_lo
	s_cbranch_execz .LBB66_3074
	s_branch .LBB66_3075
.LBB66_3219:
	s_or_saveexec_b32 s6, s6
                                        ; implicit-def: $sgpr7
	s_delay_alu instid0(SALU_CYCLE_1)
	s_xor_b32 exec_lo, exec_lo, s6
	s_cbranch_execz .LBB66_3039
.LBB66_3220:
	v_add_f32_e64 v3, 0x42800000, |v4|
	s_and_not1_b32 s3, s3, exec_lo
	s_mov_b32 s7, 0
	s_delay_alu instid0(VALU_DEP_1) | instskip(NEXT) | instid1(VALU_DEP_1)
	v_and_b32_e32 v3, 0xff, v3
	v_cmp_ne_u32_e32 vcc_lo, 0, v3
	s_and_b32 s8, vcc_lo, exec_lo
	s_delay_alu instid0(SALU_CYCLE_1)
	s_or_b32 s3, s3, s8
	s_or_b32 exec_lo, exec_lo, s6
	v_mov_b32_e32 v5, s7
	s_and_saveexec_b32 s6, s3
	s_cbranch_execnz .LBB66_3040
	s_branch .LBB66_3041
.LBB66_3221:
	s_or_saveexec_b32 s4, s4
                                        ; implicit-def: $sgpr5
	s_delay_alu instid0(SALU_CYCLE_1)
	s_xor_b32 exec_lo, exec_lo, s4
	s_cbranch_execz .LBB66_3146
.LBB66_3222:
	v_add_f32_e64 v2, 0x46000000, |v6|
	s_and_not1_b32 s3, s3, exec_lo
	s_mov_b32 s5, 0
	s_delay_alu instid0(VALU_DEP_1) | instskip(NEXT) | instid1(VALU_DEP_1)
	v_and_b32_e32 v2, 0xff, v2
	v_cmp_ne_u32_e32 vcc_lo, 0, v2
	s_and_b32 s6, vcc_lo, exec_lo
	s_delay_alu instid0(SALU_CYCLE_1)
	s_or_b32 s3, s3, s6
	s_or_b32 exec_lo, exec_lo, s4
	v_mov_b32_e32 v3, s5
	s_and_saveexec_b32 s4, s3
	s_cbranch_execnz .LBB66_3147
	s_branch .LBB66_3148
.LBB66_3223:
	s_trap 2
	s_sendmsg_rtn_b32 s0, sendmsg(MSG_RTN_GET_DOORBELL)
	s_mov_b32 ttmp2, m0
	s_waitcnt lgkmcnt(0)
	s_and_b32 s0, s0, 0x3ff
	s_delay_alu instid0(SALU_CYCLE_1) | instskip(NEXT) | instid1(SALU_CYCLE_1)
	s_bitset1_b32 s0, 10
	s_mov_b32 m0, s0
	s_sendmsg sendmsg(MSG_INTERRUPT)
	s_mov_b32 m0, ttmp2
.LBB66_3224:                            ; =>This Inner Loop Header: Depth=1
	s_sethalt 5
	s_branch .LBB66_3224
.LBB66_3225:
	s_cbranch_execnz .LBB66_3229
; %bb.3226:
	s_mov_b32 s1, 0
	s_or_b32 s11, s11, exec_lo
	s_branch .LBB66_3192
.LBB66_3227:
	s_or_saveexec_b32 s3, s3
                                        ; implicit-def: $sgpr4
	s_delay_alu instid0(SALU_CYCLE_1)
	s_xor_b32 exec_lo, exec_lo, s3
	s_cbranch_execz .LBB66_3158
.LBB66_3228:
	v_add_f32_e64 v2, 0x42800000, |v6|
	s_and_not1_b32 s2, s2, exec_lo
	s_mov_b32 s4, 0
	s_delay_alu instid0(VALU_DEP_1) | instskip(NEXT) | instid1(VALU_DEP_1)
	v_and_b32_e32 v2, 0xff, v2
	v_cmp_ne_u32_e32 vcc_lo, 0, v2
	s_and_b32 s5, vcc_lo, exec_lo
	s_delay_alu instid0(SALU_CYCLE_1)
	s_or_b32 s2, s2, s5
	s_or_b32 exec_lo, exec_lo, s3
	v_mov_b32_e32 v3, s4
	s_and_saveexec_b32 s3, s2
	s_cbranch_execnz .LBB66_3159
	s_branch .LBB66_3160
.LBB66_3229:
	s_trap 2
	s_sendmsg_rtn_b32 s0, sendmsg(MSG_RTN_GET_DOORBELL)
	s_mov_b32 ttmp2, m0
	s_waitcnt lgkmcnt(0)
	s_and_b32 s0, s0, 0x3ff
	s_delay_alu instid0(SALU_CYCLE_1) | instskip(NEXT) | instid1(SALU_CYCLE_1)
	s_bitset1_b32 s0, 10
	s_mov_b32 m0, s0
	s_sendmsg sendmsg(MSG_INTERRUPT)
	s_mov_b32 m0, ttmp2
.LBB66_3230:                            ; =>This Inner Loop Header: Depth=1
	s_sethalt 5
	s_branch .LBB66_3230
	.section	.rodata,"a",@progbits
	.p2align	6, 0x0
	.amdhsa_kernel _ZN2at6native32elementwise_kernel_manual_unrollILi128ELi4EZNS0_15gpu_kernel_implINS0_13BinaryFunctorIfffZZZNS0_12_GLOBAL__N_132hermite_polynomial_h_kernel_cudaERNS_18TensorIteratorBaseEENKUlvE_clEvENKUlvE0_clEvEUlffE_EEEEvS6_RKT_EUlibE_EEviT1_
		.amdhsa_group_segment_fixed_size 0
		.amdhsa_private_segment_fixed_size 0
		.amdhsa_kernarg_size 48
		.amdhsa_user_sgpr_count 15
		.amdhsa_user_sgpr_dispatch_ptr 0
		.amdhsa_user_sgpr_queue_ptr 0
		.amdhsa_user_sgpr_kernarg_segment_ptr 1
		.amdhsa_user_sgpr_dispatch_id 0
		.amdhsa_user_sgpr_private_segment_size 0
		.amdhsa_wavefront_size32 1
		.amdhsa_uses_dynamic_stack 0
		.amdhsa_enable_private_segment 0
		.amdhsa_system_sgpr_workgroup_id_x 1
		.amdhsa_system_sgpr_workgroup_id_y 0
		.amdhsa_system_sgpr_workgroup_id_z 0
		.amdhsa_system_sgpr_workgroup_info 0
		.amdhsa_system_vgpr_workitem_id 0
		.amdhsa_next_free_vgpr 16
		.amdhsa_next_free_sgpr 34
		.amdhsa_reserve_vcc 1
		.amdhsa_float_round_mode_32 0
		.amdhsa_float_round_mode_16_64 0
		.amdhsa_float_denorm_mode_32 3
		.amdhsa_float_denorm_mode_16_64 3
		.amdhsa_dx10_clamp 1
		.amdhsa_ieee_mode 1
		.amdhsa_fp16_overflow 0
		.amdhsa_workgroup_processor_mode 1
		.amdhsa_memory_ordered 1
		.amdhsa_forward_progress 0
		.amdhsa_shared_vgpr_count 0
		.amdhsa_exception_fp_ieee_invalid_op 0
		.amdhsa_exception_fp_denorm_src 0
		.amdhsa_exception_fp_ieee_div_zero 0
		.amdhsa_exception_fp_ieee_overflow 0
		.amdhsa_exception_fp_ieee_underflow 0
		.amdhsa_exception_fp_ieee_inexact 0
		.amdhsa_exception_int_div_zero 0
	.end_amdhsa_kernel
	.section	.text._ZN2at6native32elementwise_kernel_manual_unrollILi128ELi4EZNS0_15gpu_kernel_implINS0_13BinaryFunctorIfffZZZNS0_12_GLOBAL__N_132hermite_polynomial_h_kernel_cudaERNS_18TensorIteratorBaseEENKUlvE_clEvENKUlvE0_clEvEUlffE_EEEEvS6_RKT_EUlibE_EEviT1_,"axG",@progbits,_ZN2at6native32elementwise_kernel_manual_unrollILi128ELi4EZNS0_15gpu_kernel_implINS0_13BinaryFunctorIfffZZZNS0_12_GLOBAL__N_132hermite_polynomial_h_kernel_cudaERNS_18TensorIteratorBaseEENKUlvE_clEvENKUlvE0_clEvEUlffE_EEEEvS6_RKT_EUlibE_EEviT1_,comdat
.Lfunc_end66:
	.size	_ZN2at6native32elementwise_kernel_manual_unrollILi128ELi4EZNS0_15gpu_kernel_implINS0_13BinaryFunctorIfffZZZNS0_12_GLOBAL__N_132hermite_polynomial_h_kernel_cudaERNS_18TensorIteratorBaseEENKUlvE_clEvENKUlvE0_clEvEUlffE_EEEEvS6_RKT_EUlibE_EEviT1_, .Lfunc_end66-_ZN2at6native32elementwise_kernel_manual_unrollILi128ELi4EZNS0_15gpu_kernel_implINS0_13BinaryFunctorIfffZZZNS0_12_GLOBAL__N_132hermite_polynomial_h_kernel_cudaERNS_18TensorIteratorBaseEENKUlvE_clEvENKUlvE0_clEvEUlffE_EEEEvS6_RKT_EUlibE_EEviT1_
                                        ; -- End function
	.section	.AMDGPU.csdata,"",@progbits
; Kernel info:
; codeLenInByte = 55684
; NumSgprs: 36
; NumVgprs: 16
; ScratchSize: 0
; MemoryBound: 1
; FloatMode: 240
; IeeeMode: 1
; LDSByteSize: 0 bytes/workgroup (compile time only)
; SGPRBlocks: 4
; VGPRBlocks: 1
; NumSGPRsForWavesPerEU: 36
; NumVGPRsForWavesPerEU: 16
; Occupancy: 16
; WaveLimiterHint : 0
; COMPUTE_PGM_RSRC2:SCRATCH_EN: 0
; COMPUTE_PGM_RSRC2:USER_SGPR: 15
; COMPUTE_PGM_RSRC2:TRAP_HANDLER: 0
; COMPUTE_PGM_RSRC2:TGID_X_EN: 1
; COMPUTE_PGM_RSRC2:TGID_Y_EN: 0
; COMPUTE_PGM_RSRC2:TGID_Z_EN: 0
; COMPUTE_PGM_RSRC2:TIDIG_COMP_CNT: 0
	.section	.text._ZN2at6native32elementwise_kernel_manual_unrollILi128ELi4EZNS0_12_GLOBAL__N_142type_specialized_broadcast_kernel_launcherILi0EE5applyINS0_13BinaryFunctorIfffZZZNS2_32hermite_polynomial_h_kernel_cudaERNS_18TensorIteratorBaseEENKUlvE_clEvENKUlvE0_clEvEUlffE_EESt5arrayIPcLm3EESD_IN3c1010ScalarTypeELm3EE16OffsetCalculatorILi3EjLb0EEEEvlT_T0_T1_T2_EUlibE_EEviSN_,"axG",@progbits,_ZN2at6native32elementwise_kernel_manual_unrollILi128ELi4EZNS0_12_GLOBAL__N_142type_specialized_broadcast_kernel_launcherILi0EE5applyINS0_13BinaryFunctorIfffZZZNS2_32hermite_polynomial_h_kernel_cudaERNS_18TensorIteratorBaseEENKUlvE_clEvENKUlvE0_clEvEUlffE_EESt5arrayIPcLm3EESD_IN3c1010ScalarTypeELm3EE16OffsetCalculatorILi3EjLb0EEEEvlT_T0_T1_T2_EUlibE_EEviSN_,comdat
	.globl	_ZN2at6native32elementwise_kernel_manual_unrollILi128ELi4EZNS0_12_GLOBAL__N_142type_specialized_broadcast_kernel_launcherILi0EE5applyINS0_13BinaryFunctorIfffZZZNS2_32hermite_polynomial_h_kernel_cudaERNS_18TensorIteratorBaseEENKUlvE_clEvENKUlvE0_clEvEUlffE_EESt5arrayIPcLm3EESD_IN3c1010ScalarTypeELm3EE16OffsetCalculatorILi3EjLb0EEEEvlT_T0_T1_T2_EUlibE_EEviSN_ ; -- Begin function _ZN2at6native32elementwise_kernel_manual_unrollILi128ELi4EZNS0_12_GLOBAL__N_142type_specialized_broadcast_kernel_launcherILi0EE5applyINS0_13BinaryFunctorIfffZZZNS2_32hermite_polynomial_h_kernel_cudaERNS_18TensorIteratorBaseEENKUlvE_clEvENKUlvE0_clEvEUlffE_EESt5arrayIPcLm3EESD_IN3c1010ScalarTypeELm3EE16OffsetCalculatorILi3EjLb0EEEEvlT_T0_T1_T2_EUlibE_EEviSN_
	.p2align	8
	.type	_ZN2at6native32elementwise_kernel_manual_unrollILi128ELi4EZNS0_12_GLOBAL__N_142type_specialized_broadcast_kernel_launcherILi0EE5applyINS0_13BinaryFunctorIfffZZZNS2_32hermite_polynomial_h_kernel_cudaERNS_18TensorIteratorBaseEENKUlvE_clEvENKUlvE0_clEvEUlffE_EESt5arrayIPcLm3EESD_IN3c1010ScalarTypeELm3EE16OffsetCalculatorILi3EjLb0EEEEvlT_T0_T1_T2_EUlibE_EEviSN_,@function
_ZN2at6native32elementwise_kernel_manual_unrollILi128ELi4EZNS0_12_GLOBAL__N_142type_specialized_broadcast_kernel_launcherILi0EE5applyINS0_13BinaryFunctorIfffZZZNS2_32hermite_polynomial_h_kernel_cudaERNS_18TensorIteratorBaseEENKUlvE_clEvENKUlvE0_clEvEUlffE_EESt5arrayIPcLm3EESD_IN3c1010ScalarTypeELm3EE16OffsetCalculatorILi3EjLb0EEEEvlT_T0_T1_T2_EUlibE_EEviSN_: ; @_ZN2at6native32elementwise_kernel_manual_unrollILi128ELi4EZNS0_12_GLOBAL__N_142type_specialized_broadcast_kernel_launcherILi0EE5applyINS0_13BinaryFunctorIfffZZZNS2_32hermite_polynomial_h_kernel_cudaERNS_18TensorIteratorBaseEENKUlvE_clEvENKUlvE0_clEvEUlffE_EESt5arrayIPcLm3EESD_IN3c1010ScalarTypeELm3EE16OffsetCalculatorILi3EjLb0EEEEvlT_T0_T1_T2_EUlibE_EEviSN_
; %bb.0:
	s_clause 0x1
	s_load_b32 s22, s[0:1], 0x8
	s_load_b32 s28, s[0:1], 0x0
	v_lshl_or_b32 v7, s15, 9, v0
	s_or_b32 s0, s0, 8
	s_mov_b32 s2, exec_lo
	s_delay_alu instid0(VALU_DEP_1) | instskip(SKIP_2) | instid1(SALU_CYCLE_1)
	v_or_b32_e32 v12, 0x180, v7
	s_waitcnt lgkmcnt(0)
	s_add_i32 s23, s22, -1
	s_cmp_gt_u32 s23, 1
	s_cselect_b32 s24, -1, 0
	v_cmpx_le_i32_e64 s28, v12
	s_xor_b32 s25, exec_lo, s2
	s_cbranch_execz .LBB67_8
; %bb.1:
	s_clause 0x5
	s_load_b128 s[12:15], s[0:1], 0x4
	s_load_b64 s[18:19], s[0:1], 0x14
	s_load_b128 s[8:11], s[0:1], 0xc4
	s_load_b64 s[16:17], s[0:1], 0xd4
	s_load_b64 s[2:3], s[0:1], 0x198
	s_load_b128 s[4:7], s[0:1], 0x188
	s_cmp_lg_u32 s22, 0
	s_mov_b32 s30, exec_lo
	s_cselect_b32 s29, -1, 0
	s_min_u32 s27, s23, 15
	s_cmp_gt_u32 s22, 1
	s_cselect_b32 s26, -1, 0
	v_cmpx_gt_i32_e64 s28, v7
	s_cbranch_execz .LBB67_15
; %bb.2:
	s_and_not1_b32 vcc_lo, exec_lo, s24
	s_cbranch_vccnz .LBB67_105
; %bb.3:
	v_dual_mov_b32 v0, 0 :: v_dual_mov_b32 v1, 0
	v_mov_b32_e32 v2, 0
	s_and_not1_b32 vcc_lo, exec_lo, s29
	s_mov_b32 s31, 0
	s_cbranch_vccnz .LBB67_106
; %bb.4:
	s_add_i32 s20, s27, 1
	v_dual_mov_b32 v2, 0 :: v_dual_mov_b32 v1, 0
	v_dual_mov_b32 v0, 0 :: v_dual_mov_b32 v3, v7
	s_and_b32 s33, s20, 30
	s_add_u32 s20, s0, 0xffffffec
	s_addc_u32 s21, s1, -1
	s_set_inst_prefetch_distance 0x1
	.p2align	6
.LBB67_5:                               ; =>This Inner Loop Header: Depth=1
	s_clause 0x2
	s_load_b128 s[36:39], s[20:21], 0x18
	s_load_b64 s[34:35], s[20:21], 0x28
	s_load_b128 s[40:43], s[20:21], 0xd8
	s_waitcnt lgkmcnt(0)
	v_mul_hi_u32 v4, s37, v3
	s_delay_alu instid0(VALU_DEP_1) | instskip(NEXT) | instid1(VALU_DEP_1)
	v_add_nc_u32_e32 v4, v3, v4
	v_lshrrev_b32_e32 v4, s38, v4
	s_delay_alu instid0(VALU_DEP_1)
	v_mul_hi_u32 v5, s34, v4
	v_mul_lo_u32 v6, v4, s36
	s_load_b64 s[36:37], s[20:21], 0xe8
	s_add_u32 s20, s20, 24
	s_addc_u32 s21, s21, 0
	s_add_i32 s33, s33, -2
	s_delay_alu instid0(SALU_CYCLE_1) | instskip(NEXT) | instid1(VALU_DEP_2)
	s_cmp_lg_u32 s33, 0
	v_add_nc_u32_e32 v5, v4, v5
	s_delay_alu instid0(VALU_DEP_2) | instskip(NEXT) | instid1(VALU_DEP_2)
	v_sub_nc_u32_e32 v6, v3, v6
	v_lshrrev_b32_e32 v3, s35, v5
	s_delay_alu instid0(VALU_DEP_2) | instskip(NEXT) | instid1(VALU_DEP_2)
	v_mul_lo_u32 v8, v6, s40
	v_mul_lo_u32 v5, v3, s39
	s_delay_alu instid0(VALU_DEP_1) | instskip(SKIP_2) | instid1(VALU_DEP_3)
	v_sub_nc_u32_e32 v4, v4, v5
	v_mul_lo_u32 v5, v6, s41
	v_mul_lo_u32 v6, v6, s42
	;; [unrolled: 1-line block ×3, first 2 shown]
	s_waitcnt lgkmcnt(0)
	v_mul_lo_u32 v10, v4, s36
	v_mul_lo_u32 v4, v4, s37
	s_delay_alu instid0(VALU_DEP_3) | instskip(NEXT) | instid1(VALU_DEP_3)
	v_add3_u32 v0, v8, v0, v9
	v_add3_u32 v1, v5, v1, v10
	s_delay_alu instid0(VALU_DEP_3)
	v_add3_u32 v2, v6, v2, v4
	s_cbranch_scc1 .LBB67_5
; %bb.6:
	s_set_inst_prefetch_distance 0x2
	s_bitcmp1_b32 s27, 0
	s_cselect_b32 s33, -1, 0
	s_delay_alu instid0(SALU_CYCLE_1)
	s_and_b32 vcc_lo, exec_lo, s33
	s_cbranch_vccnz .LBB67_106
; %bb.7:
	s_clause 0x3
	s_load_b64 s[34:35], s[20:21], 0x18
	s_load_b32 s33, s[20:21], 0x20
	s_load_b64 s[36:37], s[20:21], 0xd8
	s_load_b32 s20, s[20:21], 0xe0
	s_waitcnt lgkmcnt(0)
	v_mul_hi_u32 v4, s35, v3
	s_delay_alu instid0(VALU_DEP_1) | instskip(NEXT) | instid1(VALU_DEP_1)
	v_add_nc_u32_e32 v4, v3, v4
	v_lshrrev_b32_e32 v4, s33, v4
	s_delay_alu instid0(VALU_DEP_1) | instskip(NEXT) | instid1(VALU_DEP_1)
	v_mul_lo_u32 v4, v4, s34
	v_sub_nc_u32_e32 v8, v3, v4
	s_delay_alu instid0(VALU_DEP_1) | instskip(SKIP_1) | instid1(VALU_DEP_2)
	v_mad_u64_u32 v[3:4], null, v8, s36, v[0:1]
	v_mad_u64_u32 v[4:5], null, v8, s37, v[1:2]
	;; [unrolled: 1-line block ×3, first 2 shown]
	s_delay_alu instid0(VALU_DEP_2) | instskip(NEXT) | instid1(VALU_DEP_2)
	v_dual_mov_b32 v0, v3 :: v_dual_mov_b32 v1, v4
	v_mov_b32_e32 v2, v5
	s_branch .LBB67_106
.LBB67_8:
	s_and_not1_saveexec_b32 s2, s25
	s_cbranch_execz .LBB67_148
.LBB67_9:
	v_cndmask_b32_e64 v10, 0, 1, s24
	s_and_not1_b32 vcc_lo, exec_lo, s24
	s_cbranch_vccnz .LBB67_22
; %bb.10:
	v_dual_mov_b32 v0, 0 :: v_dual_mov_b32 v3, 0
	v_mov_b32_e32 v4, 0
	s_cmp_lg_u32 s22, 0
	s_mov_b32 s4, 0
	s_cbranch_scc0 .LBB67_23
; %bb.11:
	s_min_u32 s5, s23, 15
	v_dual_mov_b32 v4, 0 :: v_dual_mov_b32 v3, 0
	s_add_i32 s2, s5, 1
	s_waitcnt vmcnt(0)
	v_dual_mov_b32 v0, 0 :: v_dual_mov_b32 v1, v7
	s_and_b32 s6, s2, 30
	s_add_u32 s2, s0, 0xffffffec
	s_addc_u32 s3, s1, -1
	s_set_inst_prefetch_distance 0x1
	.p2align	6
.LBB67_12:                              ; =>This Inner Loop Header: Depth=1
	s_clause 0x2
	s_load_b128 s[8:11], s[2:3], 0x18
	s_load_b64 s[16:17], s[2:3], 0x28
	s_load_b128 s[12:15], s[2:3], 0xd8
	s_waitcnt lgkmcnt(0)
	v_mul_hi_u32 v2, s9, v1
	s_delay_alu instid0(VALU_DEP_1) | instskip(NEXT) | instid1(VALU_DEP_1)
	v_add_nc_u32_e32 v2, v1, v2
	v_lshrrev_b32_e32 v2, s10, v2
	s_delay_alu instid0(VALU_DEP_1)
	v_mul_hi_u32 v5, s16, v2
	v_mul_lo_u32 v6, v2, s8
	s_load_b64 s[8:9], s[2:3], 0xe8
	s_add_u32 s2, s2, 24
	s_addc_u32 s3, s3, 0
	s_add_i32 s6, s6, -2
	s_delay_alu instid0(SALU_CYCLE_1) | instskip(NEXT) | instid1(VALU_DEP_2)
	s_cmp_lg_u32 s6, 0
	v_add_nc_u32_e32 v5, v2, v5
	s_delay_alu instid0(VALU_DEP_2) | instskip(NEXT) | instid1(VALU_DEP_2)
	v_sub_nc_u32_e32 v6, v1, v6
	v_lshrrev_b32_e32 v1, s17, v5
	s_delay_alu instid0(VALU_DEP_2) | instskip(NEXT) | instid1(VALU_DEP_2)
	v_mul_lo_u32 v8, v6, s12
	v_mul_lo_u32 v5, v1, s11
	s_delay_alu instid0(VALU_DEP_1) | instskip(SKIP_2) | instid1(VALU_DEP_3)
	v_sub_nc_u32_e32 v2, v2, v5
	v_mul_lo_u32 v5, v6, s13
	v_mul_lo_u32 v6, v6, s14
	;; [unrolled: 1-line block ×3, first 2 shown]
	s_waitcnt lgkmcnt(0)
	v_mul_lo_u32 v11, v2, s8
	v_mul_lo_u32 v2, v2, s9
	s_delay_alu instid0(VALU_DEP_3) | instskip(NEXT) | instid1(VALU_DEP_3)
	v_add3_u32 v0, v8, v0, v9
	v_add3_u32 v3, v5, v3, v11
	s_delay_alu instid0(VALU_DEP_3)
	v_add3_u32 v4, v6, v4, v2
	s_cbranch_scc1 .LBB67_12
; %bb.13:
	s_set_inst_prefetch_distance 0x2
	s_bitcmp1_b32 s5, 0
	s_cselect_b32 s5, -1, 0
	s_delay_alu instid0(SALU_CYCLE_1)
	s_and_b32 vcc_lo, exec_lo, s5
	s_cbranch_vccnz .LBB67_23
; %bb.14:
	s_clause 0x3
	s_load_b64 s[6:7], s[2:3], 0x18
	s_load_b32 s5, s[2:3], 0x20
	s_load_b64 s[8:9], s[2:3], 0xd8
	s_load_b32 s2, s[2:3], 0xe0
	s_waitcnt lgkmcnt(0)
	v_mul_hi_u32 v2, s7, v1
	s_delay_alu instid0(VALU_DEP_1) | instskip(NEXT) | instid1(VALU_DEP_1)
	v_add_nc_u32_e32 v2, v1, v2
	v_lshrrev_b32_e32 v2, s5, v2
	s_delay_alu instid0(VALU_DEP_1) | instskip(NEXT) | instid1(VALU_DEP_1)
	v_mul_lo_u32 v2, v2, s6
	v_sub_nc_u32_e32 v8, v1, v2
	s_delay_alu instid0(VALU_DEP_1) | instskip(SKIP_1) | instid1(VALU_DEP_2)
	v_mad_u64_u32 v[5:6], null, v8, s9, v[3:4]
	v_mad_u64_u32 v[1:2], null, v8, s8, v[0:1]
	;; [unrolled: 1-line block ×3, first 2 shown]
	s_delay_alu instid0(VALU_DEP_2) | instskip(NEXT) | instid1(VALU_DEP_2)
	v_mov_b32_e32 v0, v1
	v_dual_mov_b32 v3, v5 :: v_dual_mov_b32 v4, v2
	s_branch .LBB67_23
.LBB67_15:
	s_or_b32 exec_lo, exec_lo, s30
	s_delay_alu instid0(SALU_CYCLE_1)
	s_mov_b32 s30, exec_lo
	v_cmpx_gt_i32_e64 s28, v7
	s_cbranch_execz .LBB67_122
.LBB67_16:
	s_and_not1_b32 vcc_lo, exec_lo, s24
	s_cbranch_vccnz .LBB67_129
; %bb.17:
	s_waitcnt vmcnt(0)
	v_dual_mov_b32 v0, 0 :: v_dual_mov_b32 v1, 0
	v_mov_b32_e32 v2, 0
	s_and_not1_b32 vcc_lo, exec_lo, s29
	s_mov_b32 s31, 0
	s_cbranch_vccnz .LBB67_130
; %bb.18:
	s_add_i32 s20, s27, 1
	v_dual_mov_b32 v2, 0 :: v_dual_mov_b32 v1, 0
	v_dual_mov_b32 v0, 0 :: v_dual_mov_b32 v3, v7
	s_and_b32 s33, s20, 30
	s_add_u32 s20, s0, 0xffffffec
	s_addc_u32 s21, s1, -1
	s_set_inst_prefetch_distance 0x1
	.p2align	6
.LBB67_19:                              ; =>This Inner Loop Header: Depth=1
	s_clause 0x2
	s_load_b128 s[36:39], s[20:21], 0x18
	s_load_b64 s[34:35], s[20:21], 0x28
	s_load_b128 s[40:43], s[20:21], 0xd8
	s_waitcnt lgkmcnt(0)
	v_mul_hi_u32 v4, s37, v3
	s_delay_alu instid0(VALU_DEP_1) | instskip(NEXT) | instid1(VALU_DEP_1)
	v_add_nc_u32_e32 v4, v3, v4
	v_lshrrev_b32_e32 v4, s38, v4
	s_delay_alu instid0(VALU_DEP_1)
	v_mul_hi_u32 v5, s34, v4
	v_mul_lo_u32 v6, v4, s36
	s_load_b64 s[36:37], s[20:21], 0xe8
	s_add_u32 s20, s20, 24
	s_addc_u32 s21, s21, 0
	s_add_i32 s33, s33, -2
	s_delay_alu instid0(SALU_CYCLE_1) | instskip(NEXT) | instid1(VALU_DEP_2)
	s_cmp_eq_u32 s33, 0
	v_add_nc_u32_e32 v5, v4, v5
	s_delay_alu instid0(VALU_DEP_2) | instskip(NEXT) | instid1(VALU_DEP_2)
	v_sub_nc_u32_e32 v6, v3, v6
	v_lshrrev_b32_e32 v3, s35, v5
	s_delay_alu instid0(VALU_DEP_2) | instskip(NEXT) | instid1(VALU_DEP_2)
	v_mul_lo_u32 v8, v6, s40
	v_mul_lo_u32 v5, v3, s39
	s_delay_alu instid0(VALU_DEP_1) | instskip(SKIP_2) | instid1(VALU_DEP_3)
	v_sub_nc_u32_e32 v4, v4, v5
	v_mul_lo_u32 v5, v6, s41
	v_mul_lo_u32 v6, v6, s42
	;; [unrolled: 1-line block ×3, first 2 shown]
	s_waitcnt lgkmcnt(0)
	v_mul_lo_u32 v10, v4, s36
	v_mul_lo_u32 v4, v4, s37
	s_delay_alu instid0(VALU_DEP_3) | instskip(NEXT) | instid1(VALU_DEP_3)
	v_add3_u32 v0, v8, v0, v9
	v_add3_u32 v1, v5, v1, v10
	s_delay_alu instid0(VALU_DEP_3)
	v_add3_u32 v2, v6, v2, v4
	s_cbranch_scc0 .LBB67_19
; %bb.20:
	s_set_inst_prefetch_distance 0x2
	s_bitcmp1_b32 s27, 0
	s_cselect_b32 s33, -1, 0
	s_delay_alu instid0(SALU_CYCLE_1)
	s_and_b32 vcc_lo, exec_lo, s33
	s_cbranch_vccnz .LBB67_130
; %bb.21:
	s_clause 0x3
	s_load_b64 s[34:35], s[20:21], 0x18
	s_load_b32 s33, s[20:21], 0x20
	s_load_b64 s[36:37], s[20:21], 0xd8
	s_load_b32 s20, s[20:21], 0xe0
	s_waitcnt lgkmcnt(0)
	v_mul_hi_u32 v4, s35, v3
	s_delay_alu instid0(VALU_DEP_1) | instskip(NEXT) | instid1(VALU_DEP_1)
	v_add_nc_u32_e32 v4, v3, v4
	v_lshrrev_b32_e32 v4, s33, v4
	s_delay_alu instid0(VALU_DEP_1) | instskip(NEXT) | instid1(VALU_DEP_1)
	v_mul_lo_u32 v4, v4, s34
	v_sub_nc_u32_e32 v8, v3, v4
	s_delay_alu instid0(VALU_DEP_1) | instskip(SKIP_1) | instid1(VALU_DEP_2)
	v_mad_u64_u32 v[3:4], null, v8, s36, v[0:1]
	v_mad_u64_u32 v[4:5], null, v8, s37, v[1:2]
	;; [unrolled: 1-line block ×3, first 2 shown]
	s_delay_alu instid0(VALU_DEP_2) | instskip(NEXT) | instid1(VALU_DEP_2)
	v_dual_mov_b32 v0, v3 :: v_dual_mov_b32 v1, v4
	v_mov_b32_e32 v2, v5
	s_branch .LBB67_130
.LBB67_22:
	s_mov_b32 s4, -1
                                        ; implicit-def: $vgpr0
                                        ; implicit-def: $vgpr3
                                        ; implicit-def: $vgpr4
.LBB67_23:
	s_delay_alu instid0(SALU_CYCLE_1)
	s_and_not1_b32 vcc_lo, exec_lo, s4
	s_cbranch_vccnz .LBB67_26
; %bb.24:
	s_clause 0x1
	s_load_b128 s[4:7], s[0:1], 0x4
	s_load_b128 s[8:11], s[0:1], 0xc4
	s_cmp_lt_u32 s22, 2
	s_waitcnt lgkmcnt(0)
	v_mul_hi_u32 v0, s5, v7
	s_delay_alu instid0(VALU_DEP_1) | instskip(SKIP_1) | instid1(VALU_DEP_1)
	v_add_nc_u32_e32 v0, v7, v0
	s_waitcnt vmcnt(0)
	v_lshrrev_b32_e32 v1, s6, v0
	s_delay_alu instid0(VALU_DEP_1) | instskip(NEXT) | instid1(VALU_DEP_1)
	v_mul_lo_u32 v0, v1, s4
	v_sub_nc_u32_e32 v2, v7, v0
	s_delay_alu instid0(VALU_DEP_1)
	v_mul_lo_u32 v0, v2, s8
	v_mul_lo_u32 v3, v2, s9
	;; [unrolled: 1-line block ×3, first 2 shown]
	s_cbranch_scc1 .LBB67_26
; %bb.25:
	s_clause 0x1
	s_load_b128 s[4:7], s[0:1], 0x10
	s_load_b128 s[8:11], s[0:1], 0xd0
	s_waitcnt lgkmcnt(0)
	v_mul_hi_u32 v2, s5, v1
	s_delay_alu instid0(VALU_DEP_1) | instskip(NEXT) | instid1(VALU_DEP_1)
	v_add_nc_u32_e32 v2, v1, v2
	v_lshrrev_b32_e32 v2, s6, v2
	s_delay_alu instid0(VALU_DEP_1) | instskip(NEXT) | instid1(VALU_DEP_1)
	v_mul_lo_u32 v2, v2, s4
	v_sub_nc_u32_e32 v8, v1, v2
	s_delay_alu instid0(VALU_DEP_1) | instskip(SKIP_1) | instid1(VALU_DEP_2)
	v_mad_u64_u32 v[5:6], null, v8, s9, v[3:4]
	v_mad_u64_u32 v[1:2], null, v8, s8, v[0:1]
	;; [unrolled: 1-line block ×3, first 2 shown]
	s_delay_alu instid0(VALU_DEP_2) | instskip(NEXT) | instid1(VALU_DEP_2)
	v_mov_b32_e32 v0, v1
	v_dual_mov_b32 v3, v5 :: v_dual_mov_b32 v4, v2
.LBB67_26:
	v_cmp_ne_u32_e32 vcc_lo, 1, v10
	v_add_nc_u32_e32 v2, 0x80, v7
	s_cbranch_vccnz .LBB67_32
; %bb.27:
	s_waitcnt vmcnt(0)
	v_dual_mov_b32 v1, 0 :: v_dual_mov_b32 v6, 0
	v_mov_b32_e32 v5, 0
	s_cmp_lg_u32 s22, 0
	s_mov_b32 s4, 0
	s_cbranch_scc0 .LBB67_33
; %bb.28:
	s_min_u32 s5, s23, 15
	v_dual_mov_b32 v6, 0 :: v_dual_mov_b32 v5, 0
	s_add_i32 s2, s5, 1
	v_dual_mov_b32 v1, 0 :: v_dual_mov_b32 v8, v2
	s_and_b32 s6, s2, 30
	s_add_u32 s2, s0, 0xffffffec
	s_addc_u32 s3, s1, -1
	s_set_inst_prefetch_distance 0x1
	.p2align	6
.LBB67_29:                              ; =>This Inner Loop Header: Depth=1
	s_clause 0x2
	s_load_b128 s[8:11], s[2:3], 0x18
	s_load_b64 s[16:17], s[2:3], 0x28
	s_load_b128 s[12:15], s[2:3], 0xd8
	s_waitcnt lgkmcnt(0)
	v_mul_hi_u32 v9, s9, v8
	s_delay_alu instid0(VALU_DEP_1) | instskip(NEXT) | instid1(VALU_DEP_1)
	v_add_nc_u32_e32 v9, v8, v9
	v_lshrrev_b32_e32 v9, s10, v9
	s_delay_alu instid0(VALU_DEP_1)
	v_mul_hi_u32 v11, s16, v9
	v_mul_lo_u32 v13, v9, s8
	s_load_b64 s[8:9], s[2:3], 0xe8
	s_add_u32 s2, s2, 24
	s_addc_u32 s3, s3, 0
	s_add_i32 s6, s6, -2
	s_delay_alu instid0(SALU_CYCLE_1) | instskip(NEXT) | instid1(VALU_DEP_2)
	s_cmp_lg_u32 s6, 0
	v_add_nc_u32_e32 v11, v9, v11
	s_delay_alu instid0(VALU_DEP_2) | instskip(NEXT) | instid1(VALU_DEP_2)
	v_sub_nc_u32_e32 v13, v8, v13
	v_lshrrev_b32_e32 v8, s17, v11
	s_delay_alu instid0(VALU_DEP_2) | instskip(NEXT) | instid1(VALU_DEP_2)
	v_mul_lo_u32 v14, v13, s12
	v_mul_lo_u32 v11, v8, s11
	s_delay_alu instid0(VALU_DEP_1) | instskip(SKIP_2) | instid1(VALU_DEP_3)
	v_sub_nc_u32_e32 v9, v9, v11
	v_mul_lo_u32 v11, v13, s13
	v_mul_lo_u32 v13, v13, s14
	;; [unrolled: 1-line block ×3, first 2 shown]
	s_waitcnt lgkmcnt(0)
	v_mul_lo_u32 v16, v9, s8
	v_mul_lo_u32 v9, v9, s9
	s_delay_alu instid0(VALU_DEP_3) | instskip(NEXT) | instid1(VALU_DEP_3)
	v_add3_u32 v1, v14, v1, v15
	v_add3_u32 v5, v11, v5, v16
	s_delay_alu instid0(VALU_DEP_3)
	v_add3_u32 v6, v13, v6, v9
	s_cbranch_scc1 .LBB67_29
; %bb.30:
	s_set_inst_prefetch_distance 0x2
	s_bitcmp1_b32 s5, 0
	s_cselect_b32 s5, -1, 0
	s_delay_alu instid0(SALU_CYCLE_1)
	s_and_b32 vcc_lo, exec_lo, s5
	s_cbranch_vccnz .LBB67_33
; %bb.31:
	s_clause 0x3
	s_load_b64 s[6:7], s[2:3], 0x18
	s_load_b32 s5, s[2:3], 0x20
	s_load_b64 s[8:9], s[2:3], 0xd8
	s_load_b32 s2, s[2:3], 0xe0
	s_waitcnt lgkmcnt(0)
	v_mul_hi_u32 v9, s7, v8
	s_delay_alu instid0(VALU_DEP_1) | instskip(NEXT) | instid1(VALU_DEP_1)
	v_add_nc_u32_e32 v9, v8, v9
	v_lshrrev_b32_e32 v9, s5, v9
	s_delay_alu instid0(VALU_DEP_1) | instskip(NEXT) | instid1(VALU_DEP_1)
	v_mul_lo_u32 v9, v9, s6
	v_sub_nc_u32_e32 v11, v8, v9
	s_delay_alu instid0(VALU_DEP_1) | instskip(SKIP_2) | instid1(VALU_DEP_3)
	v_mad_u64_u32 v[13:14], null, v11, s9, v[5:6]
	v_mad_u64_u32 v[8:9], null, v11, s8, v[1:2]
	;; [unrolled: 1-line block ×3, first 2 shown]
	v_mov_b32_e32 v5, v13
	s_delay_alu instid0(VALU_DEP_2)
	v_dual_mov_b32 v1, v8 :: v_dual_mov_b32 v6, v14
	s_branch .LBB67_33
.LBB67_32:
	s_mov_b32 s4, -1
                                        ; implicit-def: $vgpr1
                                        ; implicit-def: $vgpr5
                                        ; implicit-def: $vgpr6
.LBB67_33:
	s_delay_alu instid0(SALU_CYCLE_1)
	s_and_not1_b32 vcc_lo, exec_lo, s4
	s_cbranch_vccnz .LBB67_36
; %bb.34:
	s_clause 0x1
	s_load_b128 s[4:7], s[0:1], 0x4
	s_load_b128 s[8:11], s[0:1], 0xc4
	s_cmp_lt_u32 s22, 2
	s_waitcnt vmcnt(0) lgkmcnt(0)
	v_mul_hi_u32 v1, s5, v2
	s_delay_alu instid0(VALU_DEP_1) | instskip(NEXT) | instid1(VALU_DEP_1)
	v_add_nc_u32_e32 v1, v2, v1
	v_lshrrev_b32_e32 v8, s6, v1
	s_delay_alu instid0(VALU_DEP_1) | instskip(NEXT) | instid1(VALU_DEP_1)
	v_mul_lo_u32 v1, v8, s4
	v_sub_nc_u32_e32 v2, v2, v1
	s_delay_alu instid0(VALU_DEP_1)
	v_mul_lo_u32 v1, v2, s8
	v_mul_lo_u32 v5, v2, s9
	;; [unrolled: 1-line block ×3, first 2 shown]
	s_cbranch_scc1 .LBB67_36
; %bb.35:
	s_clause 0x1
	s_load_b128 s[4:7], s[0:1], 0x10
	s_load_b128 s[8:11], s[0:1], 0xd0
	s_waitcnt lgkmcnt(0)
	v_mul_hi_u32 v2, s5, v8
	s_delay_alu instid0(VALU_DEP_1) | instskip(NEXT) | instid1(VALU_DEP_1)
	v_add_nc_u32_e32 v2, v8, v2
	v_lshrrev_b32_e32 v2, s6, v2
	s_delay_alu instid0(VALU_DEP_1) | instskip(NEXT) | instid1(VALU_DEP_1)
	v_mul_lo_u32 v2, v2, s4
	v_sub_nc_u32_e32 v2, v8, v2
	s_delay_alu instid0(VALU_DEP_1) | instskip(SKIP_2) | instid1(VALU_DEP_3)
	v_mad_u64_u32 v[13:14], null, v2, s9, v[5:6]
	v_mad_u64_u32 v[8:9], null, v2, s8, v[1:2]
	;; [unrolled: 1-line block ×3, first 2 shown]
	v_mov_b32_e32 v5, v13
	s_delay_alu instid0(VALU_DEP_2)
	v_dual_mov_b32 v1, v8 :: v_dual_mov_b32 v6, v14
.LBB67_36:
	v_cmp_ne_u32_e32 vcc_lo, 1, v10
	v_add_nc_u32_e32 v7, 0x100, v7
	s_cbranch_vccnz .LBB67_42
; %bb.37:
	v_dual_mov_b32 v2, 0 :: v_dual_mov_b32 v9, 0
	v_mov_b32_e32 v8, 0
	s_cmp_lg_u32 s22, 0
	s_mov_b32 s4, 0
	s_cbranch_scc0 .LBB67_43
; %bb.38:
	s_min_u32 s5, s23, 15
	v_dual_mov_b32 v9, 0 :: v_dual_mov_b32 v8, 0
	s_add_i32 s2, s5, 1
	v_dual_mov_b32 v2, 0 :: v_dual_mov_b32 v11, v7
	s_and_b32 s6, s2, 30
	s_add_u32 s2, s0, 0xffffffec
	s_addc_u32 s3, s1, -1
	s_set_inst_prefetch_distance 0x1
	.p2align	6
.LBB67_39:                              ; =>This Inner Loop Header: Depth=1
	s_clause 0x2
	s_load_b128 s[8:11], s[2:3], 0x18
	s_load_b64 s[16:17], s[2:3], 0x28
	s_load_b128 s[12:15], s[2:3], 0xd8
	s_waitcnt lgkmcnt(0)
	v_mul_hi_u32 v13, s9, v11
	s_delay_alu instid0(VALU_DEP_1) | instskip(NEXT) | instid1(VALU_DEP_1)
	v_add_nc_u32_e32 v13, v11, v13
	v_lshrrev_b32_e32 v13, s10, v13
	s_delay_alu instid0(VALU_DEP_1)
	v_mul_hi_u32 v14, s16, v13
	v_mul_lo_u32 v15, v13, s8
	s_load_b64 s[8:9], s[2:3], 0xe8
	s_add_u32 s2, s2, 24
	s_addc_u32 s3, s3, 0
	s_add_i32 s6, s6, -2
	s_delay_alu instid0(SALU_CYCLE_1) | instskip(NEXT) | instid1(VALU_DEP_2)
	s_cmp_lg_u32 s6, 0
	v_add_nc_u32_e32 v14, v13, v14
	s_delay_alu instid0(VALU_DEP_2) | instskip(NEXT) | instid1(VALU_DEP_2)
	v_sub_nc_u32_e32 v15, v11, v15
	v_lshrrev_b32_e32 v11, s17, v14
	s_delay_alu instid0(VALU_DEP_2) | instskip(NEXT) | instid1(VALU_DEP_2)
	v_mul_lo_u32 v16, v15, s12
	v_mul_lo_u32 v14, v11, s11
	s_delay_alu instid0(VALU_DEP_1) | instskip(SKIP_2) | instid1(VALU_DEP_3)
	v_sub_nc_u32_e32 v13, v13, v14
	v_mul_lo_u32 v14, v15, s13
	v_mul_lo_u32 v15, v15, s14
	;; [unrolled: 1-line block ×3, first 2 shown]
	s_waitcnt lgkmcnt(0)
	v_mul_lo_u32 v18, v13, s8
	v_mul_lo_u32 v13, v13, s9
	s_delay_alu instid0(VALU_DEP_3) | instskip(NEXT) | instid1(VALU_DEP_3)
	v_add3_u32 v2, v16, v2, v17
	v_add3_u32 v8, v14, v8, v18
	s_delay_alu instid0(VALU_DEP_3)
	v_add3_u32 v9, v15, v9, v13
	s_cbranch_scc1 .LBB67_39
; %bb.40:
	s_set_inst_prefetch_distance 0x2
	s_bitcmp1_b32 s5, 0
	s_cselect_b32 s5, -1, 0
	s_delay_alu instid0(SALU_CYCLE_1)
	s_and_b32 vcc_lo, exec_lo, s5
	s_cbranch_vccnz .LBB67_43
; %bb.41:
	s_clause 0x3
	s_load_b64 s[6:7], s[2:3], 0x18
	s_load_b32 s5, s[2:3], 0x20
	s_load_b64 s[8:9], s[2:3], 0xd8
	s_load_b32 s2, s[2:3], 0xe0
	s_waitcnt lgkmcnt(0)
	v_mul_hi_u32 v13, s7, v11
	s_delay_alu instid0(VALU_DEP_1) | instskip(NEXT) | instid1(VALU_DEP_1)
	v_add_nc_u32_e32 v13, v11, v13
	v_lshrrev_b32_e32 v13, s5, v13
	s_delay_alu instid0(VALU_DEP_1) | instskip(NEXT) | instid1(VALU_DEP_1)
	v_mul_lo_u32 v13, v13, s6
	v_sub_nc_u32_e32 v11, v11, v13
	s_delay_alu instid0(VALU_DEP_1) | instskip(SKIP_2) | instid1(VALU_DEP_3)
	v_mad_u64_u32 v[13:14], null, v11, s8, v[2:3]
	v_mad_u64_u32 v[14:15], null, v11, s9, v[8:9]
	;; [unrolled: 1-line block ×3, first 2 shown]
	v_mov_b32_e32 v2, v13
	s_delay_alu instid0(VALU_DEP_2)
	v_dual_mov_b32 v8, v14 :: v_dual_mov_b32 v9, v15
	s_branch .LBB67_43
.LBB67_42:
	s_mov_b32 s4, -1
                                        ; implicit-def: $vgpr2
                                        ; implicit-def: $vgpr8
                                        ; implicit-def: $vgpr9
.LBB67_43:
	s_delay_alu instid0(SALU_CYCLE_1)
	s_and_not1_b32 vcc_lo, exec_lo, s4
	s_cbranch_vccnz .LBB67_46
; %bb.44:
	s_clause 0x1
	s_load_b128 s[4:7], s[0:1], 0x4
	s_load_b128 s[8:11], s[0:1], 0xc4
	s_cmp_lt_u32 s22, 2
	s_waitcnt lgkmcnt(0)
	v_mul_hi_u32 v2, s5, v7
	s_delay_alu instid0(VALU_DEP_1) | instskip(NEXT) | instid1(VALU_DEP_1)
	v_add_nc_u32_e32 v2, v7, v2
	v_lshrrev_b32_e32 v11, s6, v2
	s_delay_alu instid0(VALU_DEP_1) | instskip(NEXT) | instid1(VALU_DEP_1)
	v_mul_lo_u32 v2, v11, s4
	v_sub_nc_u32_e32 v7, v7, v2
	s_delay_alu instid0(VALU_DEP_1)
	v_mul_lo_u32 v2, v7, s8
	v_mul_lo_u32 v8, v7, s9
	;; [unrolled: 1-line block ×3, first 2 shown]
	s_cbranch_scc1 .LBB67_46
; %bb.45:
	s_clause 0x1
	s_load_b128 s[4:7], s[0:1], 0x10
	s_load_b128 s[8:11], s[0:1], 0xd0
	s_waitcnt lgkmcnt(0)
	v_mul_hi_u32 v7, s5, v11
	s_delay_alu instid0(VALU_DEP_1) | instskip(NEXT) | instid1(VALU_DEP_1)
	v_add_nc_u32_e32 v7, v11, v7
	v_lshrrev_b32_e32 v7, s6, v7
	s_delay_alu instid0(VALU_DEP_1) | instskip(NEXT) | instid1(VALU_DEP_1)
	v_mul_lo_u32 v7, v7, s4
	v_sub_nc_u32_e32 v11, v11, v7
	s_delay_alu instid0(VALU_DEP_1) | instskip(SKIP_2) | instid1(VALU_DEP_3)
	v_mad_u64_u32 v[13:14], null, v11, s8, v[2:3]
	v_mad_u64_u32 v[14:15], null, v11, s9, v[8:9]
	;; [unrolled: 1-line block ×3, first 2 shown]
	v_mov_b32_e32 v2, v13
	s_delay_alu instid0(VALU_DEP_2)
	v_dual_mov_b32 v8, v14 :: v_dual_mov_b32 v9, v7
.LBB67_46:
	v_cmp_ne_u32_e32 vcc_lo, 1, v10
	s_cbranch_vccnz .LBB67_52
; %bb.47:
	v_dual_mov_b32 v7, 0 :: v_dual_mov_b32 v10, 0
	v_mov_b32_e32 v11, 0
	s_cmp_lg_u32 s22, 0
	s_mov_b32 s4, 0
	s_cbranch_scc0 .LBB67_53
; %bb.48:
	s_min_u32 s5, s23, 15
	v_dual_mov_b32 v11, 0 :: v_dual_mov_b32 v10, 0
	s_add_i32 s2, s5, 1
	v_mov_b32_e32 v7, 0
	v_mov_b32_e32 v13, v12
	s_and_b32 s6, s2, 30
	s_add_u32 s2, s0, 0xffffffec
	s_addc_u32 s3, s1, -1
	s_set_inst_prefetch_distance 0x1
	.p2align	6
.LBB67_49:                              ; =>This Inner Loop Header: Depth=1
	s_clause 0x2
	s_load_b128 s[8:11], s[2:3], 0x18
	s_load_b64 s[16:17], s[2:3], 0x28
	s_load_b128 s[12:15], s[2:3], 0xd8
	s_waitcnt lgkmcnt(0)
	v_mul_hi_u32 v14, s9, v13
	s_delay_alu instid0(VALU_DEP_1) | instskip(NEXT) | instid1(VALU_DEP_1)
	v_add_nc_u32_e32 v14, v13, v14
	v_lshrrev_b32_e32 v14, s10, v14
	s_delay_alu instid0(VALU_DEP_1)
	v_mul_hi_u32 v15, s16, v14
	v_mul_lo_u32 v16, v14, s8
	s_load_b64 s[8:9], s[2:3], 0xe8
	s_add_u32 s2, s2, 24
	s_addc_u32 s3, s3, 0
	s_add_i32 s6, s6, -2
	s_delay_alu instid0(SALU_CYCLE_1) | instskip(NEXT) | instid1(VALU_DEP_2)
	s_cmp_lg_u32 s6, 0
	v_add_nc_u32_e32 v15, v14, v15
	s_delay_alu instid0(VALU_DEP_2) | instskip(NEXT) | instid1(VALU_DEP_2)
	v_sub_nc_u32_e32 v16, v13, v16
	v_lshrrev_b32_e32 v13, s17, v15
	s_delay_alu instid0(VALU_DEP_2) | instskip(NEXT) | instid1(VALU_DEP_2)
	v_mul_lo_u32 v17, v16, s12
	v_mul_lo_u32 v15, v13, s11
	s_delay_alu instid0(VALU_DEP_1) | instskip(SKIP_2) | instid1(VALU_DEP_3)
	v_sub_nc_u32_e32 v14, v14, v15
	v_mul_lo_u32 v15, v16, s13
	v_mul_lo_u32 v16, v16, s14
	v_mul_lo_u32 v18, v14, s15
	s_waitcnt lgkmcnt(0)
	v_mul_lo_u32 v19, v14, s8
	v_mul_lo_u32 v14, v14, s9
	s_delay_alu instid0(VALU_DEP_3) | instskip(NEXT) | instid1(VALU_DEP_3)
	v_add3_u32 v7, v17, v7, v18
	v_add3_u32 v10, v15, v10, v19
	s_delay_alu instid0(VALU_DEP_3)
	v_add3_u32 v11, v16, v11, v14
	s_cbranch_scc1 .LBB67_49
; %bb.50:
	s_set_inst_prefetch_distance 0x2
	s_bitcmp1_b32 s5, 0
	s_cselect_b32 s5, -1, 0
	s_delay_alu instid0(SALU_CYCLE_1)
	s_and_b32 vcc_lo, exec_lo, s5
	s_cbranch_vccnz .LBB67_53
; %bb.51:
	s_clause 0x3
	s_load_b64 s[6:7], s[2:3], 0x18
	s_load_b32 s5, s[2:3], 0x20
	s_load_b64 s[8:9], s[2:3], 0xd8
	s_load_b32 s2, s[2:3], 0xe0
	s_waitcnt lgkmcnt(0)
	v_mul_hi_u32 v14, s7, v13
	s_delay_alu instid0(VALU_DEP_1) | instskip(NEXT) | instid1(VALU_DEP_1)
	v_add_nc_u32_e32 v14, v13, v14
	v_lshrrev_b32_e32 v14, s5, v14
	s_delay_alu instid0(VALU_DEP_1) | instskip(NEXT) | instid1(VALU_DEP_1)
	v_mul_lo_u32 v14, v14, s6
	v_sub_nc_u32_e32 v17, v13, v14
	s_delay_alu instid0(VALU_DEP_1) | instskip(SKIP_2) | instid1(VALU_DEP_2)
	v_mad_u64_u32 v[13:14], null, v17, s8, v[7:8]
	v_mad_u64_u32 v[14:15], null, v17, s9, v[10:11]
	;; [unrolled: 1-line block ×3, first 2 shown]
	v_dual_mov_b32 v7, v13 :: v_dual_mov_b32 v10, v14
	s_delay_alu instid0(VALU_DEP_2)
	v_mov_b32_e32 v11, v15
	s_branch .LBB67_53
.LBB67_52:
	s_mov_b32 s4, -1
                                        ; implicit-def: $vgpr7
                                        ; implicit-def: $vgpr10
                                        ; implicit-def: $vgpr11
.LBB67_53:
	s_delay_alu instid0(SALU_CYCLE_1)
	s_and_not1_b32 vcc_lo, exec_lo, s4
	s_cbranch_vccnz .LBB67_56
; %bb.54:
	s_clause 0x1
	s_load_b128 s[4:7], s[0:1], 0x4
	s_load_b128 s[8:11], s[0:1], 0xc4
	s_cmp_lt_u32 s22, 2
	s_waitcnt lgkmcnt(0)
	v_mul_hi_u32 v7, s5, v12
	s_delay_alu instid0(VALU_DEP_1) | instskip(NEXT) | instid1(VALU_DEP_1)
	v_add_nc_u32_e32 v7, v12, v7
	v_lshrrev_b32_e32 v13, s6, v7
	s_delay_alu instid0(VALU_DEP_1) | instskip(NEXT) | instid1(VALU_DEP_1)
	v_mul_lo_u32 v7, v13, s4
	v_sub_nc_u32_e32 v11, v12, v7
	s_delay_alu instid0(VALU_DEP_1)
	v_mul_lo_u32 v7, v11, s8
	v_mul_lo_u32 v10, v11, s9
	v_mul_lo_u32 v11, v11, s10
	s_cbranch_scc1 .LBB67_56
; %bb.55:
	s_clause 0x1
	s_load_b128 s[4:7], s[0:1], 0x10
	s_load_b128 s[8:11], s[0:1], 0xd0
	s_waitcnt lgkmcnt(0)
	v_mul_hi_u32 v12, s5, v13
	s_delay_alu instid0(VALU_DEP_1) | instskip(NEXT) | instid1(VALU_DEP_1)
	v_add_nc_u32_e32 v12, v13, v12
	v_lshrrev_b32_e32 v12, s6, v12
	s_delay_alu instid0(VALU_DEP_1) | instskip(NEXT) | instid1(VALU_DEP_1)
	v_mul_lo_u32 v12, v12, s4
	v_sub_nc_u32_e32 v16, v13, v12
	s_delay_alu instid0(VALU_DEP_1) | instskip(SKIP_1) | instid1(VALU_DEP_2)
	v_mad_u64_u32 v[12:13], null, v16, s8, v[7:8]
	v_mad_u64_u32 v[13:14], null, v16, s9, v[10:11]
	v_mad_u64_u32 v[14:15], null, v16, s10, v[11:12]
	s_delay_alu instid0(VALU_DEP_2) | instskip(NEXT) | instid1(VALU_DEP_2)
	v_dual_mov_b32 v7, v12 :: v_dual_mov_b32 v10, v13
	v_mov_b32_e32 v11, v14
.LBB67_56:
	s_clause 0x1
	s_load_b64 s[4:5], s[0:1], 0x198
	s_load_b128 s[0:3], s[0:1], 0x188
	s_mov_b32 s8, exec_lo
	s_waitcnt lgkmcnt(0)
	global_load_u16 v4, v4, s[4:5]
	s_waitcnt vmcnt(0)
	v_lshlrev_b32_e32 v4, 16, v4
	s_delay_alu instid0(VALU_DEP_1) | instskip(NEXT) | instid1(VALU_DEP_1)
	v_trunc_f32_e32 v12, v4
	v_mul_f32_e64 v13, 0x2f800000, |v12|
	s_delay_alu instid0(VALU_DEP_1) | instskip(NEXT) | instid1(VALU_DEP_1)
	v_floor_f32_e32 v13, v13
	v_fma_f32 v14, 0xcf800000, v13, |v12|
	v_ashrrev_i32_e32 v12, 31, v12
	v_cvt_u32_f32_e32 v13, v13
	s_delay_alu instid0(VALU_DEP_3) | instskip(NEXT) | instid1(VALU_DEP_2)
	v_cvt_u32_f32_e32 v14, v14
	v_xor_b32_e32 v13, v13, v12
	s_delay_alu instid0(VALU_DEP_2) | instskip(NEXT) | instid1(VALU_DEP_1)
	v_xor_b32_e32 v14, v14, v12
	v_sub_co_u32 v14, vcc_lo, v14, v12
	s_delay_alu instid0(VALU_DEP_3) | instskip(SKIP_1) | instid1(VALU_DEP_2)
	v_sub_co_ci_u32_e32 v12, vcc_lo, v13, v12, vcc_lo
	v_cmp_class_f32_e64 vcc_lo, v4, 0x1f8
	v_dual_cndmask_b32 v13, -1, v12 :: v_dual_cndmask_b32 v12, -1, v14
	v_mov_b32_e32 v14, 0
	s_delay_alu instid0(VALU_DEP_2)
	v_cmpx_lt_i64_e32 -1, v[12:13]
	s_cbranch_execz .LBB67_68
; %bb.57:
	v_mov_b32_e32 v14, 1.0
	s_mov_b32 s9, exec_lo
	v_cmpx_lt_i64_e32 0, v[12:13]
	s_cbranch_execz .LBB67_67
; %bb.58:
	global_load_b32 v3, v3, s[2:3]
                                        ; implicit-def: $vgpr14
	s_mov_b32 s6, exec_lo
	v_cmpx_ne_u64_e32 1, v[12:13]
	s_xor_b32 s10, exec_lo, s6
	s_cbranch_execz .LBB67_64
; %bb.59:
	v_mov_b32_e32 v14, 0x7fc00000
	s_mov_b32 s11, exec_lo
	v_cmpx_gt_u64_e32 0x81, v[12:13]
	s_cbranch_execz .LBB67_63
; %bb.60:
	s_waitcnt vmcnt(0)
	v_add_f32_e32 v15, v3, v3
	v_lshlrev_b64 v[3:4], 1, v[12:13]
	v_mov_b32_e32 v12, 1.0
	s_mov_b64 s[6:7], 2
	s_mov_b32 s12, 0
	v_mov_b32_e32 v14, v15
	.p2align	6
.LBB67_61:                              ; =>This Inner Loop Header: Depth=1
	s_clz_i32_u32 s13, s7
	s_delay_alu instid0(SALU_CYCLE_1) | instskip(NEXT) | instid1(SALU_CYCLE_1)
	s_min_u32 s13, s13, 32
	s_lshl_b64 s[14:15], s[6:7], s13
	s_sub_i32 s13, 32, s13
	s_min_u32 s14, s14, 1
	s_delay_alu instid0(SALU_CYCLE_1) | instskip(SKIP_3) | instid1(SALU_CYCLE_1)
	s_or_b32 s14, s15, s14
	s_add_u32 s6, s6, 2
	v_cvt_f32_u32_e32 v13, s14
	s_addc_u32 s7, s7, 0
	v_cmp_ge_u64_e32 vcc_lo, s[6:7], v[3:4]
	s_delay_alu instid0(VALU_DEP_2) | instskip(SKIP_1) | instid1(VALU_DEP_1)
	v_ldexp_f32 v13, v13, s13
	s_or_b32 s12, vcc_lo, s12
	v_dual_mul_f32 v13, v12, v13 :: v_dual_mov_b32 v12, v14
	s_delay_alu instid0(VALU_DEP_1)
	v_fma_f32 v14, v15, v14, -v13
	s_and_not1_b32 exec_lo, exec_lo, s12
	s_cbranch_execnz .LBB67_61
; %bb.62:
	s_or_b32 exec_lo, exec_lo, s12
.LBB67_63:
	s_delay_alu instid0(SALU_CYCLE_1)
	s_or_b32 exec_lo, exec_lo, s11
                                        ; implicit-def: $vgpr3
.LBB67_64:
	s_and_not1_saveexec_b32 s6, s10
	s_cbranch_execz .LBB67_66
; %bb.65:
	s_waitcnt vmcnt(0)
	v_add_f32_e32 v14, v3, v3
.LBB67_66:
	s_or_b32 exec_lo, exec_lo, s6
.LBB67_67:
	s_delay_alu instid0(SALU_CYCLE_1)
	s_or_b32 exec_lo, exec_lo, s9
.LBB67_68:
	s_delay_alu instid0(SALU_CYCLE_1) | instskip(SKIP_4) | instid1(VALU_DEP_1)
	s_or_b32 exec_lo, exec_lo, s8
	global_load_u16 v3, v6, s[4:5]
	s_mov_b32 s8, exec_lo
	s_waitcnt vmcnt(0)
	v_lshlrev_b32_e32 v3, 16, v3
	v_trunc_f32_e32 v4, v3
	s_delay_alu instid0(VALU_DEP_1) | instskip(NEXT) | instid1(VALU_DEP_1)
	v_mul_f32_e64 v6, 0x2f800000, |v4|
	v_floor_f32_e32 v6, v6
	s_delay_alu instid0(VALU_DEP_1) | instskip(SKIP_2) | instid1(VALU_DEP_3)
	v_fma_f32 v12, 0xcf800000, v6, |v4|
	v_ashrrev_i32_e32 v4, 31, v4
	v_cvt_u32_f32_e32 v6, v6
	v_cvt_u32_f32_e32 v12, v12
	s_delay_alu instid0(VALU_DEP_2) | instskip(NEXT) | instid1(VALU_DEP_2)
	v_xor_b32_e32 v6, v6, v4
	v_xor_b32_e32 v12, v12, v4
	s_delay_alu instid0(VALU_DEP_1) | instskip(NEXT) | instid1(VALU_DEP_3)
	v_sub_co_u32 v12, vcc_lo, v12, v4
	v_sub_co_ci_u32_e32 v4, vcc_lo, v6, v4, vcc_lo
	v_cmp_class_f32_e64 vcc_lo, v3, 0x1f8
	v_mov_b32_e32 v6, 0
	s_delay_alu instid0(VALU_DEP_3) | instskip(SKIP_1) | instid1(VALU_DEP_1)
	v_cndmask_b32_e32 v4, -1, v4, vcc_lo
	v_cndmask_b32_e32 v3, -1, v12, vcc_lo
	v_cmpx_lt_i64_e32 -1, v[3:4]
	s_cbranch_execz .LBB67_80
; %bb.69:
	v_mov_b32_e32 v6, 1.0
	s_mov_b32 s9, exec_lo
	v_cmpx_lt_i64_e32 0, v[3:4]
	s_cbranch_execz .LBB67_79
; %bb.70:
	global_load_b32 v5, v5, s[2:3]
                                        ; implicit-def: $vgpr6
	s_mov_b32 s6, exec_lo
	v_cmpx_ne_u64_e32 1, v[3:4]
	s_xor_b32 s10, exec_lo, s6
	s_cbranch_execz .LBB67_76
; %bb.71:
	v_mov_b32_e32 v6, 0x7fc00000
	s_mov_b32 s11, exec_lo
	v_cmpx_gt_u64_e32 0x81, v[3:4]
	s_cbranch_execz .LBB67_75
; %bb.72:
	s_waitcnt vmcnt(0)
	v_dual_add_f32 v5, v5, v5 :: v_dual_mov_b32 v12, 1.0
	v_lshlrev_b64 v[3:4], 1, v[3:4]
	s_mov_b64 s[6:7], 2
	s_mov_b32 s12, 0
	s_delay_alu instid0(VALU_DEP_2)
	v_mov_b32_e32 v6, v5
	.p2align	6
.LBB67_73:                              ; =>This Inner Loop Header: Depth=1
	s_clz_i32_u32 s13, s7
	s_delay_alu instid0(SALU_CYCLE_1) | instskip(NEXT) | instid1(SALU_CYCLE_1)
	s_min_u32 s13, s13, 32
	s_lshl_b64 s[14:15], s[6:7], s13
	s_sub_i32 s13, 32, s13
	s_min_u32 s14, s14, 1
	s_delay_alu instid0(SALU_CYCLE_1) | instskip(SKIP_3) | instid1(SALU_CYCLE_1)
	s_or_b32 s14, s15, s14
	s_add_u32 s6, s6, 2
	v_cvt_f32_u32_e32 v13, s14
	s_addc_u32 s7, s7, 0
	v_cmp_ge_u64_e32 vcc_lo, s[6:7], v[3:4]
	s_delay_alu instid0(VALU_DEP_2) | instskip(SKIP_1) | instid1(VALU_DEP_1)
	v_ldexp_f32 v13, v13, s13
	s_or_b32 s12, vcc_lo, s12
	v_dual_mul_f32 v13, v12, v13 :: v_dual_mov_b32 v12, v6
	s_delay_alu instid0(VALU_DEP_1)
	v_fma_f32 v6, v5, v6, -v13
	s_and_not1_b32 exec_lo, exec_lo, s12
	s_cbranch_execnz .LBB67_73
; %bb.74:
	s_or_b32 exec_lo, exec_lo, s12
.LBB67_75:
	s_delay_alu instid0(SALU_CYCLE_1)
	s_or_b32 exec_lo, exec_lo, s11
                                        ; implicit-def: $vgpr5
.LBB67_76:
	s_and_not1_saveexec_b32 s6, s10
	s_cbranch_execz .LBB67_78
; %bb.77:
	s_waitcnt vmcnt(0)
	v_add_f32_e32 v6, v5, v5
.LBB67_78:
	s_or_b32 exec_lo, exec_lo, s6
.LBB67_79:
	s_delay_alu instid0(SALU_CYCLE_1)
	s_or_b32 exec_lo, exec_lo, s9
.LBB67_80:
	s_delay_alu instid0(SALU_CYCLE_1) | instskip(SKIP_4) | instid1(VALU_DEP_1)
	s_or_b32 exec_lo, exec_lo, s8
	global_load_u16 v3, v9, s[4:5]
	s_mov_b32 s8, exec_lo
	s_waitcnt vmcnt(0)
	v_lshlrev_b32_e32 v3, 16, v3
	v_trunc_f32_e32 v4, v3
	s_delay_alu instid0(VALU_DEP_1) | instskip(NEXT) | instid1(VALU_DEP_1)
	v_mul_f32_e64 v5, 0x2f800000, |v4|
	v_floor_f32_e32 v5, v5
	s_delay_alu instid0(VALU_DEP_1) | instskip(SKIP_2) | instid1(VALU_DEP_3)
	v_fma_f32 v9, 0xcf800000, v5, |v4|
	v_ashrrev_i32_e32 v4, 31, v4
	v_cvt_u32_f32_e32 v5, v5
	v_cvt_u32_f32_e32 v9, v9
	s_delay_alu instid0(VALU_DEP_2) | instskip(NEXT) | instid1(VALU_DEP_2)
	v_xor_b32_e32 v5, v5, v4
	v_xor_b32_e32 v9, v9, v4
	s_delay_alu instid0(VALU_DEP_1) | instskip(NEXT) | instid1(VALU_DEP_3)
	v_sub_co_u32 v9, vcc_lo, v9, v4
	v_sub_co_ci_u32_e32 v4, vcc_lo, v5, v4, vcc_lo
	v_cmp_class_f32_e64 vcc_lo, v3, 0x1f8
	s_delay_alu instid0(VALU_DEP_2) | instskip(NEXT) | instid1(VALU_DEP_4)
	v_dual_mov_b32 v5, 0 :: v_dual_cndmask_b32 v4, -1, v4
	v_cndmask_b32_e32 v3, -1, v9, vcc_lo
	s_delay_alu instid0(VALU_DEP_1)
	v_cmpx_lt_i64_e32 -1, v[3:4]
	s_cbranch_execz .LBB67_92
; %bb.81:
	v_mov_b32_e32 v5, 1.0
	s_mov_b32 s9, exec_lo
	v_cmpx_lt_i64_e32 0, v[3:4]
	s_cbranch_execz .LBB67_91
; %bb.82:
	global_load_b32 v8, v8, s[2:3]
                                        ; implicit-def: $vgpr5
	s_mov_b32 s6, exec_lo
	v_cmpx_ne_u64_e32 1, v[3:4]
	s_xor_b32 s10, exec_lo, s6
	s_cbranch_execz .LBB67_88
; %bb.83:
	v_mov_b32_e32 v5, 0x7fc00000
	s_mov_b32 s11, exec_lo
	v_cmpx_gt_u64_e32 0x81, v[3:4]
	s_cbranch_execz .LBB67_87
; %bb.84:
	s_waitcnt vmcnt(0)
	v_dual_add_f32 v8, v8, v8 :: v_dual_mov_b32 v9, 1.0
	v_lshlrev_b64 v[3:4], 1, v[3:4]
	s_mov_b64 s[6:7], 2
	s_mov_b32 s12, 0
	s_delay_alu instid0(VALU_DEP_2)
	v_mov_b32_e32 v5, v8
	.p2align	6
.LBB67_85:                              ; =>This Inner Loop Header: Depth=1
	s_clz_i32_u32 s13, s7
	s_delay_alu instid0(SALU_CYCLE_1) | instskip(NEXT) | instid1(SALU_CYCLE_1)
	s_min_u32 s13, s13, 32
	s_lshl_b64 s[14:15], s[6:7], s13
	s_sub_i32 s13, 32, s13
	s_min_u32 s14, s14, 1
	s_delay_alu instid0(SALU_CYCLE_1) | instskip(SKIP_3) | instid1(SALU_CYCLE_1)
	s_or_b32 s14, s15, s14
	s_add_u32 s6, s6, 2
	v_cvt_f32_u32_e32 v12, s14
	s_addc_u32 s7, s7, 0
	v_cmp_ge_u64_e32 vcc_lo, s[6:7], v[3:4]
	s_delay_alu instid0(VALU_DEP_2) | instskip(SKIP_1) | instid1(VALU_DEP_1)
	v_ldexp_f32 v12, v12, s13
	s_or_b32 s12, vcc_lo, s12
	v_mul_f32_e32 v12, v9, v12
	v_mov_b32_e32 v9, v5
	s_delay_alu instid0(VALU_DEP_2)
	v_fma_f32 v5, v8, v5, -v12
	s_and_not1_b32 exec_lo, exec_lo, s12
	s_cbranch_execnz .LBB67_85
; %bb.86:
	s_or_b32 exec_lo, exec_lo, s12
.LBB67_87:
	s_delay_alu instid0(SALU_CYCLE_1)
	s_or_b32 exec_lo, exec_lo, s11
                                        ; implicit-def: $vgpr8
.LBB67_88:
	s_and_not1_saveexec_b32 s6, s10
	s_cbranch_execz .LBB67_90
; %bb.89:
	s_waitcnt vmcnt(0)
	v_add_f32_e32 v5, v8, v8
.LBB67_90:
	s_or_b32 exec_lo, exec_lo, s6
.LBB67_91:
	s_delay_alu instid0(SALU_CYCLE_1)
	s_or_b32 exec_lo, exec_lo, s9
.LBB67_92:
	s_delay_alu instid0(SALU_CYCLE_1) | instskip(SKIP_4) | instid1(VALU_DEP_1)
	s_or_b32 exec_lo, exec_lo, s8
	global_load_u16 v3, v11, s[4:5]
	s_mov_b32 s4, exec_lo
	s_waitcnt vmcnt(0)
	v_lshlrev_b32_e32 v3, 16, v3
	v_trunc_f32_e32 v4, v3
	s_delay_alu instid0(VALU_DEP_1) | instskip(NEXT) | instid1(VALU_DEP_1)
	v_mul_f32_e64 v8, 0x2f800000, |v4|
	v_floor_f32_e32 v8, v8
	s_delay_alu instid0(VALU_DEP_1) | instskip(SKIP_2) | instid1(VALU_DEP_3)
	v_fma_f32 v9, 0xcf800000, v8, |v4|
	v_ashrrev_i32_e32 v4, 31, v4
	v_cvt_u32_f32_e32 v8, v8
	v_cvt_u32_f32_e32 v9, v9
	s_delay_alu instid0(VALU_DEP_2) | instskip(NEXT) | instid1(VALU_DEP_2)
	v_xor_b32_e32 v8, v8, v4
	v_xor_b32_e32 v9, v9, v4
	s_delay_alu instid0(VALU_DEP_1) | instskip(NEXT) | instid1(VALU_DEP_3)
	v_sub_co_u32 v9, vcc_lo, v9, v4
	v_sub_co_ci_u32_e32 v4, vcc_lo, v8, v4, vcc_lo
	v_cmp_class_f32_e64 vcc_lo, v3, 0x1f8
	v_mov_b32_e32 v8, 0
	s_delay_alu instid0(VALU_DEP_3) | instskip(NEXT) | instid1(VALU_DEP_1)
	v_dual_cndmask_b32 v4, -1, v4 :: v_dual_cndmask_b32 v3, -1, v9
	v_cmpx_lt_i64_e32 -1, v[3:4]
	s_cbranch_execz .LBB67_104
; %bb.93:
	v_mov_b32_e32 v8, 1.0
	s_mov_b32 s5, exec_lo
	v_cmpx_lt_i64_e32 0, v[3:4]
	s_cbranch_execz .LBB67_103
; %bb.94:
	global_load_b32 v9, v10, s[2:3]
                                        ; implicit-def: $vgpr8
	s_mov_b32 s2, exec_lo
	v_cmpx_ne_u64_e32 1, v[3:4]
	s_xor_b32 s6, exec_lo, s2
	s_cbranch_execz .LBB67_100
; %bb.95:
	v_mov_b32_e32 v8, 0x7fc00000
	s_mov_b32 s7, exec_lo
	v_cmpx_gt_u64_e32 0x81, v[3:4]
	s_cbranch_execz .LBB67_99
; %bb.96:
	s_waitcnt vmcnt(0)
	v_dual_add_f32 v9, v9, v9 :: v_dual_mov_b32 v10, 1.0
	v_lshlrev_b64 v[3:4], 1, v[3:4]
	s_mov_b64 s[2:3], 2
	s_mov_b32 s8, 0
	s_delay_alu instid0(VALU_DEP_2)
	v_mov_b32_e32 v8, v9
	.p2align	6
.LBB67_97:                              ; =>This Inner Loop Header: Depth=1
	s_clz_i32_u32 s9, s3
	s_delay_alu instid0(SALU_CYCLE_1) | instskip(NEXT) | instid1(SALU_CYCLE_1)
	s_min_u32 s9, s9, 32
	s_lshl_b64 s[10:11], s[2:3], s9
	s_sub_i32 s9, 32, s9
	s_min_u32 s10, s10, 1
	s_delay_alu instid0(SALU_CYCLE_1) | instskip(SKIP_3) | instid1(SALU_CYCLE_1)
	s_or_b32 s10, s11, s10
	s_add_u32 s2, s2, 2
	v_cvt_f32_u32_e32 v11, s10
	s_addc_u32 s3, s3, 0
	v_cmp_ge_u64_e32 vcc_lo, s[2:3], v[3:4]
	s_delay_alu instid0(VALU_DEP_2) | instskip(SKIP_1) | instid1(VALU_DEP_1)
	v_ldexp_f32 v11, v11, s9
	s_or_b32 s8, vcc_lo, s8
	v_dual_mul_f32 v11, v10, v11 :: v_dual_mov_b32 v10, v8
	s_delay_alu instid0(VALU_DEP_1)
	v_fma_f32 v8, v9, v8, -v11
	s_and_not1_b32 exec_lo, exec_lo, s8
	s_cbranch_execnz .LBB67_97
; %bb.98:
	s_or_b32 exec_lo, exec_lo, s8
.LBB67_99:
	s_delay_alu instid0(SALU_CYCLE_1)
	s_or_b32 exec_lo, exec_lo, s7
                                        ; implicit-def: $vgpr9
.LBB67_100:
	s_and_not1_saveexec_b32 s2, s6
	s_cbranch_execz .LBB67_102
; %bb.101:
	s_waitcnt vmcnt(0)
	v_add_f32_e32 v8, v9, v9
.LBB67_102:
	s_or_b32 exec_lo, exec_lo, s2
.LBB67_103:
	s_delay_alu instid0(SALU_CYCLE_1)
	s_or_b32 exec_lo, exec_lo, s5
.LBB67_104:
	s_delay_alu instid0(SALU_CYCLE_1)
	s_or_b32 exec_lo, exec_lo, s4
	s_clause 0x3
	global_store_b32 v0, v14, s[0:1]
	global_store_b32 v1, v6, s[0:1]
	;; [unrolled: 1-line block ×4, first 2 shown]
	s_nop 0
	s_sendmsg sendmsg(MSG_DEALLOC_VGPRS)
	s_endpgm
.LBB67_105:
	s_mov_b32 s31, -1
                                        ; implicit-def: $vgpr0
                                        ; implicit-def: $vgpr1
                                        ; implicit-def: $vgpr2
.LBB67_106:
	s_delay_alu instid0(SALU_CYCLE_1)
	s_and_not1_b32 vcc_lo, exec_lo, s31
	s_cbranch_vccnz .LBB67_109
; %bb.107:
	s_waitcnt lgkmcnt(0)
	v_mul_hi_u32 v0, s13, v7
	s_and_not1_b32 vcc_lo, exec_lo, s26
	s_delay_alu instid0(VALU_DEP_1) | instskip(NEXT) | instid1(VALU_DEP_1)
	v_add_nc_u32_e32 v0, v7, v0
	v_lshrrev_b32_e32 v3, s14, v0
	s_delay_alu instid0(VALU_DEP_1) | instskip(NEXT) | instid1(VALU_DEP_1)
	v_mul_lo_u32 v0, v3, s12
	v_sub_nc_u32_e32 v2, v7, v0
	s_delay_alu instid0(VALU_DEP_1)
	v_mul_lo_u32 v0, v2, s8
	v_mul_lo_u32 v1, v2, s9
	;; [unrolled: 1-line block ×3, first 2 shown]
	s_cbranch_vccnz .LBB67_109
; %bb.108:
	v_mul_hi_u32 v4, s18, v3
	s_delay_alu instid0(VALU_DEP_1) | instskip(NEXT) | instid1(VALU_DEP_1)
	v_add_nc_u32_e32 v4, v3, v4
	v_lshrrev_b32_e32 v4, s19, v4
	s_delay_alu instid0(VALU_DEP_1) | instskip(NEXT) | instid1(VALU_DEP_1)
	v_mul_lo_u32 v4, v4, s15
	v_sub_nc_u32_e32 v8, v3, v4
	s_delay_alu instid0(VALU_DEP_1) | instskip(SKIP_1) | instid1(VALU_DEP_2)
	v_mad_u64_u32 v[3:4], null, v8, s11, v[0:1]
	v_mad_u64_u32 v[4:5], null, v8, s16, v[1:2]
	;; [unrolled: 1-line block ×3, first 2 shown]
	s_delay_alu instid0(VALU_DEP_2) | instskip(NEXT) | instid1(VALU_DEP_2)
	v_dual_mov_b32 v0, v3 :: v_dual_mov_b32 v1, v4
	v_mov_b32_e32 v2, v5
.LBB67_109:
	s_waitcnt lgkmcnt(0)
	global_load_u16 v2, v2, s[2:3]
	s_mov_b32 s31, exec_lo
	s_waitcnt vmcnt(0)
	v_lshlrev_b32_e32 v2, 16, v2
	s_delay_alu instid0(VALU_DEP_1) | instskip(NEXT) | instid1(VALU_DEP_1)
	v_trunc_f32_e32 v3, v2
	v_mul_f32_e64 v4, 0x2f800000, |v3|
	s_delay_alu instid0(VALU_DEP_1) | instskip(NEXT) | instid1(VALU_DEP_1)
	v_floor_f32_e32 v4, v4
	v_fma_f32 v5, 0xcf800000, v4, |v3|
	v_ashrrev_i32_e32 v3, 31, v3
	v_cvt_u32_f32_e32 v4, v4
	s_delay_alu instid0(VALU_DEP_3) | instskip(NEXT) | instid1(VALU_DEP_2)
	v_cvt_u32_f32_e32 v5, v5
	v_xor_b32_e32 v4, v4, v3
	s_delay_alu instid0(VALU_DEP_2) | instskip(NEXT) | instid1(VALU_DEP_1)
	v_xor_b32_e32 v5, v5, v3
	v_sub_co_u32 v5, vcc_lo, v5, v3
	s_delay_alu instid0(VALU_DEP_3) | instskip(SKIP_1) | instid1(VALU_DEP_2)
	v_sub_co_ci_u32_e32 v3, vcc_lo, v4, v3, vcc_lo
	v_cmp_class_f32_e64 vcc_lo, v2, 0x1f8
	v_dual_mov_b32 v4, 0 :: v_dual_cndmask_b32 v3, -1, v3
	s_delay_alu instid0(VALU_DEP_4) | instskip(NEXT) | instid1(VALU_DEP_1)
	v_cndmask_b32_e32 v2, -1, v5, vcc_lo
	v_cmpx_lt_i64_e32 -1, v[2:3]
	s_cbranch_execz .LBB67_121
; %bb.110:
	v_mov_b32_e32 v4, 1.0
	s_mov_b32 s33, exec_lo
	v_cmpx_lt_i64_e32 0, v[2:3]
	s_cbranch_execz .LBB67_120
; %bb.111:
	global_load_b32 v1, v1, s[6:7]
                                        ; implicit-def: $vgpr4
	s_mov_b32 s20, exec_lo
	v_cmpx_ne_u64_e32 1, v[2:3]
	s_xor_b32 s34, exec_lo, s20
	s_cbranch_execz .LBB67_117
; %bb.112:
	v_mov_b32_e32 v4, 0x7fc00000
	s_mov_b32 s35, exec_lo
	v_cmpx_gt_u64_e32 0x81, v[2:3]
	s_cbranch_execz .LBB67_116
; %bb.113:
	s_waitcnt vmcnt(0)
	v_add_f32_e32 v5, v1, v1
	v_lshlrev_b64 v[1:2], 1, v[2:3]
	v_mov_b32_e32 v3, 1.0
	s_mov_b64 s[20:21], 2
	s_mov_b32 s36, 0
	v_mov_b32_e32 v4, v5
	.p2align	6
.LBB67_114:                             ; =>This Inner Loop Header: Depth=1
	s_clz_i32_u32 s37, s21
	s_delay_alu instid0(SALU_CYCLE_1) | instskip(NEXT) | instid1(SALU_CYCLE_1)
	s_min_u32 s37, s37, 32
	s_lshl_b64 s[38:39], s[20:21], s37
	s_sub_i32 s37, 32, s37
	s_min_u32 s38, s38, 1
	s_delay_alu instid0(SALU_CYCLE_1) | instskip(SKIP_3) | instid1(SALU_CYCLE_1)
	s_or_b32 s38, s39, s38
	s_add_u32 s20, s20, 2
	v_cvt_f32_u32_e32 v6, s38
	s_addc_u32 s21, s21, 0
	v_cmp_ge_u64_e32 vcc_lo, s[20:21], v[1:2]
	s_delay_alu instid0(VALU_DEP_2) | instskip(SKIP_1) | instid1(VALU_DEP_1)
	v_ldexp_f32 v6, v6, s37
	s_or_b32 s36, vcc_lo, s36
	v_dual_mul_f32 v6, v3, v6 :: v_dual_mov_b32 v3, v4
	s_delay_alu instid0(VALU_DEP_1)
	v_fma_f32 v4, v5, v4, -v6
	s_and_not1_b32 exec_lo, exec_lo, s36
	s_cbranch_execnz .LBB67_114
; %bb.115:
	s_or_b32 exec_lo, exec_lo, s36
.LBB67_116:
	s_delay_alu instid0(SALU_CYCLE_1)
	s_or_b32 exec_lo, exec_lo, s35
                                        ; implicit-def: $vgpr1
.LBB67_117:
	s_and_not1_saveexec_b32 s20, s34
	s_cbranch_execz .LBB67_119
; %bb.118:
	s_waitcnt vmcnt(0)
	v_add_f32_e32 v4, v1, v1
.LBB67_119:
	s_or_b32 exec_lo, exec_lo, s20
.LBB67_120:
	s_delay_alu instid0(SALU_CYCLE_1)
	s_or_b32 exec_lo, exec_lo, s33
.LBB67_121:
	s_delay_alu instid0(SALU_CYCLE_1) | instskip(SKIP_3) | instid1(SALU_CYCLE_1)
	s_or_b32 exec_lo, exec_lo, s31
	v_add_nc_u32_e32 v7, 0x80, v7
	global_store_b32 v0, v4, s[4:5]
	s_or_b32 exec_lo, exec_lo, s30
	s_mov_b32 s30, exec_lo
	v_cmpx_gt_i32_e64 s28, v7
	s_cbranch_execnz .LBB67_16
.LBB67_122:
	s_or_b32 exec_lo, exec_lo, s30
	s_delay_alu instid0(SALU_CYCLE_1)
	s_mov_b32 s30, exec_lo
	v_cmpx_gt_i32_e64 s28, v7
	s_cbranch_execz .LBB67_146
.LBB67_123:
	s_and_not1_b32 vcc_lo, exec_lo, s24
	s_cbranch_vccnz .LBB67_149
; %bb.124:
	s_waitcnt vmcnt(0)
	v_dual_mov_b32 v0, 0 :: v_dual_mov_b32 v1, 0
	v_mov_b32_e32 v2, 0
	s_and_not1_b32 vcc_lo, exec_lo, s29
	s_mov_b32 s31, 0
	s_cbranch_vccnz .LBB67_150
; %bb.125:
	s_add_i32 s20, s27, 1
	v_dual_mov_b32 v2, 0 :: v_dual_mov_b32 v1, 0
	v_dual_mov_b32 v0, 0 :: v_dual_mov_b32 v3, v7
	s_and_b32 s33, s20, 30
	s_add_u32 s20, s0, 0xffffffec
	s_addc_u32 s21, s1, -1
	s_set_inst_prefetch_distance 0x1
	.p2align	6
.LBB67_126:                             ; =>This Inner Loop Header: Depth=1
	s_clause 0x2
	s_load_b128 s[36:39], s[20:21], 0x18
	s_load_b64 s[34:35], s[20:21], 0x28
	s_load_b128 s[40:43], s[20:21], 0xd8
	s_waitcnt lgkmcnt(0)
	v_mul_hi_u32 v4, s37, v3
	s_delay_alu instid0(VALU_DEP_1) | instskip(NEXT) | instid1(VALU_DEP_1)
	v_add_nc_u32_e32 v4, v3, v4
	v_lshrrev_b32_e32 v4, s38, v4
	s_delay_alu instid0(VALU_DEP_1)
	v_mul_hi_u32 v5, s34, v4
	v_mul_lo_u32 v6, v4, s36
	s_load_b64 s[36:37], s[20:21], 0xe8
	s_add_u32 s20, s20, 24
	s_addc_u32 s21, s21, 0
	s_add_i32 s33, s33, -2
	s_delay_alu instid0(SALU_CYCLE_1) | instskip(NEXT) | instid1(VALU_DEP_2)
	s_cmp_eq_u32 s33, 0
	v_add_nc_u32_e32 v5, v4, v5
	s_delay_alu instid0(VALU_DEP_2) | instskip(NEXT) | instid1(VALU_DEP_2)
	v_sub_nc_u32_e32 v6, v3, v6
	v_lshrrev_b32_e32 v3, s35, v5
	s_delay_alu instid0(VALU_DEP_2) | instskip(NEXT) | instid1(VALU_DEP_2)
	v_mul_lo_u32 v8, v6, s40
	v_mul_lo_u32 v5, v3, s39
	s_delay_alu instid0(VALU_DEP_1) | instskip(SKIP_2) | instid1(VALU_DEP_3)
	v_sub_nc_u32_e32 v4, v4, v5
	v_mul_lo_u32 v5, v6, s41
	v_mul_lo_u32 v6, v6, s42
	;; [unrolled: 1-line block ×3, first 2 shown]
	s_waitcnt lgkmcnt(0)
	v_mul_lo_u32 v10, v4, s36
	v_mul_lo_u32 v4, v4, s37
	s_delay_alu instid0(VALU_DEP_3) | instskip(NEXT) | instid1(VALU_DEP_3)
	v_add3_u32 v0, v8, v0, v9
	v_add3_u32 v1, v5, v1, v10
	s_delay_alu instid0(VALU_DEP_3)
	v_add3_u32 v2, v6, v2, v4
	s_cbranch_scc0 .LBB67_126
; %bb.127:
	s_set_inst_prefetch_distance 0x2
	s_bitcmp1_b32 s27, 0
	s_cselect_b32 s33, -1, 0
	s_delay_alu instid0(SALU_CYCLE_1)
	s_and_b32 vcc_lo, exec_lo, s33
	s_cbranch_vccnz .LBB67_150
; %bb.128:
	s_clause 0x3
	s_load_b64 s[34:35], s[20:21], 0x18
	s_load_b32 s33, s[20:21], 0x20
	s_load_b64 s[36:37], s[20:21], 0xd8
	s_load_b32 s20, s[20:21], 0xe0
	s_waitcnt lgkmcnt(0)
	v_mul_hi_u32 v4, s35, v3
	s_delay_alu instid0(VALU_DEP_1) | instskip(NEXT) | instid1(VALU_DEP_1)
	v_add_nc_u32_e32 v4, v3, v4
	v_lshrrev_b32_e32 v4, s33, v4
	s_delay_alu instid0(VALU_DEP_1) | instskip(NEXT) | instid1(VALU_DEP_1)
	v_mul_lo_u32 v4, v4, s34
	v_sub_nc_u32_e32 v8, v3, v4
	s_delay_alu instid0(VALU_DEP_1) | instskip(SKIP_1) | instid1(VALU_DEP_2)
	v_mad_u64_u32 v[3:4], null, v8, s36, v[0:1]
	v_mad_u64_u32 v[4:5], null, v8, s37, v[1:2]
	;; [unrolled: 1-line block ×3, first 2 shown]
	s_delay_alu instid0(VALU_DEP_2) | instskip(NEXT) | instid1(VALU_DEP_2)
	v_dual_mov_b32 v0, v3 :: v_dual_mov_b32 v1, v4
	v_mov_b32_e32 v2, v5
	s_branch .LBB67_150
.LBB67_129:
	s_mov_b32 s31, -1
                                        ; implicit-def: $vgpr0
                                        ; implicit-def: $vgpr1
                                        ; implicit-def: $vgpr2
.LBB67_130:
	s_delay_alu instid0(SALU_CYCLE_1)
	s_and_not1_b32 vcc_lo, exec_lo, s31
	s_cbranch_vccnz .LBB67_133
; %bb.131:
	s_waitcnt lgkmcnt(0)
	v_mul_hi_u32 v0, s13, v7
	s_and_not1_b32 vcc_lo, exec_lo, s26
	s_delay_alu instid0(VALU_DEP_1) | instskip(NEXT) | instid1(VALU_DEP_1)
	v_add_nc_u32_e32 v0, v7, v0
	v_lshrrev_b32_e32 v3, s14, v0
	s_delay_alu instid0(VALU_DEP_1) | instskip(NEXT) | instid1(VALU_DEP_1)
	v_mul_lo_u32 v0, v3, s12
	v_sub_nc_u32_e32 v2, v7, v0
	s_delay_alu instid0(VALU_DEP_1)
	v_mul_lo_u32 v0, v2, s8
	s_waitcnt vmcnt(0)
	v_mul_lo_u32 v1, v2, s9
	v_mul_lo_u32 v2, v2, s10
	s_cbranch_vccnz .LBB67_133
; %bb.132:
	v_mul_hi_u32 v4, s18, v3
	s_delay_alu instid0(VALU_DEP_1) | instskip(NEXT) | instid1(VALU_DEP_1)
	v_add_nc_u32_e32 v4, v3, v4
	v_lshrrev_b32_e32 v4, s19, v4
	s_delay_alu instid0(VALU_DEP_1) | instskip(NEXT) | instid1(VALU_DEP_1)
	v_mul_lo_u32 v4, v4, s15
	v_sub_nc_u32_e32 v8, v3, v4
	s_delay_alu instid0(VALU_DEP_1) | instskip(SKIP_1) | instid1(VALU_DEP_2)
	v_mad_u64_u32 v[3:4], null, v8, s11, v[0:1]
	v_mad_u64_u32 v[4:5], null, v8, s16, v[1:2]
	;; [unrolled: 1-line block ×3, first 2 shown]
	s_delay_alu instid0(VALU_DEP_2) | instskip(NEXT) | instid1(VALU_DEP_2)
	v_dual_mov_b32 v0, v3 :: v_dual_mov_b32 v1, v4
	v_mov_b32_e32 v2, v5
.LBB67_133:
	s_waitcnt lgkmcnt(0)
	global_load_u16 v2, v2, s[2:3]
	s_mov_b32 s31, exec_lo
	s_waitcnt vmcnt(0)
	v_lshlrev_b32_e32 v2, 16, v2
	s_delay_alu instid0(VALU_DEP_1) | instskip(NEXT) | instid1(VALU_DEP_1)
	v_trunc_f32_e32 v3, v2
	v_mul_f32_e64 v4, 0x2f800000, |v3|
	s_delay_alu instid0(VALU_DEP_1) | instskip(NEXT) | instid1(VALU_DEP_1)
	v_floor_f32_e32 v4, v4
	v_fma_f32 v5, 0xcf800000, v4, |v3|
	v_ashrrev_i32_e32 v3, 31, v3
	v_cvt_u32_f32_e32 v4, v4
	s_delay_alu instid0(VALU_DEP_3) | instskip(NEXT) | instid1(VALU_DEP_2)
	v_cvt_u32_f32_e32 v5, v5
	v_xor_b32_e32 v4, v4, v3
	s_delay_alu instid0(VALU_DEP_2) | instskip(NEXT) | instid1(VALU_DEP_1)
	v_xor_b32_e32 v5, v5, v3
	v_sub_co_u32 v5, vcc_lo, v5, v3
	s_delay_alu instid0(VALU_DEP_3) | instskip(SKIP_1) | instid1(VALU_DEP_2)
	v_sub_co_ci_u32_e32 v3, vcc_lo, v4, v3, vcc_lo
	v_cmp_class_f32_e64 vcc_lo, v2, 0x1f8
	v_dual_mov_b32 v4, 0 :: v_dual_cndmask_b32 v3, -1, v3
	s_delay_alu instid0(VALU_DEP_4) | instskip(NEXT) | instid1(VALU_DEP_1)
	v_cndmask_b32_e32 v2, -1, v5, vcc_lo
	v_cmpx_lt_i64_e32 -1, v[2:3]
	s_cbranch_execz .LBB67_145
; %bb.134:
	v_mov_b32_e32 v4, 1.0
	s_mov_b32 s33, exec_lo
	v_cmpx_lt_i64_e32 0, v[2:3]
	s_cbranch_execz .LBB67_144
; %bb.135:
	global_load_b32 v1, v1, s[6:7]
                                        ; implicit-def: $vgpr4
	s_mov_b32 s20, exec_lo
	v_cmpx_ne_u64_e32 1, v[2:3]
	s_xor_b32 s34, exec_lo, s20
	s_cbranch_execz .LBB67_141
; %bb.136:
	v_mov_b32_e32 v4, 0x7fc00000
	s_mov_b32 s35, exec_lo
	v_cmpx_gt_u64_e32 0x81, v[2:3]
	s_cbranch_execz .LBB67_140
; %bb.137:
	s_waitcnt vmcnt(0)
	v_add_f32_e32 v5, v1, v1
	v_lshlrev_b64 v[1:2], 1, v[2:3]
	v_mov_b32_e32 v3, 1.0
	s_mov_b64 s[20:21], 2
	s_mov_b32 s36, 0
	v_mov_b32_e32 v4, v5
	.p2align	6
.LBB67_138:                             ; =>This Inner Loop Header: Depth=1
	s_clz_i32_u32 s37, s21
	s_delay_alu instid0(SALU_CYCLE_1) | instskip(NEXT) | instid1(SALU_CYCLE_1)
	s_min_u32 s37, s37, 32
	s_lshl_b64 s[38:39], s[20:21], s37
	s_sub_i32 s37, 32, s37
	s_min_u32 s38, s38, 1
	s_delay_alu instid0(SALU_CYCLE_1) | instskip(SKIP_3) | instid1(SALU_CYCLE_1)
	s_or_b32 s38, s39, s38
	s_add_u32 s20, s20, 2
	v_cvt_f32_u32_e32 v6, s38
	s_addc_u32 s21, s21, 0
	v_cmp_ge_u64_e32 vcc_lo, s[20:21], v[1:2]
	s_delay_alu instid0(VALU_DEP_2) | instskip(SKIP_1) | instid1(VALU_DEP_1)
	v_ldexp_f32 v6, v6, s37
	s_or_b32 s36, vcc_lo, s36
	v_dual_mul_f32 v6, v3, v6 :: v_dual_mov_b32 v3, v4
	s_delay_alu instid0(VALU_DEP_1)
	v_fma_f32 v4, v5, v4, -v6
	s_and_not1_b32 exec_lo, exec_lo, s36
	s_cbranch_execnz .LBB67_138
; %bb.139:
	s_or_b32 exec_lo, exec_lo, s36
.LBB67_140:
	s_delay_alu instid0(SALU_CYCLE_1)
	s_or_b32 exec_lo, exec_lo, s35
                                        ; implicit-def: $vgpr1
.LBB67_141:
	s_and_not1_saveexec_b32 s20, s34
	s_cbranch_execz .LBB67_143
; %bb.142:
	s_waitcnt vmcnt(0)
	v_add_f32_e32 v4, v1, v1
.LBB67_143:
	s_or_b32 exec_lo, exec_lo, s20
.LBB67_144:
	s_delay_alu instid0(SALU_CYCLE_1)
	s_or_b32 exec_lo, exec_lo, s33
.LBB67_145:
	s_delay_alu instid0(SALU_CYCLE_1) | instskip(SKIP_3) | instid1(SALU_CYCLE_1)
	s_or_b32 exec_lo, exec_lo, s31
	v_add_nc_u32_e32 v7, 0x80, v7
	global_store_b32 v0, v4, s[4:5]
	s_or_b32 exec_lo, exec_lo, s30
	s_mov_b32 s30, exec_lo
	v_cmpx_gt_i32_e64 s28, v7
	s_cbranch_execnz .LBB67_123
.LBB67_146:
	s_or_b32 exec_lo, exec_lo, s30
	v_cmp_gt_i32_e32 vcc_lo, s28, v7
	s_and_saveexec_b32 s28, vcc_lo
	s_cbranch_execnz .LBB67_166
.LBB67_147:
	s_or_b32 exec_lo, exec_lo, s28
                                        ; implicit-def: $vgpr12
                                        ; implicit-def: $vgpr7
	s_waitcnt lgkmcnt(0)
	s_and_not1_saveexec_b32 s2, s25
	s_cbranch_execnz .LBB67_9
.LBB67_148:
	s_nop 0
	s_sendmsg sendmsg(MSG_DEALLOC_VGPRS)
	s_endpgm
.LBB67_149:
	s_mov_b32 s31, -1
                                        ; implicit-def: $vgpr0
                                        ; implicit-def: $vgpr1
                                        ; implicit-def: $vgpr2
.LBB67_150:
	s_delay_alu instid0(SALU_CYCLE_1)
	s_and_not1_b32 vcc_lo, exec_lo, s31
	s_cbranch_vccnz .LBB67_153
; %bb.151:
	s_waitcnt lgkmcnt(0)
	v_mul_hi_u32 v0, s13, v7
	s_and_not1_b32 vcc_lo, exec_lo, s26
	s_delay_alu instid0(VALU_DEP_1) | instskip(NEXT) | instid1(VALU_DEP_1)
	v_add_nc_u32_e32 v0, v7, v0
	v_lshrrev_b32_e32 v3, s14, v0
	s_delay_alu instid0(VALU_DEP_1) | instskip(NEXT) | instid1(VALU_DEP_1)
	v_mul_lo_u32 v0, v3, s12
	v_sub_nc_u32_e32 v2, v7, v0
	s_delay_alu instid0(VALU_DEP_1)
	v_mul_lo_u32 v0, v2, s8
	s_waitcnt vmcnt(0)
	v_mul_lo_u32 v1, v2, s9
	v_mul_lo_u32 v2, v2, s10
	s_cbranch_vccnz .LBB67_153
; %bb.152:
	v_mul_hi_u32 v4, s18, v3
	s_delay_alu instid0(VALU_DEP_1) | instskip(NEXT) | instid1(VALU_DEP_1)
	v_add_nc_u32_e32 v4, v3, v4
	v_lshrrev_b32_e32 v4, s19, v4
	s_delay_alu instid0(VALU_DEP_1) | instskip(NEXT) | instid1(VALU_DEP_1)
	v_mul_lo_u32 v4, v4, s15
	v_sub_nc_u32_e32 v8, v3, v4
	s_delay_alu instid0(VALU_DEP_1) | instskip(SKIP_1) | instid1(VALU_DEP_2)
	v_mad_u64_u32 v[3:4], null, v8, s11, v[0:1]
	v_mad_u64_u32 v[4:5], null, v8, s16, v[1:2]
	;; [unrolled: 1-line block ×3, first 2 shown]
	s_delay_alu instid0(VALU_DEP_2) | instskip(NEXT) | instid1(VALU_DEP_2)
	v_dual_mov_b32 v0, v3 :: v_dual_mov_b32 v1, v4
	v_mov_b32_e32 v2, v5
.LBB67_153:
	s_waitcnt lgkmcnt(0)
	global_load_u16 v2, v2, s[2:3]
	s_mov_b32 s31, exec_lo
	s_waitcnt vmcnt(0)
	v_lshlrev_b32_e32 v2, 16, v2
	s_delay_alu instid0(VALU_DEP_1) | instskip(NEXT) | instid1(VALU_DEP_1)
	v_trunc_f32_e32 v3, v2
	v_mul_f32_e64 v4, 0x2f800000, |v3|
	s_delay_alu instid0(VALU_DEP_1) | instskip(NEXT) | instid1(VALU_DEP_1)
	v_floor_f32_e32 v4, v4
	v_fma_f32 v5, 0xcf800000, v4, |v3|
	v_ashrrev_i32_e32 v3, 31, v3
	v_cvt_u32_f32_e32 v4, v4
	s_delay_alu instid0(VALU_DEP_3) | instskip(NEXT) | instid1(VALU_DEP_2)
	v_cvt_u32_f32_e32 v5, v5
	v_xor_b32_e32 v4, v4, v3
	s_delay_alu instid0(VALU_DEP_2) | instskip(NEXT) | instid1(VALU_DEP_1)
	v_xor_b32_e32 v5, v5, v3
	v_sub_co_u32 v5, vcc_lo, v5, v3
	s_delay_alu instid0(VALU_DEP_3) | instskip(SKIP_1) | instid1(VALU_DEP_2)
	v_sub_co_ci_u32_e32 v3, vcc_lo, v4, v3, vcc_lo
	v_cmp_class_f32_e64 vcc_lo, v2, 0x1f8
	v_dual_mov_b32 v4, 0 :: v_dual_cndmask_b32 v3, -1, v3
	s_delay_alu instid0(VALU_DEP_4) | instskip(NEXT) | instid1(VALU_DEP_1)
	v_cndmask_b32_e32 v2, -1, v5, vcc_lo
	v_cmpx_lt_i64_e32 -1, v[2:3]
	s_cbranch_execz .LBB67_165
; %bb.154:
	v_mov_b32_e32 v4, 1.0
	s_mov_b32 s33, exec_lo
	v_cmpx_lt_i64_e32 0, v[2:3]
	s_cbranch_execz .LBB67_164
; %bb.155:
	global_load_b32 v1, v1, s[6:7]
                                        ; implicit-def: $vgpr4
	s_mov_b32 s20, exec_lo
	v_cmpx_ne_u64_e32 1, v[2:3]
	s_xor_b32 s34, exec_lo, s20
	s_cbranch_execz .LBB67_161
; %bb.156:
	v_mov_b32_e32 v4, 0x7fc00000
	s_mov_b32 s35, exec_lo
	v_cmpx_gt_u64_e32 0x81, v[2:3]
	s_cbranch_execz .LBB67_160
; %bb.157:
	s_waitcnt vmcnt(0)
	v_add_f32_e32 v5, v1, v1
	v_lshlrev_b64 v[1:2], 1, v[2:3]
	v_mov_b32_e32 v3, 1.0
	s_mov_b64 s[20:21], 2
	s_mov_b32 s36, 0
	v_mov_b32_e32 v4, v5
	.p2align	6
.LBB67_158:                             ; =>This Inner Loop Header: Depth=1
	s_clz_i32_u32 s37, s21
	s_delay_alu instid0(SALU_CYCLE_1) | instskip(NEXT) | instid1(SALU_CYCLE_1)
	s_min_u32 s37, s37, 32
	s_lshl_b64 s[38:39], s[20:21], s37
	s_sub_i32 s37, 32, s37
	s_min_u32 s38, s38, 1
	s_delay_alu instid0(SALU_CYCLE_1) | instskip(SKIP_3) | instid1(SALU_CYCLE_1)
	s_or_b32 s38, s39, s38
	s_add_u32 s20, s20, 2
	v_cvt_f32_u32_e32 v6, s38
	s_addc_u32 s21, s21, 0
	v_cmp_ge_u64_e32 vcc_lo, s[20:21], v[1:2]
	s_delay_alu instid0(VALU_DEP_2) | instskip(SKIP_1) | instid1(VALU_DEP_1)
	v_ldexp_f32 v6, v6, s37
	s_or_b32 s36, vcc_lo, s36
	v_dual_mul_f32 v6, v3, v6 :: v_dual_mov_b32 v3, v4
	s_delay_alu instid0(VALU_DEP_1)
	v_fma_f32 v4, v5, v4, -v6
	s_and_not1_b32 exec_lo, exec_lo, s36
	s_cbranch_execnz .LBB67_158
; %bb.159:
	s_or_b32 exec_lo, exec_lo, s36
.LBB67_160:
	s_delay_alu instid0(SALU_CYCLE_1)
	s_or_b32 exec_lo, exec_lo, s35
                                        ; implicit-def: $vgpr1
.LBB67_161:
	s_and_not1_saveexec_b32 s20, s34
	s_cbranch_execz .LBB67_163
; %bb.162:
	s_waitcnt vmcnt(0)
	v_add_f32_e32 v4, v1, v1
.LBB67_163:
	s_or_b32 exec_lo, exec_lo, s20
.LBB67_164:
	s_delay_alu instid0(SALU_CYCLE_1)
	s_or_b32 exec_lo, exec_lo, s33
.LBB67_165:
	s_delay_alu instid0(SALU_CYCLE_1)
	s_or_b32 exec_lo, exec_lo, s31
	v_add_nc_u32_e32 v7, 0x80, v7
	global_store_b32 v0, v4, s[4:5]
	s_or_b32 exec_lo, exec_lo, s30
	v_cmp_gt_i32_e32 vcc_lo, s28, v7
	s_and_saveexec_b32 s28, vcc_lo
	s_cbranch_execz .LBB67_147
.LBB67_166:
	s_and_not1_b32 vcc_lo, exec_lo, s24
	s_cbranch_vccnz .LBB67_172
; %bb.167:
	s_waitcnt vmcnt(0)
	v_dual_mov_b32 v0, 0 :: v_dual_mov_b32 v1, 0
	v_mov_b32_e32 v2, 0
	s_and_not1_b32 vcc_lo, exec_lo, s29
	s_mov_b32 s29, 0
	s_cbranch_vccnz .LBB67_173
; %bb.168:
	s_add_i32 s20, s27, 1
	v_dual_mov_b32 v2, 0 :: v_dual_mov_b32 v1, 0
	v_dual_mov_b32 v0, 0 :: v_dual_mov_b32 v3, v7
	s_and_b32 s30, s20, 30
	s_add_u32 s20, s0, 0xffffffec
	s_addc_u32 s21, s1, -1
	s_set_inst_prefetch_distance 0x1
	.p2align	6
.LBB67_169:                             ; =>This Inner Loop Header: Depth=1
	s_clause 0x2
	s_load_b128 s[36:39], s[20:21], 0x18
	s_load_b64 s[34:35], s[20:21], 0x28
	s_load_b128 s[40:43], s[20:21], 0xd8
	s_waitcnt lgkmcnt(0)
	v_mul_hi_u32 v4, s37, v3
	s_delay_alu instid0(VALU_DEP_1) | instskip(NEXT) | instid1(VALU_DEP_1)
	v_add_nc_u32_e32 v4, v3, v4
	v_lshrrev_b32_e32 v4, s38, v4
	s_delay_alu instid0(VALU_DEP_1)
	v_mul_hi_u32 v5, s34, v4
	v_mul_lo_u32 v6, v4, s36
	s_load_b64 s[36:37], s[20:21], 0xe8
	s_add_u32 s20, s20, 24
	s_addc_u32 s21, s21, 0
	s_add_i32 s30, s30, -2
	s_delay_alu instid0(SALU_CYCLE_1) | instskip(NEXT) | instid1(VALU_DEP_2)
	s_cmp_eq_u32 s30, 0
	v_add_nc_u32_e32 v5, v4, v5
	s_delay_alu instid0(VALU_DEP_2) | instskip(NEXT) | instid1(VALU_DEP_2)
	v_sub_nc_u32_e32 v6, v3, v6
	v_lshrrev_b32_e32 v3, s35, v5
	s_delay_alu instid0(VALU_DEP_2) | instskip(NEXT) | instid1(VALU_DEP_2)
	v_mul_lo_u32 v8, v6, s40
	v_mul_lo_u32 v5, v3, s39
	s_delay_alu instid0(VALU_DEP_1) | instskip(SKIP_2) | instid1(VALU_DEP_3)
	v_sub_nc_u32_e32 v4, v4, v5
	v_mul_lo_u32 v5, v6, s41
	v_mul_lo_u32 v6, v6, s42
	;; [unrolled: 1-line block ×3, first 2 shown]
	s_waitcnt lgkmcnt(0)
	v_mul_lo_u32 v10, v4, s36
	v_mul_lo_u32 v4, v4, s37
	s_delay_alu instid0(VALU_DEP_3) | instskip(NEXT) | instid1(VALU_DEP_3)
	v_add3_u32 v0, v8, v0, v9
	v_add3_u32 v1, v5, v1, v10
	s_delay_alu instid0(VALU_DEP_3)
	v_add3_u32 v2, v6, v2, v4
	s_cbranch_scc0 .LBB67_169
; %bb.170:
	s_set_inst_prefetch_distance 0x2
	s_bitcmp1_b32 s27, 0
	s_cselect_b32 s27, -1, 0
	s_delay_alu instid0(SALU_CYCLE_1)
	s_and_b32 vcc_lo, exec_lo, s27
	s_cbranch_vccnz .LBB67_173
; %bb.171:
	s_clause 0x3
	s_load_b64 s[30:31], s[20:21], 0x18
	s_load_b32 s27, s[20:21], 0x20
	s_load_b64 s[34:35], s[20:21], 0xd8
	s_load_b32 s20, s[20:21], 0xe0
	s_waitcnt lgkmcnt(0)
	v_mul_hi_u32 v4, s31, v3
	s_delay_alu instid0(VALU_DEP_1) | instskip(NEXT) | instid1(VALU_DEP_1)
	v_add_nc_u32_e32 v4, v3, v4
	v_lshrrev_b32_e32 v4, s27, v4
	s_delay_alu instid0(VALU_DEP_1) | instskip(NEXT) | instid1(VALU_DEP_1)
	v_mul_lo_u32 v4, v4, s30
	v_sub_nc_u32_e32 v8, v3, v4
	s_delay_alu instid0(VALU_DEP_1) | instskip(SKIP_1) | instid1(VALU_DEP_2)
	v_mad_u64_u32 v[3:4], null, v8, s34, v[0:1]
	v_mad_u64_u32 v[4:5], null, v8, s35, v[1:2]
	;; [unrolled: 1-line block ×3, first 2 shown]
	s_delay_alu instid0(VALU_DEP_2) | instskip(NEXT) | instid1(VALU_DEP_2)
	v_dual_mov_b32 v0, v3 :: v_dual_mov_b32 v1, v4
	v_mov_b32_e32 v2, v5
	s_branch .LBB67_173
.LBB67_172:
	s_mov_b32 s29, -1
                                        ; implicit-def: $vgpr0
                                        ; implicit-def: $vgpr1
                                        ; implicit-def: $vgpr2
.LBB67_173:
	s_delay_alu instid0(SALU_CYCLE_1)
	s_and_not1_b32 vcc_lo, exec_lo, s29
	s_cbranch_vccnz .LBB67_176
; %bb.174:
	s_waitcnt lgkmcnt(0)
	v_mul_hi_u32 v0, s13, v7
	s_and_not1_b32 vcc_lo, exec_lo, s26
	s_delay_alu instid0(VALU_DEP_1) | instskip(NEXT) | instid1(VALU_DEP_1)
	v_add_nc_u32_e32 v0, v7, v0
	v_lshrrev_b32_e32 v3, s14, v0
	s_delay_alu instid0(VALU_DEP_1) | instskip(NEXT) | instid1(VALU_DEP_1)
	v_mul_lo_u32 v0, v3, s12
	v_sub_nc_u32_e32 v2, v7, v0
	s_delay_alu instid0(VALU_DEP_1)
	v_mul_lo_u32 v0, v2, s8
	s_waitcnt vmcnt(0)
	v_mul_lo_u32 v1, v2, s9
	v_mul_lo_u32 v2, v2, s10
	s_cbranch_vccnz .LBB67_176
; %bb.175:
	v_mul_hi_u32 v4, s18, v3
	s_delay_alu instid0(VALU_DEP_1) | instskip(NEXT) | instid1(VALU_DEP_1)
	v_add_nc_u32_e32 v4, v3, v4
	v_lshrrev_b32_e32 v4, s19, v4
	s_delay_alu instid0(VALU_DEP_1) | instskip(NEXT) | instid1(VALU_DEP_1)
	v_mul_lo_u32 v4, v4, s15
	v_sub_nc_u32_e32 v7, v3, v4
	s_delay_alu instid0(VALU_DEP_1) | instskip(SKIP_1) | instid1(VALU_DEP_2)
	v_mad_u64_u32 v[3:4], null, v7, s11, v[0:1]
	v_mad_u64_u32 v[4:5], null, v7, s16, v[1:2]
	;; [unrolled: 1-line block ×3, first 2 shown]
	s_delay_alu instid0(VALU_DEP_2) | instskip(NEXT) | instid1(VALU_DEP_2)
	v_dual_mov_b32 v0, v3 :: v_dual_mov_b32 v1, v4
	v_mov_b32_e32 v2, v5
.LBB67_176:
	s_waitcnt lgkmcnt(0)
	global_load_u16 v2, v2, s[2:3]
	s_mov_b32 s8, exec_lo
	s_waitcnt vmcnt(0)
	v_lshlrev_b32_e32 v2, 16, v2
	s_delay_alu instid0(VALU_DEP_1) | instskip(NEXT) | instid1(VALU_DEP_1)
	v_trunc_f32_e32 v3, v2
	v_mul_f32_e64 v4, 0x2f800000, |v3|
	s_delay_alu instid0(VALU_DEP_1) | instskip(NEXT) | instid1(VALU_DEP_1)
	v_floor_f32_e32 v4, v4
	v_fma_f32 v5, 0xcf800000, v4, |v3|
	v_ashrrev_i32_e32 v3, 31, v3
	v_cvt_u32_f32_e32 v4, v4
	s_delay_alu instid0(VALU_DEP_3) | instskip(NEXT) | instid1(VALU_DEP_2)
	v_cvt_u32_f32_e32 v5, v5
	v_xor_b32_e32 v4, v4, v3
	s_delay_alu instid0(VALU_DEP_2) | instskip(NEXT) | instid1(VALU_DEP_1)
	v_xor_b32_e32 v5, v5, v3
	v_sub_co_u32 v5, vcc_lo, v5, v3
	s_delay_alu instid0(VALU_DEP_3) | instskip(SKIP_1) | instid1(VALU_DEP_2)
	v_sub_co_ci_u32_e32 v3, vcc_lo, v4, v3, vcc_lo
	v_cmp_class_f32_e64 vcc_lo, v2, 0x1f8
	v_dual_mov_b32 v4, 0 :: v_dual_cndmask_b32 v3, -1, v3
	s_delay_alu instid0(VALU_DEP_4) | instskip(NEXT) | instid1(VALU_DEP_1)
	v_cndmask_b32_e32 v2, -1, v5, vcc_lo
	v_cmpx_lt_i64_e32 -1, v[2:3]
	s_cbranch_execz .LBB67_188
; %bb.177:
	v_mov_b32_e32 v4, 1.0
	s_mov_b32 s9, exec_lo
	v_cmpx_lt_i64_e32 0, v[2:3]
	s_cbranch_execz .LBB67_187
; %bb.178:
	global_load_b32 v1, v1, s[6:7]
                                        ; implicit-def: $vgpr4
	s_mov_b32 s2, exec_lo
	v_cmpx_ne_u64_e32 1, v[2:3]
	s_xor_b32 s6, exec_lo, s2
	s_cbranch_execz .LBB67_184
; %bb.179:
	v_mov_b32_e32 v4, 0x7fc00000
	s_mov_b32 s7, exec_lo
	v_cmpx_gt_u64_e32 0x81, v[2:3]
	s_cbranch_execz .LBB67_183
; %bb.180:
	s_waitcnt vmcnt(0)
	v_add_f32_e32 v5, v1, v1
	v_lshlrev_b64 v[1:2], 1, v[2:3]
	v_mov_b32_e32 v3, 1.0
	s_mov_b64 s[2:3], 2
	s_mov_b32 s10, 0
	v_mov_b32_e32 v4, v5
	.p2align	6
.LBB67_181:                             ; =>This Inner Loop Header: Depth=1
	s_clz_i32_u32 s11, s3
	s_delay_alu instid0(SALU_CYCLE_1) | instskip(NEXT) | instid1(SALU_CYCLE_1)
	s_min_u32 s11, s11, 32
	s_lshl_b64 s[12:13], s[2:3], s11
	s_sub_i32 s11, 32, s11
	s_min_u32 s12, s12, 1
	s_delay_alu instid0(SALU_CYCLE_1) | instskip(SKIP_3) | instid1(SALU_CYCLE_1)
	s_or_b32 s12, s13, s12
	s_add_u32 s2, s2, 2
	v_cvt_f32_u32_e32 v6, s12
	s_addc_u32 s3, s3, 0
	v_cmp_ge_u64_e32 vcc_lo, s[2:3], v[1:2]
	s_delay_alu instid0(VALU_DEP_2) | instskip(SKIP_1) | instid1(VALU_DEP_1)
	v_ldexp_f32 v6, v6, s11
	s_or_b32 s10, vcc_lo, s10
	v_dual_mul_f32 v6, v3, v6 :: v_dual_mov_b32 v3, v4
	s_delay_alu instid0(VALU_DEP_1)
	v_fma_f32 v4, v5, v4, -v6
	s_and_not1_b32 exec_lo, exec_lo, s10
	s_cbranch_execnz .LBB67_181
; %bb.182:
	s_or_b32 exec_lo, exec_lo, s10
.LBB67_183:
	s_delay_alu instid0(SALU_CYCLE_1)
	s_or_b32 exec_lo, exec_lo, s7
                                        ; implicit-def: $vgpr1
.LBB67_184:
	s_and_not1_saveexec_b32 s2, s6
	s_cbranch_execz .LBB67_186
; %bb.185:
	s_waitcnt vmcnt(0)
	v_add_f32_e32 v4, v1, v1
.LBB67_186:
	s_or_b32 exec_lo, exec_lo, s2
.LBB67_187:
	s_delay_alu instid0(SALU_CYCLE_1)
	s_or_b32 exec_lo, exec_lo, s9
.LBB67_188:
	s_delay_alu instid0(SALU_CYCLE_1)
	s_or_b32 exec_lo, exec_lo, s8
	global_store_b32 v0, v4, s[4:5]
	s_or_b32 exec_lo, exec_lo, s28
                                        ; implicit-def: $vgpr12
                                        ; implicit-def: $vgpr7
	s_and_not1_saveexec_b32 s2, s25
	s_cbranch_execz .LBB67_148
	s_branch .LBB67_9
	.section	.rodata,"a",@progbits
	.p2align	6, 0x0
	.amdhsa_kernel _ZN2at6native32elementwise_kernel_manual_unrollILi128ELi4EZNS0_12_GLOBAL__N_142type_specialized_broadcast_kernel_launcherILi0EE5applyINS0_13BinaryFunctorIfffZZZNS2_32hermite_polynomial_h_kernel_cudaERNS_18TensorIteratorBaseEENKUlvE_clEvENKUlvE0_clEvEUlffE_EESt5arrayIPcLm3EESD_IN3c1010ScalarTypeELm3EE16OffsetCalculatorILi3EjLb0EEEEvlT_T0_T1_T2_EUlibE_EEviSN_
		.amdhsa_group_segment_fixed_size 0
		.amdhsa_private_segment_fixed_size 0
		.amdhsa_kernarg_size 432
		.amdhsa_user_sgpr_count 15
		.amdhsa_user_sgpr_dispatch_ptr 0
		.amdhsa_user_sgpr_queue_ptr 0
		.amdhsa_user_sgpr_kernarg_segment_ptr 1
		.amdhsa_user_sgpr_dispatch_id 0
		.amdhsa_user_sgpr_private_segment_size 0
		.amdhsa_wavefront_size32 1
		.amdhsa_uses_dynamic_stack 0
		.amdhsa_enable_private_segment 0
		.amdhsa_system_sgpr_workgroup_id_x 1
		.amdhsa_system_sgpr_workgroup_id_y 0
		.amdhsa_system_sgpr_workgroup_id_z 0
		.amdhsa_system_sgpr_workgroup_info 0
		.amdhsa_system_vgpr_workitem_id 0
		.amdhsa_next_free_vgpr 20
		.amdhsa_next_free_sgpr 44
		.amdhsa_reserve_vcc 1
		.amdhsa_float_round_mode_32 0
		.amdhsa_float_round_mode_16_64 0
		.amdhsa_float_denorm_mode_32 3
		.amdhsa_float_denorm_mode_16_64 3
		.amdhsa_dx10_clamp 1
		.amdhsa_ieee_mode 1
		.amdhsa_fp16_overflow 0
		.amdhsa_workgroup_processor_mode 1
		.amdhsa_memory_ordered 1
		.amdhsa_forward_progress 0
		.amdhsa_shared_vgpr_count 0
		.amdhsa_exception_fp_ieee_invalid_op 0
		.amdhsa_exception_fp_denorm_src 0
		.amdhsa_exception_fp_ieee_div_zero 0
		.amdhsa_exception_fp_ieee_overflow 0
		.amdhsa_exception_fp_ieee_underflow 0
		.amdhsa_exception_fp_ieee_inexact 0
		.amdhsa_exception_int_div_zero 0
	.end_amdhsa_kernel
	.section	.text._ZN2at6native32elementwise_kernel_manual_unrollILi128ELi4EZNS0_12_GLOBAL__N_142type_specialized_broadcast_kernel_launcherILi0EE5applyINS0_13BinaryFunctorIfffZZZNS2_32hermite_polynomial_h_kernel_cudaERNS_18TensorIteratorBaseEENKUlvE_clEvENKUlvE0_clEvEUlffE_EESt5arrayIPcLm3EESD_IN3c1010ScalarTypeELm3EE16OffsetCalculatorILi3EjLb0EEEEvlT_T0_T1_T2_EUlibE_EEviSN_,"axG",@progbits,_ZN2at6native32elementwise_kernel_manual_unrollILi128ELi4EZNS0_12_GLOBAL__N_142type_specialized_broadcast_kernel_launcherILi0EE5applyINS0_13BinaryFunctorIfffZZZNS2_32hermite_polynomial_h_kernel_cudaERNS_18TensorIteratorBaseEENKUlvE_clEvENKUlvE0_clEvEUlffE_EESt5arrayIPcLm3EESD_IN3c1010ScalarTypeELm3EE16OffsetCalculatorILi3EjLb0EEEEvlT_T0_T1_T2_EUlibE_EEviSN_,comdat
.Lfunc_end67:
	.size	_ZN2at6native32elementwise_kernel_manual_unrollILi128ELi4EZNS0_12_GLOBAL__N_142type_specialized_broadcast_kernel_launcherILi0EE5applyINS0_13BinaryFunctorIfffZZZNS2_32hermite_polynomial_h_kernel_cudaERNS_18TensorIteratorBaseEENKUlvE_clEvENKUlvE0_clEvEUlffE_EESt5arrayIPcLm3EESD_IN3c1010ScalarTypeELm3EE16OffsetCalculatorILi3EjLb0EEEEvlT_T0_T1_T2_EUlibE_EEviSN_, .Lfunc_end67-_ZN2at6native32elementwise_kernel_manual_unrollILi128ELi4EZNS0_12_GLOBAL__N_142type_specialized_broadcast_kernel_launcherILi0EE5applyINS0_13BinaryFunctorIfffZZZNS2_32hermite_polynomial_h_kernel_cudaERNS_18TensorIteratorBaseEENKUlvE_clEvENKUlvE0_clEvEUlffE_EESt5arrayIPcLm3EESD_IN3c1010ScalarTypeELm3EE16OffsetCalculatorILi3EjLb0EEEEvlT_T0_T1_T2_EUlibE_EEviSN_
                                        ; -- End function
	.section	.AMDGPU.csdata,"",@progbits
; Kernel info:
; codeLenInByte = 8676
; NumSgprs: 46
; NumVgprs: 20
; ScratchSize: 0
; MemoryBound: 0
; FloatMode: 240
; IeeeMode: 1
; LDSByteSize: 0 bytes/workgroup (compile time only)
; SGPRBlocks: 5
; VGPRBlocks: 2
; NumSGPRsForWavesPerEU: 46
; NumVGPRsForWavesPerEU: 20
; Occupancy: 16
; WaveLimiterHint : 1
; COMPUTE_PGM_RSRC2:SCRATCH_EN: 0
; COMPUTE_PGM_RSRC2:USER_SGPR: 15
; COMPUTE_PGM_RSRC2:TRAP_HANDLER: 0
; COMPUTE_PGM_RSRC2:TGID_X_EN: 1
; COMPUTE_PGM_RSRC2:TGID_Y_EN: 0
; COMPUTE_PGM_RSRC2:TGID_Z_EN: 0
; COMPUTE_PGM_RSRC2:TIDIG_COMP_CNT: 0
	.section	.text._ZN2at6native32elementwise_kernel_manual_unrollILi128ELi4EZNS0_12_GLOBAL__N_142type_specialized_broadcast_kernel_launcherILi1EE5applyINS0_13BinaryFunctorIfffZZZNS2_32hermite_polynomial_h_kernel_cudaERNS_18TensorIteratorBaseEENKUlvE_clEvENKUlvE0_clEvEUlffE_EESt5arrayIPcLm3EESD_IN3c1010ScalarTypeELm3EE16OffsetCalculatorILi3EjLb0EEEEvlT_T0_T1_T2_EUlibE_EEviSN_,"axG",@progbits,_ZN2at6native32elementwise_kernel_manual_unrollILi128ELi4EZNS0_12_GLOBAL__N_142type_specialized_broadcast_kernel_launcherILi1EE5applyINS0_13BinaryFunctorIfffZZZNS2_32hermite_polynomial_h_kernel_cudaERNS_18TensorIteratorBaseEENKUlvE_clEvENKUlvE0_clEvEUlffE_EESt5arrayIPcLm3EESD_IN3c1010ScalarTypeELm3EE16OffsetCalculatorILi3EjLb0EEEEvlT_T0_T1_T2_EUlibE_EEviSN_,comdat
	.globl	_ZN2at6native32elementwise_kernel_manual_unrollILi128ELi4EZNS0_12_GLOBAL__N_142type_specialized_broadcast_kernel_launcherILi1EE5applyINS0_13BinaryFunctorIfffZZZNS2_32hermite_polynomial_h_kernel_cudaERNS_18TensorIteratorBaseEENKUlvE_clEvENKUlvE0_clEvEUlffE_EESt5arrayIPcLm3EESD_IN3c1010ScalarTypeELm3EE16OffsetCalculatorILi3EjLb0EEEEvlT_T0_T1_T2_EUlibE_EEviSN_ ; -- Begin function _ZN2at6native32elementwise_kernel_manual_unrollILi128ELi4EZNS0_12_GLOBAL__N_142type_specialized_broadcast_kernel_launcherILi1EE5applyINS0_13BinaryFunctorIfffZZZNS2_32hermite_polynomial_h_kernel_cudaERNS_18TensorIteratorBaseEENKUlvE_clEvENKUlvE0_clEvEUlffE_EESt5arrayIPcLm3EESD_IN3c1010ScalarTypeELm3EE16OffsetCalculatorILi3EjLb0EEEEvlT_T0_T1_T2_EUlibE_EEviSN_
	.p2align	8
	.type	_ZN2at6native32elementwise_kernel_manual_unrollILi128ELi4EZNS0_12_GLOBAL__N_142type_specialized_broadcast_kernel_launcherILi1EE5applyINS0_13BinaryFunctorIfffZZZNS2_32hermite_polynomial_h_kernel_cudaERNS_18TensorIteratorBaseEENKUlvE_clEvENKUlvE0_clEvEUlffE_EESt5arrayIPcLm3EESD_IN3c1010ScalarTypeELm3EE16OffsetCalculatorILi3EjLb0EEEEvlT_T0_T1_T2_EUlibE_EEviSN_,@function
_ZN2at6native32elementwise_kernel_manual_unrollILi128ELi4EZNS0_12_GLOBAL__N_142type_specialized_broadcast_kernel_launcherILi1EE5applyINS0_13BinaryFunctorIfffZZZNS2_32hermite_polynomial_h_kernel_cudaERNS_18TensorIteratorBaseEENKUlvE_clEvENKUlvE0_clEvEUlffE_EESt5arrayIPcLm3EESD_IN3c1010ScalarTypeELm3EE16OffsetCalculatorILi3EjLb0EEEEvlT_T0_T1_T2_EUlibE_EEviSN_: ; @_ZN2at6native32elementwise_kernel_manual_unrollILi128ELi4EZNS0_12_GLOBAL__N_142type_specialized_broadcast_kernel_launcherILi1EE5applyINS0_13BinaryFunctorIfffZZZNS2_32hermite_polynomial_h_kernel_cudaERNS_18TensorIteratorBaseEENKUlvE_clEvENKUlvE0_clEvEUlffE_EESt5arrayIPcLm3EESD_IN3c1010ScalarTypeELm3EE16OffsetCalculatorILi3EjLb0EEEEvlT_T0_T1_T2_EUlibE_EEviSN_
; %bb.0:
	s_clause 0x1
	s_load_b32 s22, s[0:1], 0x8
	s_load_b32 s28, s[0:1], 0x0
	v_lshl_or_b32 v7, s15, 9, v0
	s_or_b32 s0, s0, 8
	s_mov_b32 s2, exec_lo
	s_delay_alu instid0(VALU_DEP_1) | instskip(SKIP_2) | instid1(SALU_CYCLE_1)
	v_or_b32_e32 v12, 0x180, v7
	s_waitcnt lgkmcnt(0)
	s_add_i32 s23, s22, -1
	s_cmp_gt_u32 s23, 1
	s_cselect_b32 s24, -1, 0
	v_cmpx_le_i32_e64 s28, v12
	s_xor_b32 s25, exec_lo, s2
	s_cbranch_execz .LBB68_8
; %bb.1:
	s_clause 0x5
	s_load_b128 s[12:15], s[0:1], 0x4
	s_load_b64 s[18:19], s[0:1], 0x14
	s_load_b128 s[8:11], s[0:1], 0xc4
	s_load_b64 s[16:17], s[0:1], 0xd4
	s_load_b64 s[2:3], s[0:1], 0x198
	s_load_b128 s[4:7], s[0:1], 0x188
	s_cmp_lg_u32 s22, 0
	s_mov_b32 s30, exec_lo
	s_cselect_b32 s29, -1, 0
	s_min_u32 s27, s23, 15
	s_cmp_gt_u32 s22, 1
	s_cselect_b32 s26, -1, 0
	v_cmpx_gt_i32_e64 s28, v7
	s_cbranch_execz .LBB68_15
; %bb.2:
	s_and_not1_b32 vcc_lo, exec_lo, s24
	s_cbranch_vccnz .LBB68_105
; %bb.3:
	v_dual_mov_b32 v0, 0 :: v_dual_mov_b32 v1, 0
	v_mov_b32_e32 v2, 0
	s_and_not1_b32 vcc_lo, exec_lo, s29
	s_mov_b32 s31, 0
	s_cbranch_vccnz .LBB68_106
; %bb.4:
	s_add_i32 s20, s27, 1
	v_dual_mov_b32 v2, 0 :: v_dual_mov_b32 v1, 0
	v_dual_mov_b32 v0, 0 :: v_dual_mov_b32 v3, v7
	s_and_b32 s33, s20, 30
	s_add_u32 s20, s0, 0xffffffec
	s_addc_u32 s21, s1, -1
	s_set_inst_prefetch_distance 0x1
	.p2align	6
.LBB68_5:                               ; =>This Inner Loop Header: Depth=1
	s_clause 0x2
	s_load_b128 s[36:39], s[20:21], 0x18
	s_load_b64 s[34:35], s[20:21], 0x28
	s_load_b128 s[40:43], s[20:21], 0xd8
	s_waitcnt lgkmcnt(0)
	v_mul_hi_u32 v4, s37, v3
	s_delay_alu instid0(VALU_DEP_1) | instskip(NEXT) | instid1(VALU_DEP_1)
	v_add_nc_u32_e32 v4, v3, v4
	v_lshrrev_b32_e32 v4, s38, v4
	s_delay_alu instid0(VALU_DEP_1)
	v_mul_hi_u32 v5, s34, v4
	v_mul_lo_u32 v6, v4, s36
	s_load_b64 s[36:37], s[20:21], 0xe8
	s_add_u32 s20, s20, 24
	s_addc_u32 s21, s21, 0
	s_add_i32 s33, s33, -2
	s_delay_alu instid0(SALU_CYCLE_1) | instskip(NEXT) | instid1(VALU_DEP_2)
	s_cmp_lg_u32 s33, 0
	v_add_nc_u32_e32 v5, v4, v5
	s_delay_alu instid0(VALU_DEP_2) | instskip(NEXT) | instid1(VALU_DEP_2)
	v_sub_nc_u32_e32 v6, v3, v6
	v_lshrrev_b32_e32 v3, s35, v5
	s_delay_alu instid0(VALU_DEP_2) | instskip(NEXT) | instid1(VALU_DEP_2)
	v_mul_lo_u32 v8, v6, s40
	v_mul_lo_u32 v5, v3, s39
	s_delay_alu instid0(VALU_DEP_1) | instskip(SKIP_2) | instid1(VALU_DEP_3)
	v_sub_nc_u32_e32 v4, v4, v5
	v_mul_lo_u32 v5, v6, s41
	v_mul_lo_u32 v6, v6, s42
	;; [unrolled: 1-line block ×3, first 2 shown]
	s_waitcnt lgkmcnt(0)
	v_mul_lo_u32 v10, v4, s36
	v_mul_lo_u32 v4, v4, s37
	s_delay_alu instid0(VALU_DEP_3) | instskip(NEXT) | instid1(VALU_DEP_3)
	v_add3_u32 v0, v8, v0, v9
	v_add3_u32 v1, v5, v1, v10
	s_delay_alu instid0(VALU_DEP_3)
	v_add3_u32 v2, v6, v2, v4
	s_cbranch_scc1 .LBB68_5
; %bb.6:
	s_set_inst_prefetch_distance 0x2
	s_bitcmp1_b32 s27, 0
	s_cselect_b32 s33, -1, 0
	s_delay_alu instid0(SALU_CYCLE_1)
	s_and_b32 vcc_lo, exec_lo, s33
	s_cbranch_vccnz .LBB68_106
; %bb.7:
	s_clause 0x3
	s_load_b64 s[34:35], s[20:21], 0x18
	s_load_b32 s33, s[20:21], 0x20
	s_load_b64 s[36:37], s[20:21], 0xd8
	s_load_b32 s20, s[20:21], 0xe0
	s_waitcnt lgkmcnt(0)
	v_mul_hi_u32 v4, s35, v3
	s_delay_alu instid0(VALU_DEP_1) | instskip(NEXT) | instid1(VALU_DEP_1)
	v_add_nc_u32_e32 v4, v3, v4
	v_lshrrev_b32_e32 v4, s33, v4
	s_delay_alu instid0(VALU_DEP_1) | instskip(NEXT) | instid1(VALU_DEP_1)
	v_mul_lo_u32 v4, v4, s34
	v_sub_nc_u32_e32 v8, v3, v4
	s_delay_alu instid0(VALU_DEP_1) | instskip(SKIP_1) | instid1(VALU_DEP_2)
	v_mad_u64_u32 v[3:4], null, v8, s36, v[0:1]
	v_mad_u64_u32 v[4:5], null, v8, s37, v[1:2]
	;; [unrolled: 1-line block ×3, first 2 shown]
	s_delay_alu instid0(VALU_DEP_2) | instskip(NEXT) | instid1(VALU_DEP_2)
	v_dual_mov_b32 v0, v3 :: v_dual_mov_b32 v1, v4
	v_mov_b32_e32 v2, v5
	s_branch .LBB68_106
.LBB68_8:
	s_and_not1_saveexec_b32 s2, s25
	s_cbranch_execz .LBB68_148
.LBB68_9:
	v_cndmask_b32_e64 v10, 0, 1, s24
	s_and_not1_b32 vcc_lo, exec_lo, s24
	s_cbranch_vccnz .LBB68_22
; %bb.10:
	v_dual_mov_b32 v0, 0 :: v_dual_mov_b32 v3, 0
	v_mov_b32_e32 v4, 0
	s_cmp_lg_u32 s22, 0
	s_mov_b32 s4, 0
	s_cbranch_scc0 .LBB68_23
; %bb.11:
	s_min_u32 s5, s23, 15
	v_dual_mov_b32 v4, 0 :: v_dual_mov_b32 v3, 0
	s_add_i32 s2, s5, 1
	v_dual_mov_b32 v0, 0 :: v_dual_mov_b32 v1, v7
	s_and_b32 s6, s2, 30
	s_add_u32 s2, s0, 0xffffffec
	s_addc_u32 s3, s1, -1
	s_set_inst_prefetch_distance 0x1
	.p2align	6
.LBB68_12:                              ; =>This Inner Loop Header: Depth=1
	s_clause 0x2
	s_load_b128 s[8:11], s[2:3], 0x18
	s_load_b64 s[16:17], s[2:3], 0x28
	s_load_b128 s[12:15], s[2:3], 0xd8
	s_waitcnt lgkmcnt(0)
	v_mul_hi_u32 v2, s9, v1
	s_delay_alu instid0(VALU_DEP_1) | instskip(NEXT) | instid1(VALU_DEP_1)
	v_add_nc_u32_e32 v2, v1, v2
	v_lshrrev_b32_e32 v2, s10, v2
	s_delay_alu instid0(VALU_DEP_1)
	v_mul_hi_u32 v5, s16, v2
	v_mul_lo_u32 v6, v2, s8
	s_load_b64 s[8:9], s[2:3], 0xe8
	s_add_u32 s2, s2, 24
	s_addc_u32 s3, s3, 0
	s_add_i32 s6, s6, -2
	s_delay_alu instid0(SALU_CYCLE_1) | instskip(NEXT) | instid1(VALU_DEP_2)
	s_cmp_lg_u32 s6, 0
	v_add_nc_u32_e32 v5, v2, v5
	s_delay_alu instid0(VALU_DEP_2) | instskip(NEXT) | instid1(VALU_DEP_2)
	v_sub_nc_u32_e32 v6, v1, v6
	v_lshrrev_b32_e32 v1, s17, v5
	s_delay_alu instid0(VALU_DEP_2) | instskip(NEXT) | instid1(VALU_DEP_2)
	v_mul_lo_u32 v8, v6, s12
	v_mul_lo_u32 v5, v1, s11
	s_delay_alu instid0(VALU_DEP_1) | instskip(SKIP_2) | instid1(VALU_DEP_3)
	v_sub_nc_u32_e32 v2, v2, v5
	v_mul_lo_u32 v5, v6, s13
	v_mul_lo_u32 v6, v6, s14
	;; [unrolled: 1-line block ×3, first 2 shown]
	s_waitcnt lgkmcnt(0)
	v_mul_lo_u32 v11, v2, s8
	v_mul_lo_u32 v2, v2, s9
	s_delay_alu instid0(VALU_DEP_3) | instskip(NEXT) | instid1(VALU_DEP_3)
	v_add3_u32 v0, v8, v0, v9
	v_add3_u32 v3, v5, v3, v11
	s_delay_alu instid0(VALU_DEP_3)
	v_add3_u32 v4, v6, v4, v2
	s_cbranch_scc1 .LBB68_12
; %bb.13:
	s_set_inst_prefetch_distance 0x2
	s_bitcmp1_b32 s5, 0
	s_cselect_b32 s5, -1, 0
	s_delay_alu instid0(SALU_CYCLE_1)
	s_and_b32 vcc_lo, exec_lo, s5
	s_cbranch_vccnz .LBB68_23
; %bb.14:
	s_clause 0x3
	s_load_b64 s[6:7], s[2:3], 0x18
	s_load_b32 s5, s[2:3], 0x20
	s_load_b64 s[8:9], s[2:3], 0xd8
	s_load_b32 s2, s[2:3], 0xe0
	s_waitcnt lgkmcnt(0)
	v_mul_hi_u32 v2, s7, v1
	s_delay_alu instid0(VALU_DEP_1) | instskip(NEXT) | instid1(VALU_DEP_1)
	v_add_nc_u32_e32 v2, v1, v2
	v_lshrrev_b32_e32 v2, s5, v2
	s_delay_alu instid0(VALU_DEP_1) | instskip(NEXT) | instid1(VALU_DEP_1)
	v_mul_lo_u32 v2, v2, s6
	v_sub_nc_u32_e32 v8, v1, v2
	s_delay_alu instid0(VALU_DEP_1) | instskip(SKIP_1) | instid1(VALU_DEP_2)
	v_mad_u64_u32 v[5:6], null, v8, s9, v[3:4]
	v_mad_u64_u32 v[1:2], null, v8, s8, v[0:1]
	;; [unrolled: 1-line block ×3, first 2 shown]
	s_delay_alu instid0(VALU_DEP_2) | instskip(NEXT) | instid1(VALU_DEP_2)
	v_mov_b32_e32 v0, v1
	v_dual_mov_b32 v3, v5 :: v_dual_mov_b32 v4, v2
	s_branch .LBB68_23
.LBB68_15:
	s_or_b32 exec_lo, exec_lo, s30
	s_delay_alu instid0(SALU_CYCLE_1)
	s_mov_b32 s30, exec_lo
	v_cmpx_gt_i32_e64 s28, v7
	s_cbranch_execz .LBB68_122
.LBB68_16:
	s_and_not1_b32 vcc_lo, exec_lo, s24
	s_cbranch_vccnz .LBB68_129
; %bb.17:
	v_dual_mov_b32 v0, 0 :: v_dual_mov_b32 v1, 0
	v_mov_b32_e32 v2, 0
	s_and_not1_b32 vcc_lo, exec_lo, s29
	s_mov_b32 s31, 0
	s_cbranch_vccnz .LBB68_130
; %bb.18:
	s_add_i32 s20, s27, 1
	v_dual_mov_b32 v2, 0 :: v_dual_mov_b32 v1, 0
	v_dual_mov_b32 v0, 0 :: v_dual_mov_b32 v3, v7
	s_and_b32 s33, s20, 30
	s_add_u32 s20, s0, 0xffffffec
	s_addc_u32 s21, s1, -1
	s_set_inst_prefetch_distance 0x1
	.p2align	6
.LBB68_19:                              ; =>This Inner Loop Header: Depth=1
	s_clause 0x2
	s_load_b128 s[36:39], s[20:21], 0x18
	s_load_b64 s[34:35], s[20:21], 0x28
	s_load_b128 s[40:43], s[20:21], 0xd8
	s_waitcnt lgkmcnt(0)
	v_mul_hi_u32 v4, s37, v3
	s_delay_alu instid0(VALU_DEP_1) | instskip(NEXT) | instid1(VALU_DEP_1)
	v_add_nc_u32_e32 v4, v3, v4
	v_lshrrev_b32_e32 v4, s38, v4
	s_delay_alu instid0(VALU_DEP_1)
	v_mul_hi_u32 v5, s34, v4
	v_mul_lo_u32 v6, v4, s36
	s_load_b64 s[36:37], s[20:21], 0xe8
	s_add_u32 s20, s20, 24
	s_addc_u32 s21, s21, 0
	s_add_i32 s33, s33, -2
	s_delay_alu instid0(SALU_CYCLE_1) | instskip(NEXT) | instid1(VALU_DEP_2)
	s_cmp_eq_u32 s33, 0
	v_add_nc_u32_e32 v5, v4, v5
	s_delay_alu instid0(VALU_DEP_2) | instskip(NEXT) | instid1(VALU_DEP_2)
	v_sub_nc_u32_e32 v6, v3, v6
	v_lshrrev_b32_e32 v3, s35, v5
	s_delay_alu instid0(VALU_DEP_2) | instskip(NEXT) | instid1(VALU_DEP_2)
	v_mul_lo_u32 v8, v6, s40
	v_mul_lo_u32 v5, v3, s39
	s_delay_alu instid0(VALU_DEP_1) | instskip(SKIP_2) | instid1(VALU_DEP_3)
	v_sub_nc_u32_e32 v4, v4, v5
	v_mul_lo_u32 v5, v6, s41
	v_mul_lo_u32 v6, v6, s42
	;; [unrolled: 1-line block ×3, first 2 shown]
	s_waitcnt lgkmcnt(0)
	v_mul_lo_u32 v10, v4, s36
	v_mul_lo_u32 v4, v4, s37
	s_delay_alu instid0(VALU_DEP_3) | instskip(NEXT) | instid1(VALU_DEP_3)
	v_add3_u32 v0, v8, v0, v9
	v_add3_u32 v1, v5, v1, v10
	s_delay_alu instid0(VALU_DEP_3)
	v_add3_u32 v2, v6, v2, v4
	s_cbranch_scc0 .LBB68_19
; %bb.20:
	s_set_inst_prefetch_distance 0x2
	s_bitcmp1_b32 s27, 0
	s_cselect_b32 s33, -1, 0
	s_delay_alu instid0(SALU_CYCLE_1)
	s_and_b32 vcc_lo, exec_lo, s33
	s_cbranch_vccnz .LBB68_130
; %bb.21:
	s_clause 0x3
	s_load_b64 s[34:35], s[20:21], 0x18
	s_load_b32 s33, s[20:21], 0x20
	s_load_b64 s[36:37], s[20:21], 0xd8
	s_load_b32 s20, s[20:21], 0xe0
	s_waitcnt lgkmcnt(0)
	v_mul_hi_u32 v4, s35, v3
	s_delay_alu instid0(VALU_DEP_1) | instskip(NEXT) | instid1(VALU_DEP_1)
	v_add_nc_u32_e32 v4, v3, v4
	v_lshrrev_b32_e32 v4, s33, v4
	s_delay_alu instid0(VALU_DEP_1) | instskip(NEXT) | instid1(VALU_DEP_1)
	v_mul_lo_u32 v4, v4, s34
	v_sub_nc_u32_e32 v8, v3, v4
	s_delay_alu instid0(VALU_DEP_1) | instskip(SKIP_1) | instid1(VALU_DEP_2)
	v_mad_u64_u32 v[3:4], null, v8, s36, v[0:1]
	v_mad_u64_u32 v[4:5], null, v8, s37, v[1:2]
	;; [unrolled: 1-line block ×3, first 2 shown]
	s_delay_alu instid0(VALU_DEP_2) | instskip(NEXT) | instid1(VALU_DEP_2)
	v_dual_mov_b32 v0, v3 :: v_dual_mov_b32 v1, v4
	v_mov_b32_e32 v2, v5
	s_branch .LBB68_130
.LBB68_22:
	s_mov_b32 s4, -1
                                        ; implicit-def: $vgpr0
                                        ; implicit-def: $vgpr3
                                        ; implicit-def: $vgpr4
.LBB68_23:
	s_delay_alu instid0(SALU_CYCLE_1)
	s_and_not1_b32 vcc_lo, exec_lo, s4
	s_cbranch_vccnz .LBB68_26
; %bb.24:
	s_clause 0x1
	s_load_b128 s[4:7], s[0:1], 0x4
	s_load_b128 s[8:11], s[0:1], 0xc4
	s_cmp_lt_u32 s22, 2
	s_waitcnt lgkmcnt(0)
	v_mul_hi_u32 v0, s5, v7
	s_delay_alu instid0(VALU_DEP_1) | instskip(NEXT) | instid1(VALU_DEP_1)
	v_add_nc_u32_e32 v0, v7, v0
	v_lshrrev_b32_e32 v1, s6, v0
	s_delay_alu instid0(VALU_DEP_1) | instskip(NEXT) | instid1(VALU_DEP_1)
	v_mul_lo_u32 v0, v1, s4
	v_sub_nc_u32_e32 v2, v7, v0
	s_delay_alu instid0(VALU_DEP_1)
	v_mul_lo_u32 v0, v2, s8
	v_mul_lo_u32 v3, v2, s9
	;; [unrolled: 1-line block ×3, first 2 shown]
	s_cbranch_scc1 .LBB68_26
; %bb.25:
	s_clause 0x1
	s_load_b128 s[4:7], s[0:1], 0x10
	s_load_b128 s[8:11], s[0:1], 0xd0
	s_waitcnt lgkmcnt(0)
	v_mul_hi_u32 v2, s5, v1
	s_delay_alu instid0(VALU_DEP_1) | instskip(NEXT) | instid1(VALU_DEP_1)
	v_add_nc_u32_e32 v2, v1, v2
	v_lshrrev_b32_e32 v2, s6, v2
	s_delay_alu instid0(VALU_DEP_1) | instskip(NEXT) | instid1(VALU_DEP_1)
	v_mul_lo_u32 v2, v2, s4
	v_sub_nc_u32_e32 v8, v1, v2
	s_delay_alu instid0(VALU_DEP_1) | instskip(SKIP_1) | instid1(VALU_DEP_2)
	v_mad_u64_u32 v[5:6], null, v8, s9, v[3:4]
	v_mad_u64_u32 v[1:2], null, v8, s8, v[0:1]
	;; [unrolled: 1-line block ×3, first 2 shown]
	s_delay_alu instid0(VALU_DEP_2) | instskip(NEXT) | instid1(VALU_DEP_2)
	v_mov_b32_e32 v0, v1
	v_dual_mov_b32 v3, v5 :: v_dual_mov_b32 v4, v2
.LBB68_26:
	v_cmp_ne_u32_e32 vcc_lo, 1, v10
	v_add_nc_u32_e32 v2, 0x80, v7
	s_cbranch_vccnz .LBB68_32
; %bb.27:
	v_dual_mov_b32 v1, 0 :: v_dual_mov_b32 v6, 0
	v_mov_b32_e32 v5, 0
	s_cmp_lg_u32 s22, 0
	s_mov_b32 s4, 0
	s_cbranch_scc0 .LBB68_33
; %bb.28:
	s_min_u32 s5, s23, 15
	v_dual_mov_b32 v6, 0 :: v_dual_mov_b32 v5, 0
	s_add_i32 s2, s5, 1
	v_dual_mov_b32 v1, 0 :: v_dual_mov_b32 v8, v2
	s_and_b32 s6, s2, 30
	s_add_u32 s2, s0, 0xffffffec
	s_addc_u32 s3, s1, -1
	s_set_inst_prefetch_distance 0x1
	.p2align	6
.LBB68_29:                              ; =>This Inner Loop Header: Depth=1
	s_clause 0x2
	s_load_b128 s[8:11], s[2:3], 0x18
	s_load_b64 s[16:17], s[2:3], 0x28
	s_load_b128 s[12:15], s[2:3], 0xd8
	s_waitcnt lgkmcnt(0)
	v_mul_hi_u32 v9, s9, v8
	s_delay_alu instid0(VALU_DEP_1) | instskip(NEXT) | instid1(VALU_DEP_1)
	v_add_nc_u32_e32 v9, v8, v9
	v_lshrrev_b32_e32 v9, s10, v9
	s_delay_alu instid0(VALU_DEP_1)
	v_mul_hi_u32 v11, s16, v9
	v_mul_lo_u32 v13, v9, s8
	s_load_b64 s[8:9], s[2:3], 0xe8
	s_add_u32 s2, s2, 24
	s_addc_u32 s3, s3, 0
	s_add_i32 s6, s6, -2
	s_delay_alu instid0(SALU_CYCLE_1) | instskip(NEXT) | instid1(VALU_DEP_2)
	s_cmp_lg_u32 s6, 0
	v_add_nc_u32_e32 v11, v9, v11
	s_delay_alu instid0(VALU_DEP_2) | instskip(NEXT) | instid1(VALU_DEP_2)
	v_sub_nc_u32_e32 v13, v8, v13
	v_lshrrev_b32_e32 v8, s17, v11
	s_delay_alu instid0(VALU_DEP_2) | instskip(NEXT) | instid1(VALU_DEP_2)
	v_mul_lo_u32 v14, v13, s12
	v_mul_lo_u32 v11, v8, s11
	s_delay_alu instid0(VALU_DEP_1) | instskip(SKIP_2) | instid1(VALU_DEP_3)
	v_sub_nc_u32_e32 v9, v9, v11
	v_mul_lo_u32 v11, v13, s13
	v_mul_lo_u32 v13, v13, s14
	;; [unrolled: 1-line block ×3, first 2 shown]
	s_waitcnt lgkmcnt(0)
	v_mul_lo_u32 v16, v9, s8
	v_mul_lo_u32 v9, v9, s9
	s_delay_alu instid0(VALU_DEP_3) | instskip(NEXT) | instid1(VALU_DEP_3)
	v_add3_u32 v1, v14, v1, v15
	v_add3_u32 v5, v11, v5, v16
	s_delay_alu instid0(VALU_DEP_3)
	v_add3_u32 v6, v13, v6, v9
	s_cbranch_scc1 .LBB68_29
; %bb.30:
	s_set_inst_prefetch_distance 0x2
	s_bitcmp1_b32 s5, 0
	s_cselect_b32 s5, -1, 0
	s_delay_alu instid0(SALU_CYCLE_1)
	s_and_b32 vcc_lo, exec_lo, s5
	s_cbranch_vccnz .LBB68_33
; %bb.31:
	s_clause 0x3
	s_load_b64 s[6:7], s[2:3], 0x18
	s_load_b32 s5, s[2:3], 0x20
	s_load_b64 s[8:9], s[2:3], 0xd8
	s_load_b32 s2, s[2:3], 0xe0
	s_waitcnt lgkmcnt(0)
	v_mul_hi_u32 v9, s7, v8
	s_delay_alu instid0(VALU_DEP_1) | instskip(NEXT) | instid1(VALU_DEP_1)
	v_add_nc_u32_e32 v9, v8, v9
	v_lshrrev_b32_e32 v9, s5, v9
	s_delay_alu instid0(VALU_DEP_1) | instskip(NEXT) | instid1(VALU_DEP_1)
	v_mul_lo_u32 v9, v9, s6
	v_sub_nc_u32_e32 v11, v8, v9
	s_delay_alu instid0(VALU_DEP_1) | instskip(SKIP_2) | instid1(VALU_DEP_3)
	v_mad_u64_u32 v[13:14], null, v11, s9, v[5:6]
	v_mad_u64_u32 v[8:9], null, v11, s8, v[1:2]
	;; [unrolled: 1-line block ×3, first 2 shown]
	v_mov_b32_e32 v5, v13
	s_delay_alu instid0(VALU_DEP_2)
	v_dual_mov_b32 v1, v8 :: v_dual_mov_b32 v6, v14
	s_branch .LBB68_33
.LBB68_32:
	s_mov_b32 s4, -1
                                        ; implicit-def: $vgpr1
                                        ; implicit-def: $vgpr5
                                        ; implicit-def: $vgpr6
.LBB68_33:
	s_delay_alu instid0(SALU_CYCLE_1)
	s_and_not1_b32 vcc_lo, exec_lo, s4
	s_cbranch_vccnz .LBB68_36
; %bb.34:
	s_clause 0x1
	s_load_b128 s[4:7], s[0:1], 0x4
	s_load_b128 s[8:11], s[0:1], 0xc4
	s_cmp_lt_u32 s22, 2
	s_waitcnt lgkmcnt(0)
	v_mul_hi_u32 v1, s5, v2
	s_delay_alu instid0(VALU_DEP_1) | instskip(NEXT) | instid1(VALU_DEP_1)
	v_add_nc_u32_e32 v1, v2, v1
	v_lshrrev_b32_e32 v8, s6, v1
	s_delay_alu instid0(VALU_DEP_1) | instskip(NEXT) | instid1(VALU_DEP_1)
	v_mul_lo_u32 v1, v8, s4
	v_sub_nc_u32_e32 v2, v2, v1
	s_delay_alu instid0(VALU_DEP_1)
	v_mul_lo_u32 v1, v2, s8
	v_mul_lo_u32 v5, v2, s9
	;; [unrolled: 1-line block ×3, first 2 shown]
	s_cbranch_scc1 .LBB68_36
; %bb.35:
	s_clause 0x1
	s_load_b128 s[4:7], s[0:1], 0x10
	s_load_b128 s[8:11], s[0:1], 0xd0
	s_waitcnt lgkmcnt(0)
	v_mul_hi_u32 v2, s5, v8
	s_delay_alu instid0(VALU_DEP_1) | instskip(NEXT) | instid1(VALU_DEP_1)
	v_add_nc_u32_e32 v2, v8, v2
	v_lshrrev_b32_e32 v2, s6, v2
	s_delay_alu instid0(VALU_DEP_1) | instskip(NEXT) | instid1(VALU_DEP_1)
	v_mul_lo_u32 v2, v2, s4
	v_sub_nc_u32_e32 v2, v8, v2
	s_delay_alu instid0(VALU_DEP_1) | instskip(SKIP_2) | instid1(VALU_DEP_3)
	v_mad_u64_u32 v[13:14], null, v2, s9, v[5:6]
	v_mad_u64_u32 v[8:9], null, v2, s8, v[1:2]
	;; [unrolled: 1-line block ×3, first 2 shown]
	v_mov_b32_e32 v5, v13
	s_delay_alu instid0(VALU_DEP_2)
	v_dual_mov_b32 v1, v8 :: v_dual_mov_b32 v6, v14
.LBB68_36:
	v_cmp_ne_u32_e32 vcc_lo, 1, v10
	v_add_nc_u32_e32 v7, 0x100, v7
	s_cbranch_vccnz .LBB68_42
; %bb.37:
	v_dual_mov_b32 v2, 0 :: v_dual_mov_b32 v9, 0
	v_mov_b32_e32 v8, 0
	s_cmp_lg_u32 s22, 0
	s_mov_b32 s4, 0
	s_cbranch_scc0 .LBB68_43
; %bb.38:
	s_min_u32 s5, s23, 15
	v_dual_mov_b32 v9, 0 :: v_dual_mov_b32 v8, 0
	s_add_i32 s2, s5, 1
	v_dual_mov_b32 v2, 0 :: v_dual_mov_b32 v11, v7
	s_and_b32 s6, s2, 30
	s_add_u32 s2, s0, 0xffffffec
	s_addc_u32 s3, s1, -1
	s_set_inst_prefetch_distance 0x1
	.p2align	6
.LBB68_39:                              ; =>This Inner Loop Header: Depth=1
	s_clause 0x2
	s_load_b128 s[8:11], s[2:3], 0x18
	s_load_b64 s[16:17], s[2:3], 0x28
	s_load_b128 s[12:15], s[2:3], 0xd8
	s_waitcnt lgkmcnt(0)
	v_mul_hi_u32 v13, s9, v11
	s_delay_alu instid0(VALU_DEP_1) | instskip(NEXT) | instid1(VALU_DEP_1)
	v_add_nc_u32_e32 v13, v11, v13
	v_lshrrev_b32_e32 v13, s10, v13
	s_delay_alu instid0(VALU_DEP_1)
	v_mul_hi_u32 v14, s16, v13
	v_mul_lo_u32 v15, v13, s8
	s_load_b64 s[8:9], s[2:3], 0xe8
	s_add_u32 s2, s2, 24
	s_addc_u32 s3, s3, 0
	s_add_i32 s6, s6, -2
	s_delay_alu instid0(SALU_CYCLE_1) | instskip(NEXT) | instid1(VALU_DEP_2)
	s_cmp_lg_u32 s6, 0
	v_add_nc_u32_e32 v14, v13, v14
	s_delay_alu instid0(VALU_DEP_2) | instskip(NEXT) | instid1(VALU_DEP_2)
	v_sub_nc_u32_e32 v15, v11, v15
	v_lshrrev_b32_e32 v11, s17, v14
	s_delay_alu instid0(VALU_DEP_2) | instskip(NEXT) | instid1(VALU_DEP_2)
	v_mul_lo_u32 v16, v15, s12
	v_mul_lo_u32 v14, v11, s11
	s_delay_alu instid0(VALU_DEP_1) | instskip(SKIP_2) | instid1(VALU_DEP_3)
	v_sub_nc_u32_e32 v13, v13, v14
	v_mul_lo_u32 v14, v15, s13
	v_mul_lo_u32 v15, v15, s14
	;; [unrolled: 1-line block ×3, first 2 shown]
	s_waitcnt lgkmcnt(0)
	v_mul_lo_u32 v18, v13, s8
	v_mul_lo_u32 v13, v13, s9
	s_delay_alu instid0(VALU_DEP_3) | instskip(NEXT) | instid1(VALU_DEP_3)
	v_add3_u32 v2, v16, v2, v17
	v_add3_u32 v8, v14, v8, v18
	s_delay_alu instid0(VALU_DEP_3)
	v_add3_u32 v9, v15, v9, v13
	s_cbranch_scc1 .LBB68_39
; %bb.40:
	s_set_inst_prefetch_distance 0x2
	s_bitcmp1_b32 s5, 0
	s_cselect_b32 s5, -1, 0
	s_delay_alu instid0(SALU_CYCLE_1)
	s_and_b32 vcc_lo, exec_lo, s5
	s_cbranch_vccnz .LBB68_43
; %bb.41:
	s_clause 0x3
	s_load_b64 s[6:7], s[2:3], 0x18
	s_load_b32 s5, s[2:3], 0x20
	s_load_b64 s[8:9], s[2:3], 0xd8
	s_load_b32 s2, s[2:3], 0xe0
	s_waitcnt lgkmcnt(0)
	v_mul_hi_u32 v13, s7, v11
	s_delay_alu instid0(VALU_DEP_1) | instskip(NEXT) | instid1(VALU_DEP_1)
	v_add_nc_u32_e32 v13, v11, v13
	v_lshrrev_b32_e32 v13, s5, v13
	s_delay_alu instid0(VALU_DEP_1) | instskip(NEXT) | instid1(VALU_DEP_1)
	v_mul_lo_u32 v13, v13, s6
	v_sub_nc_u32_e32 v11, v11, v13
	s_delay_alu instid0(VALU_DEP_1) | instskip(SKIP_2) | instid1(VALU_DEP_3)
	v_mad_u64_u32 v[13:14], null, v11, s8, v[2:3]
	v_mad_u64_u32 v[14:15], null, v11, s9, v[8:9]
	;; [unrolled: 1-line block ×3, first 2 shown]
	v_mov_b32_e32 v2, v13
	s_delay_alu instid0(VALU_DEP_2)
	v_dual_mov_b32 v8, v14 :: v_dual_mov_b32 v9, v15
	s_branch .LBB68_43
.LBB68_42:
	s_mov_b32 s4, -1
                                        ; implicit-def: $vgpr2
                                        ; implicit-def: $vgpr8
                                        ; implicit-def: $vgpr9
.LBB68_43:
	s_delay_alu instid0(SALU_CYCLE_1)
	s_and_not1_b32 vcc_lo, exec_lo, s4
	s_cbranch_vccnz .LBB68_46
; %bb.44:
	s_clause 0x1
	s_load_b128 s[4:7], s[0:1], 0x4
	s_load_b128 s[8:11], s[0:1], 0xc4
	s_cmp_lt_u32 s22, 2
	s_waitcnt lgkmcnt(0)
	v_mul_hi_u32 v2, s5, v7
	s_delay_alu instid0(VALU_DEP_1) | instskip(NEXT) | instid1(VALU_DEP_1)
	v_add_nc_u32_e32 v2, v7, v2
	v_lshrrev_b32_e32 v11, s6, v2
	s_delay_alu instid0(VALU_DEP_1) | instskip(NEXT) | instid1(VALU_DEP_1)
	v_mul_lo_u32 v2, v11, s4
	v_sub_nc_u32_e32 v7, v7, v2
	s_delay_alu instid0(VALU_DEP_1)
	v_mul_lo_u32 v2, v7, s8
	v_mul_lo_u32 v8, v7, s9
	v_mul_lo_u32 v9, v7, s10
	s_cbranch_scc1 .LBB68_46
; %bb.45:
	s_clause 0x1
	s_load_b128 s[4:7], s[0:1], 0x10
	s_load_b128 s[8:11], s[0:1], 0xd0
	s_waitcnt lgkmcnt(0)
	v_mul_hi_u32 v7, s5, v11
	s_delay_alu instid0(VALU_DEP_1) | instskip(NEXT) | instid1(VALU_DEP_1)
	v_add_nc_u32_e32 v7, v11, v7
	v_lshrrev_b32_e32 v7, s6, v7
	s_delay_alu instid0(VALU_DEP_1) | instskip(NEXT) | instid1(VALU_DEP_1)
	v_mul_lo_u32 v7, v7, s4
	v_sub_nc_u32_e32 v11, v11, v7
	s_delay_alu instid0(VALU_DEP_1) | instskip(SKIP_2) | instid1(VALU_DEP_3)
	v_mad_u64_u32 v[13:14], null, v11, s8, v[2:3]
	v_mad_u64_u32 v[14:15], null, v11, s9, v[8:9]
	;; [unrolled: 1-line block ×3, first 2 shown]
	v_mov_b32_e32 v2, v13
	s_delay_alu instid0(VALU_DEP_2)
	v_dual_mov_b32 v8, v14 :: v_dual_mov_b32 v9, v7
.LBB68_46:
	v_cmp_ne_u32_e32 vcc_lo, 1, v10
	s_cbranch_vccnz .LBB68_52
; %bb.47:
	v_dual_mov_b32 v7, 0 :: v_dual_mov_b32 v10, 0
	v_mov_b32_e32 v11, 0
	s_cmp_lg_u32 s22, 0
	s_mov_b32 s4, 0
	s_cbranch_scc0 .LBB68_53
; %bb.48:
	s_min_u32 s5, s23, 15
	v_dual_mov_b32 v11, 0 :: v_dual_mov_b32 v10, 0
	s_add_i32 s2, s5, 1
	v_mov_b32_e32 v7, 0
	v_mov_b32_e32 v13, v12
	s_and_b32 s6, s2, 30
	s_add_u32 s2, s0, 0xffffffec
	s_addc_u32 s3, s1, -1
	s_set_inst_prefetch_distance 0x1
	.p2align	6
.LBB68_49:                              ; =>This Inner Loop Header: Depth=1
	s_clause 0x2
	s_load_b128 s[8:11], s[2:3], 0x18
	s_load_b64 s[16:17], s[2:3], 0x28
	s_load_b128 s[12:15], s[2:3], 0xd8
	s_waitcnt lgkmcnt(0)
	v_mul_hi_u32 v14, s9, v13
	s_delay_alu instid0(VALU_DEP_1) | instskip(NEXT) | instid1(VALU_DEP_1)
	v_add_nc_u32_e32 v14, v13, v14
	v_lshrrev_b32_e32 v14, s10, v14
	s_delay_alu instid0(VALU_DEP_1)
	v_mul_hi_u32 v15, s16, v14
	v_mul_lo_u32 v16, v14, s8
	s_load_b64 s[8:9], s[2:3], 0xe8
	s_add_u32 s2, s2, 24
	s_addc_u32 s3, s3, 0
	s_add_i32 s6, s6, -2
	s_delay_alu instid0(SALU_CYCLE_1) | instskip(NEXT) | instid1(VALU_DEP_2)
	s_cmp_lg_u32 s6, 0
	v_add_nc_u32_e32 v15, v14, v15
	s_delay_alu instid0(VALU_DEP_2) | instskip(NEXT) | instid1(VALU_DEP_2)
	v_sub_nc_u32_e32 v16, v13, v16
	v_lshrrev_b32_e32 v13, s17, v15
	s_delay_alu instid0(VALU_DEP_2) | instskip(NEXT) | instid1(VALU_DEP_2)
	v_mul_lo_u32 v17, v16, s12
	v_mul_lo_u32 v15, v13, s11
	s_delay_alu instid0(VALU_DEP_1) | instskip(SKIP_2) | instid1(VALU_DEP_3)
	v_sub_nc_u32_e32 v14, v14, v15
	v_mul_lo_u32 v15, v16, s13
	v_mul_lo_u32 v16, v16, s14
	;; [unrolled: 1-line block ×3, first 2 shown]
	s_waitcnt lgkmcnt(0)
	v_mul_lo_u32 v19, v14, s8
	v_mul_lo_u32 v14, v14, s9
	s_delay_alu instid0(VALU_DEP_3) | instskip(NEXT) | instid1(VALU_DEP_3)
	v_add3_u32 v7, v17, v7, v18
	v_add3_u32 v10, v15, v10, v19
	s_delay_alu instid0(VALU_DEP_3)
	v_add3_u32 v11, v16, v11, v14
	s_cbranch_scc1 .LBB68_49
; %bb.50:
	s_set_inst_prefetch_distance 0x2
	s_bitcmp1_b32 s5, 0
	s_cselect_b32 s5, -1, 0
	s_delay_alu instid0(SALU_CYCLE_1)
	s_and_b32 vcc_lo, exec_lo, s5
	s_cbranch_vccnz .LBB68_53
; %bb.51:
	s_clause 0x3
	s_load_b64 s[6:7], s[2:3], 0x18
	s_load_b32 s5, s[2:3], 0x20
	s_load_b64 s[8:9], s[2:3], 0xd8
	s_load_b32 s2, s[2:3], 0xe0
	s_waitcnt lgkmcnt(0)
	v_mul_hi_u32 v14, s7, v13
	s_delay_alu instid0(VALU_DEP_1) | instskip(NEXT) | instid1(VALU_DEP_1)
	v_add_nc_u32_e32 v14, v13, v14
	v_lshrrev_b32_e32 v14, s5, v14
	s_delay_alu instid0(VALU_DEP_1) | instskip(NEXT) | instid1(VALU_DEP_1)
	v_mul_lo_u32 v14, v14, s6
	v_sub_nc_u32_e32 v17, v13, v14
	s_delay_alu instid0(VALU_DEP_1) | instskip(SKIP_2) | instid1(VALU_DEP_2)
	v_mad_u64_u32 v[13:14], null, v17, s8, v[7:8]
	v_mad_u64_u32 v[14:15], null, v17, s9, v[10:11]
	;; [unrolled: 1-line block ×3, first 2 shown]
	v_dual_mov_b32 v7, v13 :: v_dual_mov_b32 v10, v14
	s_delay_alu instid0(VALU_DEP_2)
	v_mov_b32_e32 v11, v15
	s_branch .LBB68_53
.LBB68_52:
	s_mov_b32 s4, -1
                                        ; implicit-def: $vgpr7
                                        ; implicit-def: $vgpr10
                                        ; implicit-def: $vgpr11
.LBB68_53:
	s_delay_alu instid0(SALU_CYCLE_1)
	s_and_not1_b32 vcc_lo, exec_lo, s4
	s_cbranch_vccnz .LBB68_56
; %bb.54:
	s_clause 0x1
	s_load_b128 s[4:7], s[0:1], 0x4
	s_load_b128 s[8:11], s[0:1], 0xc4
	s_cmp_lt_u32 s22, 2
	s_waitcnt lgkmcnt(0)
	v_mul_hi_u32 v7, s5, v12
	s_delay_alu instid0(VALU_DEP_1) | instskip(NEXT) | instid1(VALU_DEP_1)
	v_add_nc_u32_e32 v7, v12, v7
	v_lshrrev_b32_e32 v13, s6, v7
	s_delay_alu instid0(VALU_DEP_1) | instskip(NEXT) | instid1(VALU_DEP_1)
	v_mul_lo_u32 v7, v13, s4
	v_sub_nc_u32_e32 v11, v12, v7
	s_delay_alu instid0(VALU_DEP_1)
	v_mul_lo_u32 v7, v11, s8
	v_mul_lo_u32 v10, v11, s9
	;; [unrolled: 1-line block ×3, first 2 shown]
	s_cbranch_scc1 .LBB68_56
; %bb.55:
	s_clause 0x1
	s_load_b128 s[4:7], s[0:1], 0x10
	s_load_b128 s[8:11], s[0:1], 0xd0
	s_waitcnt lgkmcnt(0)
	v_mul_hi_u32 v12, s5, v13
	s_delay_alu instid0(VALU_DEP_1) | instskip(NEXT) | instid1(VALU_DEP_1)
	v_add_nc_u32_e32 v12, v13, v12
	v_lshrrev_b32_e32 v12, s6, v12
	s_delay_alu instid0(VALU_DEP_1) | instskip(NEXT) | instid1(VALU_DEP_1)
	v_mul_lo_u32 v12, v12, s4
	v_sub_nc_u32_e32 v16, v13, v12
	s_delay_alu instid0(VALU_DEP_1) | instskip(SKIP_1) | instid1(VALU_DEP_2)
	v_mad_u64_u32 v[12:13], null, v16, s8, v[7:8]
	v_mad_u64_u32 v[13:14], null, v16, s9, v[10:11]
	;; [unrolled: 1-line block ×3, first 2 shown]
	s_delay_alu instid0(VALU_DEP_2) | instskip(NEXT) | instid1(VALU_DEP_2)
	v_dual_mov_b32 v7, v12 :: v_dual_mov_b32 v10, v13
	v_mov_b32_e32 v11, v14
.LBB68_56:
	s_clause 0x1
	s_load_b64 s[4:5], s[0:1], 0x198
	s_load_b128 s[0:3], s[0:1], 0x188
	s_mov_b32 s8, exec_lo
	s_waitcnt lgkmcnt(0)
	global_load_b32 v4, v4, s[4:5]
	s_waitcnt vmcnt(0)
	v_trunc_f32_e32 v12, v4
	s_delay_alu instid0(VALU_DEP_1) | instskip(NEXT) | instid1(VALU_DEP_1)
	v_mul_f32_e64 v13, 0x2f800000, |v12|
	v_floor_f32_e32 v13, v13
	s_delay_alu instid0(VALU_DEP_1) | instskip(SKIP_2) | instid1(VALU_DEP_3)
	v_fma_f32 v14, 0xcf800000, v13, |v12|
	v_ashrrev_i32_e32 v12, 31, v12
	v_cvt_u32_f32_e32 v13, v13
	v_cvt_u32_f32_e32 v14, v14
	s_delay_alu instid0(VALU_DEP_2) | instskip(NEXT) | instid1(VALU_DEP_2)
	v_xor_b32_e32 v13, v13, v12
	v_xor_b32_e32 v14, v14, v12
	s_delay_alu instid0(VALU_DEP_1) | instskip(NEXT) | instid1(VALU_DEP_3)
	v_sub_co_u32 v14, vcc_lo, v14, v12
	v_sub_co_ci_u32_e32 v12, vcc_lo, v13, v12, vcc_lo
	v_cmp_class_f32_e64 vcc_lo, v4, 0x1f8
	s_delay_alu instid0(VALU_DEP_2) | instskip(SKIP_1) | instid1(VALU_DEP_2)
	v_dual_cndmask_b32 v13, -1, v12 :: v_dual_cndmask_b32 v12, -1, v14
	v_mov_b32_e32 v14, 0
	v_cmpx_lt_i64_e32 -1, v[12:13]
	s_cbranch_execz .LBB68_68
; %bb.57:
	v_mov_b32_e32 v14, 1.0
	s_mov_b32 s9, exec_lo
	v_cmpx_lt_i64_e32 0, v[12:13]
	s_cbranch_execz .LBB68_67
; %bb.58:
	global_load_u16 v3, v3, s[2:3]
                                        ; implicit-def: $vgpr14
	s_mov_b32 s6, exec_lo
	s_waitcnt vmcnt(0)
	v_lshlrev_b32_e32 v3, 16, v3
	v_cmpx_ne_u64_e32 1, v[12:13]
	s_xor_b32 s10, exec_lo, s6
	s_cbranch_execz .LBB68_64
; %bb.59:
	v_mov_b32_e32 v14, 0x7fc00000
	s_mov_b32 s11, exec_lo
	v_cmpx_gt_u64_e32 0x81, v[12:13]
	s_cbranch_execz .LBB68_63
; %bb.60:
	v_add_f32_e32 v15, v3, v3
	v_lshlrev_b64 v[3:4], 1, v[12:13]
	v_mov_b32_e32 v12, 1.0
	s_mov_b64 s[6:7], 2
	s_mov_b32 s12, 0
	v_mov_b32_e32 v14, v15
	.p2align	6
.LBB68_61:                              ; =>This Inner Loop Header: Depth=1
	s_clz_i32_u32 s13, s7
	s_delay_alu instid0(SALU_CYCLE_1) | instskip(NEXT) | instid1(SALU_CYCLE_1)
	s_min_u32 s13, s13, 32
	s_lshl_b64 s[14:15], s[6:7], s13
	s_sub_i32 s13, 32, s13
	s_min_u32 s14, s14, 1
	s_delay_alu instid0(SALU_CYCLE_1) | instskip(SKIP_3) | instid1(SALU_CYCLE_1)
	s_or_b32 s14, s15, s14
	s_add_u32 s6, s6, 2
	v_cvt_f32_u32_e32 v13, s14
	s_addc_u32 s7, s7, 0
	v_cmp_ge_u64_e32 vcc_lo, s[6:7], v[3:4]
	s_delay_alu instid0(VALU_DEP_2) | instskip(SKIP_1) | instid1(VALU_DEP_1)
	v_ldexp_f32 v13, v13, s13
	s_or_b32 s12, vcc_lo, s12
	v_dual_mul_f32 v13, v12, v13 :: v_dual_mov_b32 v12, v14
	s_delay_alu instid0(VALU_DEP_1)
	v_fma_f32 v14, v15, v14, -v13
	s_and_not1_b32 exec_lo, exec_lo, s12
	s_cbranch_execnz .LBB68_61
; %bb.62:
	s_or_b32 exec_lo, exec_lo, s12
.LBB68_63:
	s_delay_alu instid0(SALU_CYCLE_1)
	s_or_b32 exec_lo, exec_lo, s11
                                        ; implicit-def: $vgpr3
.LBB68_64:
	s_and_not1_saveexec_b32 s6, s10
; %bb.65:
	v_add_f32_e32 v14, v3, v3
; %bb.66:
	s_or_b32 exec_lo, exec_lo, s6
.LBB68_67:
	s_delay_alu instid0(SALU_CYCLE_1)
	s_or_b32 exec_lo, exec_lo, s9
.LBB68_68:
	s_delay_alu instid0(SALU_CYCLE_1) | instskip(SKIP_4) | instid1(VALU_DEP_1)
	s_or_b32 exec_lo, exec_lo, s8
	global_load_b32 v3, v6, s[4:5]
	s_mov_b32 s8, exec_lo
	s_waitcnt vmcnt(0)
	v_trunc_f32_e32 v4, v3
	v_mul_f32_e64 v6, 0x2f800000, |v4|
	s_delay_alu instid0(VALU_DEP_1) | instskip(NEXT) | instid1(VALU_DEP_1)
	v_floor_f32_e32 v6, v6
	v_fma_f32 v12, 0xcf800000, v6, |v4|
	v_ashrrev_i32_e32 v4, 31, v4
	v_cvt_u32_f32_e32 v6, v6
	s_delay_alu instid0(VALU_DEP_3) | instskip(NEXT) | instid1(VALU_DEP_2)
	v_cvt_u32_f32_e32 v12, v12
	v_xor_b32_e32 v6, v6, v4
	s_delay_alu instid0(VALU_DEP_2) | instskip(NEXT) | instid1(VALU_DEP_1)
	v_xor_b32_e32 v12, v12, v4
	v_sub_co_u32 v12, vcc_lo, v12, v4
	s_delay_alu instid0(VALU_DEP_3) | instskip(SKIP_2) | instid1(VALU_DEP_3)
	v_sub_co_ci_u32_e32 v4, vcc_lo, v6, v4, vcc_lo
	v_cmp_class_f32_e64 vcc_lo, v3, 0x1f8
	v_mov_b32_e32 v6, 0
	v_cndmask_b32_e32 v4, -1, v4, vcc_lo
	v_cndmask_b32_e32 v3, -1, v12, vcc_lo
	s_delay_alu instid0(VALU_DEP_1)
	v_cmpx_lt_i64_e32 -1, v[3:4]
	s_cbranch_execz .LBB68_80
; %bb.69:
	v_mov_b32_e32 v6, 1.0
	s_mov_b32 s9, exec_lo
	v_cmpx_lt_i64_e32 0, v[3:4]
	s_cbranch_execz .LBB68_79
; %bb.70:
	global_load_u16 v5, v5, s[2:3]
                                        ; implicit-def: $vgpr6
	s_mov_b32 s6, exec_lo
	s_waitcnt vmcnt(0)
	v_lshlrev_b32_e32 v5, 16, v5
	v_cmpx_ne_u64_e32 1, v[3:4]
	s_xor_b32 s10, exec_lo, s6
	s_cbranch_execz .LBB68_76
; %bb.71:
	v_mov_b32_e32 v6, 0x7fc00000
	s_mov_b32 s11, exec_lo
	v_cmpx_gt_u64_e32 0x81, v[3:4]
	s_cbranch_execz .LBB68_75
; %bb.72:
	v_dual_add_f32 v5, v5, v5 :: v_dual_mov_b32 v12, 1.0
	v_lshlrev_b64 v[3:4], 1, v[3:4]
	s_mov_b64 s[6:7], 2
	s_mov_b32 s12, 0
	s_delay_alu instid0(VALU_DEP_2)
	v_mov_b32_e32 v6, v5
	.p2align	6
.LBB68_73:                              ; =>This Inner Loop Header: Depth=1
	s_clz_i32_u32 s13, s7
	s_delay_alu instid0(SALU_CYCLE_1) | instskip(NEXT) | instid1(SALU_CYCLE_1)
	s_min_u32 s13, s13, 32
	s_lshl_b64 s[14:15], s[6:7], s13
	s_sub_i32 s13, 32, s13
	s_min_u32 s14, s14, 1
	s_delay_alu instid0(SALU_CYCLE_1) | instskip(SKIP_3) | instid1(SALU_CYCLE_1)
	s_or_b32 s14, s15, s14
	s_add_u32 s6, s6, 2
	v_cvt_f32_u32_e32 v13, s14
	s_addc_u32 s7, s7, 0
	v_cmp_ge_u64_e32 vcc_lo, s[6:7], v[3:4]
	s_delay_alu instid0(VALU_DEP_2) | instskip(SKIP_1) | instid1(VALU_DEP_1)
	v_ldexp_f32 v13, v13, s13
	s_or_b32 s12, vcc_lo, s12
	v_dual_mul_f32 v13, v12, v13 :: v_dual_mov_b32 v12, v6
	s_delay_alu instid0(VALU_DEP_1)
	v_fma_f32 v6, v5, v6, -v13
	s_and_not1_b32 exec_lo, exec_lo, s12
	s_cbranch_execnz .LBB68_73
; %bb.74:
	s_or_b32 exec_lo, exec_lo, s12
.LBB68_75:
	s_delay_alu instid0(SALU_CYCLE_1)
	s_or_b32 exec_lo, exec_lo, s11
                                        ; implicit-def: $vgpr5
.LBB68_76:
	s_and_not1_saveexec_b32 s6, s10
; %bb.77:
	v_add_f32_e32 v6, v5, v5
; %bb.78:
	s_or_b32 exec_lo, exec_lo, s6
.LBB68_79:
	s_delay_alu instid0(SALU_CYCLE_1)
	s_or_b32 exec_lo, exec_lo, s9
.LBB68_80:
	s_delay_alu instid0(SALU_CYCLE_1) | instskip(SKIP_4) | instid1(VALU_DEP_1)
	s_or_b32 exec_lo, exec_lo, s8
	global_load_b32 v3, v9, s[4:5]
	s_mov_b32 s8, exec_lo
	s_waitcnt vmcnt(0)
	v_trunc_f32_e32 v4, v3
	v_mul_f32_e64 v5, 0x2f800000, |v4|
	s_delay_alu instid0(VALU_DEP_1) | instskip(NEXT) | instid1(VALU_DEP_1)
	v_floor_f32_e32 v5, v5
	v_fma_f32 v9, 0xcf800000, v5, |v4|
	v_ashrrev_i32_e32 v4, 31, v4
	v_cvt_u32_f32_e32 v5, v5
	s_delay_alu instid0(VALU_DEP_3) | instskip(NEXT) | instid1(VALU_DEP_2)
	v_cvt_u32_f32_e32 v9, v9
	v_xor_b32_e32 v5, v5, v4
	s_delay_alu instid0(VALU_DEP_2) | instskip(NEXT) | instid1(VALU_DEP_1)
	v_xor_b32_e32 v9, v9, v4
	v_sub_co_u32 v9, vcc_lo, v9, v4
	s_delay_alu instid0(VALU_DEP_3) | instskip(SKIP_1) | instid1(VALU_DEP_2)
	v_sub_co_ci_u32_e32 v4, vcc_lo, v5, v4, vcc_lo
	v_cmp_class_f32_e64 vcc_lo, v3, 0x1f8
	v_dual_mov_b32 v5, 0 :: v_dual_cndmask_b32 v4, -1, v4
	s_delay_alu instid0(VALU_DEP_4) | instskip(NEXT) | instid1(VALU_DEP_1)
	v_cndmask_b32_e32 v3, -1, v9, vcc_lo
	v_cmpx_lt_i64_e32 -1, v[3:4]
	s_cbranch_execz .LBB68_92
; %bb.81:
	v_mov_b32_e32 v5, 1.0
	s_mov_b32 s9, exec_lo
	v_cmpx_lt_i64_e32 0, v[3:4]
	s_cbranch_execz .LBB68_91
; %bb.82:
	global_load_u16 v5, v8, s[2:3]
	s_mov_b32 s6, exec_lo
	s_waitcnt vmcnt(0)
	v_lshlrev_b32_e32 v8, 16, v5
                                        ; implicit-def: $vgpr5
	v_cmpx_ne_u64_e32 1, v[3:4]
	s_xor_b32 s10, exec_lo, s6
	s_cbranch_execz .LBB68_88
; %bb.83:
	v_mov_b32_e32 v5, 0x7fc00000
	s_mov_b32 s11, exec_lo
	v_cmpx_gt_u64_e32 0x81, v[3:4]
	s_cbranch_execz .LBB68_87
; %bb.84:
	v_dual_add_f32 v8, v8, v8 :: v_dual_mov_b32 v9, 1.0
	v_lshlrev_b64 v[3:4], 1, v[3:4]
	s_mov_b64 s[6:7], 2
	s_mov_b32 s12, 0
	s_delay_alu instid0(VALU_DEP_2)
	v_mov_b32_e32 v5, v8
	.p2align	6
.LBB68_85:                              ; =>This Inner Loop Header: Depth=1
	s_clz_i32_u32 s13, s7
	s_delay_alu instid0(SALU_CYCLE_1) | instskip(NEXT) | instid1(SALU_CYCLE_1)
	s_min_u32 s13, s13, 32
	s_lshl_b64 s[14:15], s[6:7], s13
	s_sub_i32 s13, 32, s13
	s_min_u32 s14, s14, 1
	s_delay_alu instid0(SALU_CYCLE_1) | instskip(SKIP_3) | instid1(SALU_CYCLE_1)
	s_or_b32 s14, s15, s14
	s_add_u32 s6, s6, 2
	v_cvt_f32_u32_e32 v12, s14
	s_addc_u32 s7, s7, 0
	v_cmp_ge_u64_e32 vcc_lo, s[6:7], v[3:4]
	s_delay_alu instid0(VALU_DEP_2) | instskip(SKIP_1) | instid1(VALU_DEP_1)
	v_ldexp_f32 v12, v12, s13
	s_or_b32 s12, vcc_lo, s12
	v_mul_f32_e32 v12, v9, v12
	v_mov_b32_e32 v9, v5
	s_delay_alu instid0(VALU_DEP_2)
	v_fma_f32 v5, v8, v5, -v12
	s_and_not1_b32 exec_lo, exec_lo, s12
	s_cbranch_execnz .LBB68_85
; %bb.86:
	s_or_b32 exec_lo, exec_lo, s12
.LBB68_87:
	s_delay_alu instid0(SALU_CYCLE_1)
	s_or_b32 exec_lo, exec_lo, s11
                                        ; implicit-def: $vgpr8
.LBB68_88:
	s_and_not1_saveexec_b32 s6, s10
; %bb.89:
	v_add_f32_e32 v5, v8, v8
; %bb.90:
	s_or_b32 exec_lo, exec_lo, s6
.LBB68_91:
	s_delay_alu instid0(SALU_CYCLE_1)
	s_or_b32 exec_lo, exec_lo, s9
.LBB68_92:
	s_delay_alu instid0(SALU_CYCLE_1) | instskip(SKIP_4) | instid1(VALU_DEP_1)
	s_or_b32 exec_lo, exec_lo, s8
	global_load_b32 v3, v11, s[4:5]
	s_mov_b32 s4, exec_lo
	s_waitcnt vmcnt(0)
	v_trunc_f32_e32 v4, v3
	v_mul_f32_e64 v8, 0x2f800000, |v4|
	s_delay_alu instid0(VALU_DEP_1) | instskip(NEXT) | instid1(VALU_DEP_1)
	v_floor_f32_e32 v8, v8
	v_fma_f32 v9, 0xcf800000, v8, |v4|
	v_ashrrev_i32_e32 v4, 31, v4
	v_cvt_u32_f32_e32 v8, v8
	s_delay_alu instid0(VALU_DEP_3) | instskip(NEXT) | instid1(VALU_DEP_2)
	v_cvt_u32_f32_e32 v9, v9
	v_xor_b32_e32 v8, v8, v4
	s_delay_alu instid0(VALU_DEP_2) | instskip(NEXT) | instid1(VALU_DEP_1)
	v_xor_b32_e32 v9, v9, v4
	v_sub_co_u32 v9, vcc_lo, v9, v4
	s_delay_alu instid0(VALU_DEP_3) | instskip(SKIP_2) | instid1(VALU_DEP_3)
	v_sub_co_ci_u32_e32 v4, vcc_lo, v8, v4, vcc_lo
	v_cmp_class_f32_e64 vcc_lo, v3, 0x1f8
	v_mov_b32_e32 v8, 0
	v_dual_cndmask_b32 v4, -1, v4 :: v_dual_cndmask_b32 v3, -1, v9
	s_delay_alu instid0(VALU_DEP_1)
	v_cmpx_lt_i64_e32 -1, v[3:4]
	s_cbranch_execz .LBB68_104
; %bb.93:
	v_mov_b32_e32 v8, 1.0
	s_mov_b32 s5, exec_lo
	v_cmpx_lt_i64_e32 0, v[3:4]
	s_cbranch_execz .LBB68_103
; %bb.94:
	global_load_u16 v8, v10, s[2:3]
	s_mov_b32 s2, exec_lo
	s_waitcnt vmcnt(0)
	v_lshlrev_b32_e32 v9, 16, v8
                                        ; implicit-def: $vgpr8
	v_cmpx_ne_u64_e32 1, v[3:4]
	s_xor_b32 s6, exec_lo, s2
	s_cbranch_execz .LBB68_100
; %bb.95:
	v_mov_b32_e32 v8, 0x7fc00000
	s_mov_b32 s7, exec_lo
	v_cmpx_gt_u64_e32 0x81, v[3:4]
	s_cbranch_execz .LBB68_99
; %bb.96:
	v_dual_add_f32 v9, v9, v9 :: v_dual_mov_b32 v10, 1.0
	v_lshlrev_b64 v[3:4], 1, v[3:4]
	s_mov_b64 s[2:3], 2
	s_mov_b32 s8, 0
	s_delay_alu instid0(VALU_DEP_2)
	v_mov_b32_e32 v8, v9
	.p2align	6
.LBB68_97:                              ; =>This Inner Loop Header: Depth=1
	s_clz_i32_u32 s9, s3
	s_delay_alu instid0(SALU_CYCLE_1) | instskip(NEXT) | instid1(SALU_CYCLE_1)
	s_min_u32 s9, s9, 32
	s_lshl_b64 s[10:11], s[2:3], s9
	s_sub_i32 s9, 32, s9
	s_min_u32 s10, s10, 1
	s_delay_alu instid0(SALU_CYCLE_1) | instskip(SKIP_3) | instid1(SALU_CYCLE_1)
	s_or_b32 s10, s11, s10
	s_add_u32 s2, s2, 2
	v_cvt_f32_u32_e32 v11, s10
	s_addc_u32 s3, s3, 0
	v_cmp_ge_u64_e32 vcc_lo, s[2:3], v[3:4]
	s_delay_alu instid0(VALU_DEP_2) | instskip(SKIP_1) | instid1(VALU_DEP_1)
	v_ldexp_f32 v11, v11, s9
	s_or_b32 s8, vcc_lo, s8
	v_dual_mul_f32 v11, v10, v11 :: v_dual_mov_b32 v10, v8
	s_delay_alu instid0(VALU_DEP_1)
	v_fma_f32 v8, v9, v8, -v11
	s_and_not1_b32 exec_lo, exec_lo, s8
	s_cbranch_execnz .LBB68_97
; %bb.98:
	s_or_b32 exec_lo, exec_lo, s8
.LBB68_99:
	s_delay_alu instid0(SALU_CYCLE_1)
	s_or_b32 exec_lo, exec_lo, s7
                                        ; implicit-def: $vgpr9
.LBB68_100:
	s_and_not1_saveexec_b32 s2, s6
; %bb.101:
	v_add_f32_e32 v8, v9, v9
; %bb.102:
	s_or_b32 exec_lo, exec_lo, s2
.LBB68_103:
	s_delay_alu instid0(SALU_CYCLE_1)
	s_or_b32 exec_lo, exec_lo, s5
.LBB68_104:
	s_delay_alu instid0(SALU_CYCLE_1)
	s_or_b32 exec_lo, exec_lo, s4
	s_clause 0x3
	global_store_b32 v0, v14, s[0:1]
	global_store_b32 v1, v6, s[0:1]
	;; [unrolled: 1-line block ×4, first 2 shown]
	s_nop 0
	s_sendmsg sendmsg(MSG_DEALLOC_VGPRS)
	s_endpgm
.LBB68_105:
	s_mov_b32 s31, -1
                                        ; implicit-def: $vgpr0
                                        ; implicit-def: $vgpr1
                                        ; implicit-def: $vgpr2
.LBB68_106:
	s_delay_alu instid0(SALU_CYCLE_1)
	s_and_not1_b32 vcc_lo, exec_lo, s31
	s_cbranch_vccnz .LBB68_109
; %bb.107:
	s_waitcnt lgkmcnt(0)
	v_mul_hi_u32 v0, s13, v7
	s_and_not1_b32 vcc_lo, exec_lo, s26
	s_delay_alu instid0(VALU_DEP_1) | instskip(NEXT) | instid1(VALU_DEP_1)
	v_add_nc_u32_e32 v0, v7, v0
	v_lshrrev_b32_e32 v3, s14, v0
	s_delay_alu instid0(VALU_DEP_1) | instskip(NEXT) | instid1(VALU_DEP_1)
	v_mul_lo_u32 v0, v3, s12
	v_sub_nc_u32_e32 v2, v7, v0
	s_delay_alu instid0(VALU_DEP_1)
	v_mul_lo_u32 v0, v2, s8
	v_mul_lo_u32 v1, v2, s9
	;; [unrolled: 1-line block ×3, first 2 shown]
	s_cbranch_vccnz .LBB68_109
; %bb.108:
	v_mul_hi_u32 v4, s18, v3
	s_delay_alu instid0(VALU_DEP_1) | instskip(NEXT) | instid1(VALU_DEP_1)
	v_add_nc_u32_e32 v4, v3, v4
	v_lshrrev_b32_e32 v4, s19, v4
	s_delay_alu instid0(VALU_DEP_1) | instskip(NEXT) | instid1(VALU_DEP_1)
	v_mul_lo_u32 v4, v4, s15
	v_sub_nc_u32_e32 v8, v3, v4
	s_delay_alu instid0(VALU_DEP_1) | instskip(SKIP_1) | instid1(VALU_DEP_2)
	v_mad_u64_u32 v[3:4], null, v8, s11, v[0:1]
	v_mad_u64_u32 v[4:5], null, v8, s16, v[1:2]
	;; [unrolled: 1-line block ×3, first 2 shown]
	s_delay_alu instid0(VALU_DEP_2) | instskip(NEXT) | instid1(VALU_DEP_2)
	v_dual_mov_b32 v0, v3 :: v_dual_mov_b32 v1, v4
	v_mov_b32_e32 v2, v5
.LBB68_109:
	s_waitcnt lgkmcnt(0)
	global_load_b32 v2, v2, s[2:3]
	s_mov_b32 s31, exec_lo
	s_waitcnt vmcnt(0)
	v_trunc_f32_e32 v3, v2
	s_delay_alu instid0(VALU_DEP_1) | instskip(NEXT) | instid1(VALU_DEP_1)
	v_mul_f32_e64 v4, 0x2f800000, |v3|
	v_floor_f32_e32 v4, v4
	s_delay_alu instid0(VALU_DEP_1) | instskip(SKIP_2) | instid1(VALU_DEP_3)
	v_fma_f32 v5, 0xcf800000, v4, |v3|
	v_ashrrev_i32_e32 v3, 31, v3
	v_cvt_u32_f32_e32 v4, v4
	v_cvt_u32_f32_e32 v5, v5
	s_delay_alu instid0(VALU_DEP_2) | instskip(NEXT) | instid1(VALU_DEP_2)
	v_xor_b32_e32 v4, v4, v3
	v_xor_b32_e32 v5, v5, v3
	s_delay_alu instid0(VALU_DEP_1) | instskip(NEXT) | instid1(VALU_DEP_3)
	v_sub_co_u32 v5, vcc_lo, v5, v3
	v_sub_co_ci_u32_e32 v3, vcc_lo, v4, v3, vcc_lo
	v_cmp_class_f32_e64 vcc_lo, v2, 0x1f8
	s_delay_alu instid0(VALU_DEP_2) | instskip(NEXT) | instid1(VALU_DEP_4)
	v_dual_mov_b32 v4, 0 :: v_dual_cndmask_b32 v3, -1, v3
	v_cndmask_b32_e32 v2, -1, v5, vcc_lo
	s_delay_alu instid0(VALU_DEP_1)
	v_cmpx_lt_i64_e32 -1, v[2:3]
	s_cbranch_execz .LBB68_121
; %bb.110:
	v_mov_b32_e32 v4, 1.0
	s_mov_b32 s33, exec_lo
	v_cmpx_lt_i64_e32 0, v[2:3]
	s_cbranch_execz .LBB68_120
; %bb.111:
	global_load_u16 v1, v1, s[6:7]
                                        ; implicit-def: $vgpr4
	s_mov_b32 s20, exec_lo
	s_waitcnt vmcnt(0)
	v_lshlrev_b32_e32 v1, 16, v1
	v_cmpx_ne_u64_e32 1, v[2:3]
	s_xor_b32 s34, exec_lo, s20
	s_cbranch_execz .LBB68_117
; %bb.112:
	v_mov_b32_e32 v4, 0x7fc00000
	s_mov_b32 s35, exec_lo
	v_cmpx_gt_u64_e32 0x81, v[2:3]
	s_cbranch_execz .LBB68_116
; %bb.113:
	v_add_f32_e32 v5, v1, v1
	v_lshlrev_b64 v[1:2], 1, v[2:3]
	v_mov_b32_e32 v3, 1.0
	s_mov_b64 s[20:21], 2
	s_mov_b32 s36, 0
	v_mov_b32_e32 v4, v5
	.p2align	6
.LBB68_114:                             ; =>This Inner Loop Header: Depth=1
	s_clz_i32_u32 s37, s21
	s_delay_alu instid0(SALU_CYCLE_1) | instskip(NEXT) | instid1(SALU_CYCLE_1)
	s_min_u32 s37, s37, 32
	s_lshl_b64 s[38:39], s[20:21], s37
	s_sub_i32 s37, 32, s37
	s_min_u32 s38, s38, 1
	s_delay_alu instid0(SALU_CYCLE_1) | instskip(SKIP_3) | instid1(SALU_CYCLE_1)
	s_or_b32 s38, s39, s38
	s_add_u32 s20, s20, 2
	v_cvt_f32_u32_e32 v6, s38
	s_addc_u32 s21, s21, 0
	v_cmp_ge_u64_e32 vcc_lo, s[20:21], v[1:2]
	s_delay_alu instid0(VALU_DEP_2) | instskip(SKIP_1) | instid1(VALU_DEP_1)
	v_ldexp_f32 v6, v6, s37
	s_or_b32 s36, vcc_lo, s36
	v_dual_mul_f32 v6, v3, v6 :: v_dual_mov_b32 v3, v4
	s_delay_alu instid0(VALU_DEP_1)
	v_fma_f32 v4, v5, v4, -v6
	s_and_not1_b32 exec_lo, exec_lo, s36
	s_cbranch_execnz .LBB68_114
; %bb.115:
	s_or_b32 exec_lo, exec_lo, s36
.LBB68_116:
	s_delay_alu instid0(SALU_CYCLE_1)
	s_or_b32 exec_lo, exec_lo, s35
                                        ; implicit-def: $vgpr1
.LBB68_117:
	s_and_not1_saveexec_b32 s20, s34
; %bb.118:
	v_add_f32_e32 v4, v1, v1
; %bb.119:
	s_or_b32 exec_lo, exec_lo, s20
.LBB68_120:
	s_delay_alu instid0(SALU_CYCLE_1)
	s_or_b32 exec_lo, exec_lo, s33
.LBB68_121:
	s_delay_alu instid0(SALU_CYCLE_1) | instskip(SKIP_3) | instid1(SALU_CYCLE_1)
	s_or_b32 exec_lo, exec_lo, s31
	v_add_nc_u32_e32 v7, 0x80, v7
	global_store_b32 v0, v4, s[4:5]
	s_or_b32 exec_lo, exec_lo, s30
	s_mov_b32 s30, exec_lo
	v_cmpx_gt_i32_e64 s28, v7
	s_cbranch_execnz .LBB68_16
.LBB68_122:
	s_or_b32 exec_lo, exec_lo, s30
	s_delay_alu instid0(SALU_CYCLE_1)
	s_mov_b32 s30, exec_lo
	v_cmpx_gt_i32_e64 s28, v7
	s_cbranch_execz .LBB68_146
.LBB68_123:
	s_and_not1_b32 vcc_lo, exec_lo, s24
	s_cbranch_vccnz .LBB68_149
; %bb.124:
	v_dual_mov_b32 v0, 0 :: v_dual_mov_b32 v1, 0
	v_mov_b32_e32 v2, 0
	s_and_not1_b32 vcc_lo, exec_lo, s29
	s_mov_b32 s31, 0
	s_cbranch_vccnz .LBB68_150
; %bb.125:
	s_add_i32 s20, s27, 1
	v_dual_mov_b32 v2, 0 :: v_dual_mov_b32 v1, 0
	v_dual_mov_b32 v0, 0 :: v_dual_mov_b32 v3, v7
	s_and_b32 s33, s20, 30
	s_add_u32 s20, s0, 0xffffffec
	s_addc_u32 s21, s1, -1
	s_set_inst_prefetch_distance 0x1
	.p2align	6
.LBB68_126:                             ; =>This Inner Loop Header: Depth=1
	s_clause 0x2
	s_load_b128 s[36:39], s[20:21], 0x18
	s_load_b64 s[34:35], s[20:21], 0x28
	s_load_b128 s[40:43], s[20:21], 0xd8
	s_waitcnt lgkmcnt(0)
	v_mul_hi_u32 v4, s37, v3
	s_delay_alu instid0(VALU_DEP_1) | instskip(NEXT) | instid1(VALU_DEP_1)
	v_add_nc_u32_e32 v4, v3, v4
	v_lshrrev_b32_e32 v4, s38, v4
	s_delay_alu instid0(VALU_DEP_1)
	v_mul_hi_u32 v5, s34, v4
	v_mul_lo_u32 v6, v4, s36
	s_load_b64 s[36:37], s[20:21], 0xe8
	s_add_u32 s20, s20, 24
	s_addc_u32 s21, s21, 0
	s_add_i32 s33, s33, -2
	s_delay_alu instid0(SALU_CYCLE_1) | instskip(NEXT) | instid1(VALU_DEP_2)
	s_cmp_eq_u32 s33, 0
	v_add_nc_u32_e32 v5, v4, v5
	s_delay_alu instid0(VALU_DEP_2) | instskip(NEXT) | instid1(VALU_DEP_2)
	v_sub_nc_u32_e32 v6, v3, v6
	v_lshrrev_b32_e32 v3, s35, v5
	s_delay_alu instid0(VALU_DEP_2) | instskip(NEXT) | instid1(VALU_DEP_2)
	v_mul_lo_u32 v8, v6, s40
	v_mul_lo_u32 v5, v3, s39
	s_delay_alu instid0(VALU_DEP_1) | instskip(SKIP_2) | instid1(VALU_DEP_3)
	v_sub_nc_u32_e32 v4, v4, v5
	v_mul_lo_u32 v5, v6, s41
	v_mul_lo_u32 v6, v6, s42
	;; [unrolled: 1-line block ×3, first 2 shown]
	s_waitcnt lgkmcnt(0)
	v_mul_lo_u32 v10, v4, s36
	v_mul_lo_u32 v4, v4, s37
	s_delay_alu instid0(VALU_DEP_3) | instskip(NEXT) | instid1(VALU_DEP_3)
	v_add3_u32 v0, v8, v0, v9
	v_add3_u32 v1, v5, v1, v10
	s_delay_alu instid0(VALU_DEP_3)
	v_add3_u32 v2, v6, v2, v4
	s_cbranch_scc0 .LBB68_126
; %bb.127:
	s_set_inst_prefetch_distance 0x2
	s_bitcmp1_b32 s27, 0
	s_cselect_b32 s33, -1, 0
	s_delay_alu instid0(SALU_CYCLE_1)
	s_and_b32 vcc_lo, exec_lo, s33
	s_cbranch_vccnz .LBB68_150
; %bb.128:
	s_clause 0x3
	s_load_b64 s[34:35], s[20:21], 0x18
	s_load_b32 s33, s[20:21], 0x20
	s_load_b64 s[36:37], s[20:21], 0xd8
	s_load_b32 s20, s[20:21], 0xe0
	s_waitcnt lgkmcnt(0)
	v_mul_hi_u32 v4, s35, v3
	s_delay_alu instid0(VALU_DEP_1) | instskip(NEXT) | instid1(VALU_DEP_1)
	v_add_nc_u32_e32 v4, v3, v4
	v_lshrrev_b32_e32 v4, s33, v4
	s_delay_alu instid0(VALU_DEP_1) | instskip(NEXT) | instid1(VALU_DEP_1)
	v_mul_lo_u32 v4, v4, s34
	v_sub_nc_u32_e32 v8, v3, v4
	s_delay_alu instid0(VALU_DEP_1) | instskip(SKIP_1) | instid1(VALU_DEP_2)
	v_mad_u64_u32 v[3:4], null, v8, s36, v[0:1]
	v_mad_u64_u32 v[4:5], null, v8, s37, v[1:2]
	;; [unrolled: 1-line block ×3, first 2 shown]
	s_delay_alu instid0(VALU_DEP_2) | instskip(NEXT) | instid1(VALU_DEP_2)
	v_dual_mov_b32 v0, v3 :: v_dual_mov_b32 v1, v4
	v_mov_b32_e32 v2, v5
	s_branch .LBB68_150
.LBB68_129:
	s_mov_b32 s31, -1
                                        ; implicit-def: $vgpr0
                                        ; implicit-def: $vgpr1
                                        ; implicit-def: $vgpr2
.LBB68_130:
	s_delay_alu instid0(SALU_CYCLE_1)
	s_and_not1_b32 vcc_lo, exec_lo, s31
	s_cbranch_vccnz .LBB68_133
; %bb.131:
	s_waitcnt lgkmcnt(0)
	v_mul_hi_u32 v0, s13, v7
	s_and_not1_b32 vcc_lo, exec_lo, s26
	s_delay_alu instid0(VALU_DEP_1) | instskip(NEXT) | instid1(VALU_DEP_1)
	v_add_nc_u32_e32 v0, v7, v0
	v_lshrrev_b32_e32 v3, s14, v0
	s_delay_alu instid0(VALU_DEP_1) | instskip(NEXT) | instid1(VALU_DEP_1)
	v_mul_lo_u32 v0, v3, s12
	v_sub_nc_u32_e32 v2, v7, v0
	s_delay_alu instid0(VALU_DEP_1)
	v_mul_lo_u32 v0, v2, s8
	v_mul_lo_u32 v1, v2, s9
	;; [unrolled: 1-line block ×3, first 2 shown]
	s_cbranch_vccnz .LBB68_133
; %bb.132:
	v_mul_hi_u32 v4, s18, v3
	s_delay_alu instid0(VALU_DEP_1) | instskip(NEXT) | instid1(VALU_DEP_1)
	v_add_nc_u32_e32 v4, v3, v4
	v_lshrrev_b32_e32 v4, s19, v4
	s_delay_alu instid0(VALU_DEP_1) | instskip(NEXT) | instid1(VALU_DEP_1)
	v_mul_lo_u32 v4, v4, s15
	v_sub_nc_u32_e32 v8, v3, v4
	s_delay_alu instid0(VALU_DEP_1) | instskip(SKIP_1) | instid1(VALU_DEP_2)
	v_mad_u64_u32 v[3:4], null, v8, s11, v[0:1]
	v_mad_u64_u32 v[4:5], null, v8, s16, v[1:2]
	;; [unrolled: 1-line block ×3, first 2 shown]
	s_delay_alu instid0(VALU_DEP_2) | instskip(NEXT) | instid1(VALU_DEP_2)
	v_dual_mov_b32 v0, v3 :: v_dual_mov_b32 v1, v4
	v_mov_b32_e32 v2, v5
.LBB68_133:
	s_waitcnt lgkmcnt(0)
	global_load_b32 v2, v2, s[2:3]
	s_mov_b32 s31, exec_lo
	s_waitcnt vmcnt(0)
	v_trunc_f32_e32 v3, v2
	s_delay_alu instid0(VALU_DEP_1) | instskip(NEXT) | instid1(VALU_DEP_1)
	v_mul_f32_e64 v4, 0x2f800000, |v3|
	v_floor_f32_e32 v4, v4
	s_delay_alu instid0(VALU_DEP_1) | instskip(SKIP_2) | instid1(VALU_DEP_3)
	v_fma_f32 v5, 0xcf800000, v4, |v3|
	v_ashrrev_i32_e32 v3, 31, v3
	v_cvt_u32_f32_e32 v4, v4
	v_cvt_u32_f32_e32 v5, v5
	s_delay_alu instid0(VALU_DEP_2) | instskip(NEXT) | instid1(VALU_DEP_2)
	v_xor_b32_e32 v4, v4, v3
	v_xor_b32_e32 v5, v5, v3
	s_delay_alu instid0(VALU_DEP_1) | instskip(NEXT) | instid1(VALU_DEP_3)
	v_sub_co_u32 v5, vcc_lo, v5, v3
	v_sub_co_ci_u32_e32 v3, vcc_lo, v4, v3, vcc_lo
	v_cmp_class_f32_e64 vcc_lo, v2, 0x1f8
	s_delay_alu instid0(VALU_DEP_2) | instskip(NEXT) | instid1(VALU_DEP_4)
	v_dual_mov_b32 v4, 0 :: v_dual_cndmask_b32 v3, -1, v3
	v_cndmask_b32_e32 v2, -1, v5, vcc_lo
	s_delay_alu instid0(VALU_DEP_1)
	v_cmpx_lt_i64_e32 -1, v[2:3]
	s_cbranch_execz .LBB68_145
; %bb.134:
	v_mov_b32_e32 v4, 1.0
	s_mov_b32 s33, exec_lo
	v_cmpx_lt_i64_e32 0, v[2:3]
	s_cbranch_execz .LBB68_144
; %bb.135:
	global_load_u16 v1, v1, s[6:7]
                                        ; implicit-def: $vgpr4
	s_mov_b32 s20, exec_lo
	s_waitcnt vmcnt(0)
	v_lshlrev_b32_e32 v1, 16, v1
	v_cmpx_ne_u64_e32 1, v[2:3]
	s_xor_b32 s34, exec_lo, s20
	s_cbranch_execz .LBB68_141
; %bb.136:
	v_mov_b32_e32 v4, 0x7fc00000
	s_mov_b32 s35, exec_lo
	v_cmpx_gt_u64_e32 0x81, v[2:3]
	s_cbranch_execz .LBB68_140
; %bb.137:
	v_add_f32_e32 v5, v1, v1
	v_lshlrev_b64 v[1:2], 1, v[2:3]
	v_mov_b32_e32 v3, 1.0
	s_mov_b64 s[20:21], 2
	s_mov_b32 s36, 0
	v_mov_b32_e32 v4, v5
	.p2align	6
.LBB68_138:                             ; =>This Inner Loop Header: Depth=1
	s_clz_i32_u32 s37, s21
	s_delay_alu instid0(SALU_CYCLE_1) | instskip(NEXT) | instid1(SALU_CYCLE_1)
	s_min_u32 s37, s37, 32
	s_lshl_b64 s[38:39], s[20:21], s37
	s_sub_i32 s37, 32, s37
	s_min_u32 s38, s38, 1
	s_delay_alu instid0(SALU_CYCLE_1) | instskip(SKIP_3) | instid1(SALU_CYCLE_1)
	s_or_b32 s38, s39, s38
	s_add_u32 s20, s20, 2
	v_cvt_f32_u32_e32 v6, s38
	s_addc_u32 s21, s21, 0
	v_cmp_ge_u64_e32 vcc_lo, s[20:21], v[1:2]
	s_delay_alu instid0(VALU_DEP_2) | instskip(SKIP_1) | instid1(VALU_DEP_1)
	v_ldexp_f32 v6, v6, s37
	s_or_b32 s36, vcc_lo, s36
	v_dual_mul_f32 v6, v3, v6 :: v_dual_mov_b32 v3, v4
	s_delay_alu instid0(VALU_DEP_1)
	v_fma_f32 v4, v5, v4, -v6
	s_and_not1_b32 exec_lo, exec_lo, s36
	s_cbranch_execnz .LBB68_138
; %bb.139:
	s_or_b32 exec_lo, exec_lo, s36
.LBB68_140:
	s_delay_alu instid0(SALU_CYCLE_1)
	s_or_b32 exec_lo, exec_lo, s35
                                        ; implicit-def: $vgpr1
.LBB68_141:
	s_and_not1_saveexec_b32 s20, s34
; %bb.142:
	v_add_f32_e32 v4, v1, v1
; %bb.143:
	s_or_b32 exec_lo, exec_lo, s20
.LBB68_144:
	s_delay_alu instid0(SALU_CYCLE_1)
	s_or_b32 exec_lo, exec_lo, s33
.LBB68_145:
	s_delay_alu instid0(SALU_CYCLE_1) | instskip(SKIP_3) | instid1(SALU_CYCLE_1)
	s_or_b32 exec_lo, exec_lo, s31
	v_add_nc_u32_e32 v7, 0x80, v7
	global_store_b32 v0, v4, s[4:5]
	s_or_b32 exec_lo, exec_lo, s30
	s_mov_b32 s30, exec_lo
	v_cmpx_gt_i32_e64 s28, v7
	s_cbranch_execnz .LBB68_123
.LBB68_146:
	s_or_b32 exec_lo, exec_lo, s30
	v_cmp_gt_i32_e32 vcc_lo, s28, v7
	s_and_saveexec_b32 s28, vcc_lo
	s_cbranch_execnz .LBB68_166
.LBB68_147:
	s_or_b32 exec_lo, exec_lo, s28
                                        ; implicit-def: $vgpr12
                                        ; implicit-def: $vgpr7
	s_waitcnt lgkmcnt(0)
	s_and_not1_saveexec_b32 s2, s25
	s_cbranch_execnz .LBB68_9
.LBB68_148:
	s_nop 0
	s_sendmsg sendmsg(MSG_DEALLOC_VGPRS)
	s_endpgm
.LBB68_149:
	s_mov_b32 s31, -1
                                        ; implicit-def: $vgpr0
                                        ; implicit-def: $vgpr1
                                        ; implicit-def: $vgpr2
.LBB68_150:
	s_delay_alu instid0(SALU_CYCLE_1)
	s_and_not1_b32 vcc_lo, exec_lo, s31
	s_cbranch_vccnz .LBB68_153
; %bb.151:
	s_waitcnt lgkmcnt(0)
	v_mul_hi_u32 v0, s13, v7
	s_and_not1_b32 vcc_lo, exec_lo, s26
	s_delay_alu instid0(VALU_DEP_1) | instskip(NEXT) | instid1(VALU_DEP_1)
	v_add_nc_u32_e32 v0, v7, v0
	v_lshrrev_b32_e32 v3, s14, v0
	s_delay_alu instid0(VALU_DEP_1) | instskip(NEXT) | instid1(VALU_DEP_1)
	v_mul_lo_u32 v0, v3, s12
	v_sub_nc_u32_e32 v2, v7, v0
	s_delay_alu instid0(VALU_DEP_1)
	v_mul_lo_u32 v0, v2, s8
	v_mul_lo_u32 v1, v2, s9
	;; [unrolled: 1-line block ×3, first 2 shown]
	s_cbranch_vccnz .LBB68_153
; %bb.152:
	v_mul_hi_u32 v4, s18, v3
	s_delay_alu instid0(VALU_DEP_1) | instskip(NEXT) | instid1(VALU_DEP_1)
	v_add_nc_u32_e32 v4, v3, v4
	v_lshrrev_b32_e32 v4, s19, v4
	s_delay_alu instid0(VALU_DEP_1) | instskip(NEXT) | instid1(VALU_DEP_1)
	v_mul_lo_u32 v4, v4, s15
	v_sub_nc_u32_e32 v8, v3, v4
	s_delay_alu instid0(VALU_DEP_1) | instskip(SKIP_1) | instid1(VALU_DEP_2)
	v_mad_u64_u32 v[3:4], null, v8, s11, v[0:1]
	v_mad_u64_u32 v[4:5], null, v8, s16, v[1:2]
	;; [unrolled: 1-line block ×3, first 2 shown]
	s_delay_alu instid0(VALU_DEP_2) | instskip(NEXT) | instid1(VALU_DEP_2)
	v_dual_mov_b32 v0, v3 :: v_dual_mov_b32 v1, v4
	v_mov_b32_e32 v2, v5
.LBB68_153:
	s_waitcnt lgkmcnt(0)
	global_load_b32 v2, v2, s[2:3]
	s_mov_b32 s31, exec_lo
	s_waitcnt vmcnt(0)
	v_trunc_f32_e32 v3, v2
	s_delay_alu instid0(VALU_DEP_1) | instskip(NEXT) | instid1(VALU_DEP_1)
	v_mul_f32_e64 v4, 0x2f800000, |v3|
	v_floor_f32_e32 v4, v4
	s_delay_alu instid0(VALU_DEP_1) | instskip(SKIP_2) | instid1(VALU_DEP_3)
	v_fma_f32 v5, 0xcf800000, v4, |v3|
	v_ashrrev_i32_e32 v3, 31, v3
	v_cvt_u32_f32_e32 v4, v4
	v_cvt_u32_f32_e32 v5, v5
	s_delay_alu instid0(VALU_DEP_2) | instskip(NEXT) | instid1(VALU_DEP_2)
	v_xor_b32_e32 v4, v4, v3
	v_xor_b32_e32 v5, v5, v3
	s_delay_alu instid0(VALU_DEP_1) | instskip(NEXT) | instid1(VALU_DEP_3)
	v_sub_co_u32 v5, vcc_lo, v5, v3
	v_sub_co_ci_u32_e32 v3, vcc_lo, v4, v3, vcc_lo
	v_cmp_class_f32_e64 vcc_lo, v2, 0x1f8
	s_delay_alu instid0(VALU_DEP_2) | instskip(NEXT) | instid1(VALU_DEP_4)
	v_dual_mov_b32 v4, 0 :: v_dual_cndmask_b32 v3, -1, v3
	v_cndmask_b32_e32 v2, -1, v5, vcc_lo
	s_delay_alu instid0(VALU_DEP_1)
	v_cmpx_lt_i64_e32 -1, v[2:3]
	s_cbranch_execz .LBB68_165
; %bb.154:
	v_mov_b32_e32 v4, 1.0
	s_mov_b32 s33, exec_lo
	v_cmpx_lt_i64_e32 0, v[2:3]
	s_cbranch_execz .LBB68_164
; %bb.155:
	global_load_u16 v1, v1, s[6:7]
                                        ; implicit-def: $vgpr4
	s_mov_b32 s20, exec_lo
	s_waitcnt vmcnt(0)
	v_lshlrev_b32_e32 v1, 16, v1
	v_cmpx_ne_u64_e32 1, v[2:3]
	s_xor_b32 s34, exec_lo, s20
	s_cbranch_execz .LBB68_161
; %bb.156:
	v_mov_b32_e32 v4, 0x7fc00000
	s_mov_b32 s35, exec_lo
	v_cmpx_gt_u64_e32 0x81, v[2:3]
	s_cbranch_execz .LBB68_160
; %bb.157:
	v_add_f32_e32 v5, v1, v1
	v_lshlrev_b64 v[1:2], 1, v[2:3]
	v_mov_b32_e32 v3, 1.0
	s_mov_b64 s[20:21], 2
	s_mov_b32 s36, 0
	v_mov_b32_e32 v4, v5
	.p2align	6
.LBB68_158:                             ; =>This Inner Loop Header: Depth=1
	s_clz_i32_u32 s37, s21
	s_delay_alu instid0(SALU_CYCLE_1) | instskip(NEXT) | instid1(SALU_CYCLE_1)
	s_min_u32 s37, s37, 32
	s_lshl_b64 s[38:39], s[20:21], s37
	s_sub_i32 s37, 32, s37
	s_min_u32 s38, s38, 1
	s_delay_alu instid0(SALU_CYCLE_1) | instskip(SKIP_3) | instid1(SALU_CYCLE_1)
	s_or_b32 s38, s39, s38
	s_add_u32 s20, s20, 2
	v_cvt_f32_u32_e32 v6, s38
	s_addc_u32 s21, s21, 0
	v_cmp_ge_u64_e32 vcc_lo, s[20:21], v[1:2]
	s_delay_alu instid0(VALU_DEP_2) | instskip(SKIP_1) | instid1(VALU_DEP_1)
	v_ldexp_f32 v6, v6, s37
	s_or_b32 s36, vcc_lo, s36
	v_dual_mul_f32 v6, v3, v6 :: v_dual_mov_b32 v3, v4
	s_delay_alu instid0(VALU_DEP_1)
	v_fma_f32 v4, v5, v4, -v6
	s_and_not1_b32 exec_lo, exec_lo, s36
	s_cbranch_execnz .LBB68_158
; %bb.159:
	s_or_b32 exec_lo, exec_lo, s36
.LBB68_160:
	s_delay_alu instid0(SALU_CYCLE_1)
	s_or_b32 exec_lo, exec_lo, s35
                                        ; implicit-def: $vgpr1
.LBB68_161:
	s_and_not1_saveexec_b32 s20, s34
; %bb.162:
	v_add_f32_e32 v4, v1, v1
; %bb.163:
	s_or_b32 exec_lo, exec_lo, s20
.LBB68_164:
	s_delay_alu instid0(SALU_CYCLE_1)
	s_or_b32 exec_lo, exec_lo, s33
.LBB68_165:
	s_delay_alu instid0(SALU_CYCLE_1)
	s_or_b32 exec_lo, exec_lo, s31
	v_add_nc_u32_e32 v7, 0x80, v7
	global_store_b32 v0, v4, s[4:5]
	s_or_b32 exec_lo, exec_lo, s30
	v_cmp_gt_i32_e32 vcc_lo, s28, v7
	s_and_saveexec_b32 s28, vcc_lo
	s_cbranch_execz .LBB68_147
.LBB68_166:
	s_and_not1_b32 vcc_lo, exec_lo, s24
	s_cbranch_vccnz .LBB68_172
; %bb.167:
	v_dual_mov_b32 v0, 0 :: v_dual_mov_b32 v1, 0
	v_mov_b32_e32 v2, 0
	s_and_not1_b32 vcc_lo, exec_lo, s29
	s_mov_b32 s29, 0
	s_cbranch_vccnz .LBB68_173
; %bb.168:
	s_add_i32 s20, s27, 1
	v_dual_mov_b32 v2, 0 :: v_dual_mov_b32 v1, 0
	v_dual_mov_b32 v0, 0 :: v_dual_mov_b32 v3, v7
	s_and_b32 s30, s20, 30
	s_add_u32 s20, s0, 0xffffffec
	s_addc_u32 s21, s1, -1
	s_set_inst_prefetch_distance 0x1
	.p2align	6
.LBB68_169:                             ; =>This Inner Loop Header: Depth=1
	s_clause 0x2
	s_load_b128 s[36:39], s[20:21], 0x18
	s_load_b64 s[34:35], s[20:21], 0x28
	s_load_b128 s[40:43], s[20:21], 0xd8
	s_waitcnt lgkmcnt(0)
	v_mul_hi_u32 v4, s37, v3
	s_delay_alu instid0(VALU_DEP_1) | instskip(NEXT) | instid1(VALU_DEP_1)
	v_add_nc_u32_e32 v4, v3, v4
	v_lshrrev_b32_e32 v4, s38, v4
	s_delay_alu instid0(VALU_DEP_1)
	v_mul_hi_u32 v5, s34, v4
	v_mul_lo_u32 v6, v4, s36
	s_load_b64 s[36:37], s[20:21], 0xe8
	s_add_u32 s20, s20, 24
	s_addc_u32 s21, s21, 0
	s_add_i32 s30, s30, -2
	s_delay_alu instid0(SALU_CYCLE_1) | instskip(NEXT) | instid1(VALU_DEP_2)
	s_cmp_eq_u32 s30, 0
	v_add_nc_u32_e32 v5, v4, v5
	s_delay_alu instid0(VALU_DEP_2) | instskip(NEXT) | instid1(VALU_DEP_2)
	v_sub_nc_u32_e32 v6, v3, v6
	v_lshrrev_b32_e32 v3, s35, v5
	s_delay_alu instid0(VALU_DEP_2) | instskip(NEXT) | instid1(VALU_DEP_2)
	v_mul_lo_u32 v8, v6, s40
	v_mul_lo_u32 v5, v3, s39
	s_delay_alu instid0(VALU_DEP_1) | instskip(SKIP_2) | instid1(VALU_DEP_3)
	v_sub_nc_u32_e32 v4, v4, v5
	v_mul_lo_u32 v5, v6, s41
	v_mul_lo_u32 v6, v6, s42
	;; [unrolled: 1-line block ×3, first 2 shown]
	s_waitcnt lgkmcnt(0)
	v_mul_lo_u32 v10, v4, s36
	v_mul_lo_u32 v4, v4, s37
	s_delay_alu instid0(VALU_DEP_3) | instskip(NEXT) | instid1(VALU_DEP_3)
	v_add3_u32 v0, v8, v0, v9
	v_add3_u32 v1, v5, v1, v10
	s_delay_alu instid0(VALU_DEP_3)
	v_add3_u32 v2, v6, v2, v4
	s_cbranch_scc0 .LBB68_169
; %bb.170:
	s_set_inst_prefetch_distance 0x2
	s_bitcmp1_b32 s27, 0
	s_cselect_b32 s27, -1, 0
	s_delay_alu instid0(SALU_CYCLE_1)
	s_and_b32 vcc_lo, exec_lo, s27
	s_cbranch_vccnz .LBB68_173
; %bb.171:
	s_clause 0x3
	s_load_b64 s[30:31], s[20:21], 0x18
	s_load_b32 s27, s[20:21], 0x20
	s_load_b64 s[34:35], s[20:21], 0xd8
	s_load_b32 s20, s[20:21], 0xe0
	s_waitcnt lgkmcnt(0)
	v_mul_hi_u32 v4, s31, v3
	s_delay_alu instid0(VALU_DEP_1) | instskip(NEXT) | instid1(VALU_DEP_1)
	v_add_nc_u32_e32 v4, v3, v4
	v_lshrrev_b32_e32 v4, s27, v4
	s_delay_alu instid0(VALU_DEP_1) | instskip(NEXT) | instid1(VALU_DEP_1)
	v_mul_lo_u32 v4, v4, s30
	v_sub_nc_u32_e32 v8, v3, v4
	s_delay_alu instid0(VALU_DEP_1) | instskip(SKIP_1) | instid1(VALU_DEP_2)
	v_mad_u64_u32 v[3:4], null, v8, s34, v[0:1]
	v_mad_u64_u32 v[4:5], null, v8, s35, v[1:2]
	;; [unrolled: 1-line block ×3, first 2 shown]
	s_delay_alu instid0(VALU_DEP_2) | instskip(NEXT) | instid1(VALU_DEP_2)
	v_dual_mov_b32 v0, v3 :: v_dual_mov_b32 v1, v4
	v_mov_b32_e32 v2, v5
	s_branch .LBB68_173
.LBB68_172:
	s_mov_b32 s29, -1
                                        ; implicit-def: $vgpr0
                                        ; implicit-def: $vgpr1
                                        ; implicit-def: $vgpr2
.LBB68_173:
	s_delay_alu instid0(SALU_CYCLE_1)
	s_and_not1_b32 vcc_lo, exec_lo, s29
	s_cbranch_vccnz .LBB68_176
; %bb.174:
	s_waitcnt lgkmcnt(0)
	v_mul_hi_u32 v0, s13, v7
	s_and_not1_b32 vcc_lo, exec_lo, s26
	s_delay_alu instid0(VALU_DEP_1) | instskip(NEXT) | instid1(VALU_DEP_1)
	v_add_nc_u32_e32 v0, v7, v0
	v_lshrrev_b32_e32 v3, s14, v0
	s_delay_alu instid0(VALU_DEP_1) | instskip(NEXT) | instid1(VALU_DEP_1)
	v_mul_lo_u32 v0, v3, s12
	v_sub_nc_u32_e32 v2, v7, v0
	s_delay_alu instid0(VALU_DEP_1)
	v_mul_lo_u32 v0, v2, s8
	v_mul_lo_u32 v1, v2, s9
	;; [unrolled: 1-line block ×3, first 2 shown]
	s_cbranch_vccnz .LBB68_176
; %bb.175:
	v_mul_hi_u32 v4, s18, v3
	s_delay_alu instid0(VALU_DEP_1) | instskip(NEXT) | instid1(VALU_DEP_1)
	v_add_nc_u32_e32 v4, v3, v4
	v_lshrrev_b32_e32 v4, s19, v4
	s_delay_alu instid0(VALU_DEP_1) | instskip(NEXT) | instid1(VALU_DEP_1)
	v_mul_lo_u32 v4, v4, s15
	v_sub_nc_u32_e32 v7, v3, v4
	s_delay_alu instid0(VALU_DEP_1) | instskip(SKIP_1) | instid1(VALU_DEP_2)
	v_mad_u64_u32 v[3:4], null, v7, s11, v[0:1]
	v_mad_u64_u32 v[4:5], null, v7, s16, v[1:2]
	;; [unrolled: 1-line block ×3, first 2 shown]
	s_delay_alu instid0(VALU_DEP_2) | instskip(NEXT) | instid1(VALU_DEP_2)
	v_dual_mov_b32 v0, v3 :: v_dual_mov_b32 v1, v4
	v_mov_b32_e32 v2, v5
.LBB68_176:
	s_waitcnt lgkmcnt(0)
	global_load_b32 v2, v2, s[2:3]
	s_mov_b32 s8, exec_lo
	s_waitcnt vmcnt(0)
	v_trunc_f32_e32 v3, v2
	s_delay_alu instid0(VALU_DEP_1) | instskip(NEXT) | instid1(VALU_DEP_1)
	v_mul_f32_e64 v4, 0x2f800000, |v3|
	v_floor_f32_e32 v4, v4
	s_delay_alu instid0(VALU_DEP_1) | instskip(SKIP_2) | instid1(VALU_DEP_3)
	v_fma_f32 v5, 0xcf800000, v4, |v3|
	v_ashrrev_i32_e32 v3, 31, v3
	v_cvt_u32_f32_e32 v4, v4
	v_cvt_u32_f32_e32 v5, v5
	s_delay_alu instid0(VALU_DEP_2) | instskip(NEXT) | instid1(VALU_DEP_2)
	v_xor_b32_e32 v4, v4, v3
	v_xor_b32_e32 v5, v5, v3
	s_delay_alu instid0(VALU_DEP_1) | instskip(NEXT) | instid1(VALU_DEP_3)
	v_sub_co_u32 v5, vcc_lo, v5, v3
	v_sub_co_ci_u32_e32 v3, vcc_lo, v4, v3, vcc_lo
	v_cmp_class_f32_e64 vcc_lo, v2, 0x1f8
	s_delay_alu instid0(VALU_DEP_2) | instskip(NEXT) | instid1(VALU_DEP_4)
	v_dual_mov_b32 v4, 0 :: v_dual_cndmask_b32 v3, -1, v3
	v_cndmask_b32_e32 v2, -1, v5, vcc_lo
	s_delay_alu instid0(VALU_DEP_1)
	v_cmpx_lt_i64_e32 -1, v[2:3]
	s_cbranch_execz .LBB68_188
; %bb.177:
	v_mov_b32_e32 v4, 1.0
	s_mov_b32 s9, exec_lo
	v_cmpx_lt_i64_e32 0, v[2:3]
	s_cbranch_execz .LBB68_187
; %bb.178:
	global_load_u16 v1, v1, s[6:7]
                                        ; implicit-def: $vgpr4
	s_mov_b32 s2, exec_lo
	s_waitcnt vmcnt(0)
	v_lshlrev_b32_e32 v1, 16, v1
	v_cmpx_ne_u64_e32 1, v[2:3]
	s_xor_b32 s6, exec_lo, s2
	s_cbranch_execz .LBB68_184
; %bb.179:
	v_mov_b32_e32 v4, 0x7fc00000
	s_mov_b32 s7, exec_lo
	v_cmpx_gt_u64_e32 0x81, v[2:3]
	s_cbranch_execz .LBB68_183
; %bb.180:
	v_add_f32_e32 v5, v1, v1
	v_lshlrev_b64 v[1:2], 1, v[2:3]
	v_mov_b32_e32 v3, 1.0
	s_mov_b64 s[2:3], 2
	s_mov_b32 s10, 0
	v_mov_b32_e32 v4, v5
	.p2align	6
.LBB68_181:                             ; =>This Inner Loop Header: Depth=1
	s_clz_i32_u32 s11, s3
	s_delay_alu instid0(SALU_CYCLE_1) | instskip(NEXT) | instid1(SALU_CYCLE_1)
	s_min_u32 s11, s11, 32
	s_lshl_b64 s[12:13], s[2:3], s11
	s_sub_i32 s11, 32, s11
	s_min_u32 s12, s12, 1
	s_delay_alu instid0(SALU_CYCLE_1) | instskip(SKIP_3) | instid1(SALU_CYCLE_1)
	s_or_b32 s12, s13, s12
	s_add_u32 s2, s2, 2
	v_cvt_f32_u32_e32 v6, s12
	s_addc_u32 s3, s3, 0
	v_cmp_ge_u64_e32 vcc_lo, s[2:3], v[1:2]
	s_delay_alu instid0(VALU_DEP_2) | instskip(SKIP_1) | instid1(VALU_DEP_1)
	v_ldexp_f32 v6, v6, s11
	s_or_b32 s10, vcc_lo, s10
	v_dual_mul_f32 v6, v3, v6 :: v_dual_mov_b32 v3, v4
	s_delay_alu instid0(VALU_DEP_1)
	v_fma_f32 v4, v5, v4, -v6
	s_and_not1_b32 exec_lo, exec_lo, s10
	s_cbranch_execnz .LBB68_181
; %bb.182:
	s_or_b32 exec_lo, exec_lo, s10
.LBB68_183:
	s_delay_alu instid0(SALU_CYCLE_1)
	s_or_b32 exec_lo, exec_lo, s7
                                        ; implicit-def: $vgpr1
.LBB68_184:
	s_and_not1_saveexec_b32 s2, s6
; %bb.185:
	v_add_f32_e32 v4, v1, v1
; %bb.186:
	s_or_b32 exec_lo, exec_lo, s2
.LBB68_187:
	s_delay_alu instid0(SALU_CYCLE_1)
	s_or_b32 exec_lo, exec_lo, s9
.LBB68_188:
	s_delay_alu instid0(SALU_CYCLE_1)
	s_or_b32 exec_lo, exec_lo, s8
	global_store_b32 v0, v4, s[4:5]
	s_or_b32 exec_lo, exec_lo, s28
                                        ; implicit-def: $vgpr12
                                        ; implicit-def: $vgpr7
	s_and_not1_saveexec_b32 s2, s25
	s_cbranch_execz .LBB68_148
	s_branch .LBB68_9
	.section	.rodata,"a",@progbits
	.p2align	6, 0x0
	.amdhsa_kernel _ZN2at6native32elementwise_kernel_manual_unrollILi128ELi4EZNS0_12_GLOBAL__N_142type_specialized_broadcast_kernel_launcherILi1EE5applyINS0_13BinaryFunctorIfffZZZNS2_32hermite_polynomial_h_kernel_cudaERNS_18TensorIteratorBaseEENKUlvE_clEvENKUlvE0_clEvEUlffE_EESt5arrayIPcLm3EESD_IN3c1010ScalarTypeELm3EE16OffsetCalculatorILi3EjLb0EEEEvlT_T0_T1_T2_EUlibE_EEviSN_
		.amdhsa_group_segment_fixed_size 0
		.amdhsa_private_segment_fixed_size 0
		.amdhsa_kernarg_size 432
		.amdhsa_user_sgpr_count 15
		.amdhsa_user_sgpr_dispatch_ptr 0
		.amdhsa_user_sgpr_queue_ptr 0
		.amdhsa_user_sgpr_kernarg_segment_ptr 1
		.amdhsa_user_sgpr_dispatch_id 0
		.amdhsa_user_sgpr_private_segment_size 0
		.amdhsa_wavefront_size32 1
		.amdhsa_uses_dynamic_stack 0
		.amdhsa_enable_private_segment 0
		.amdhsa_system_sgpr_workgroup_id_x 1
		.amdhsa_system_sgpr_workgroup_id_y 0
		.amdhsa_system_sgpr_workgroup_id_z 0
		.amdhsa_system_sgpr_workgroup_info 0
		.amdhsa_system_vgpr_workitem_id 0
		.amdhsa_next_free_vgpr 20
		.amdhsa_next_free_sgpr 44
		.amdhsa_reserve_vcc 1
		.amdhsa_float_round_mode_32 0
		.amdhsa_float_round_mode_16_64 0
		.amdhsa_float_denorm_mode_32 3
		.amdhsa_float_denorm_mode_16_64 3
		.amdhsa_dx10_clamp 1
		.amdhsa_ieee_mode 1
		.amdhsa_fp16_overflow 0
		.amdhsa_workgroup_processor_mode 1
		.amdhsa_memory_ordered 1
		.amdhsa_forward_progress 0
		.amdhsa_shared_vgpr_count 0
		.amdhsa_exception_fp_ieee_invalid_op 0
		.amdhsa_exception_fp_denorm_src 0
		.amdhsa_exception_fp_ieee_div_zero 0
		.amdhsa_exception_fp_ieee_overflow 0
		.amdhsa_exception_fp_ieee_underflow 0
		.amdhsa_exception_fp_ieee_inexact 0
		.amdhsa_exception_int_div_zero 0
	.end_amdhsa_kernel
	.section	.text._ZN2at6native32elementwise_kernel_manual_unrollILi128ELi4EZNS0_12_GLOBAL__N_142type_specialized_broadcast_kernel_launcherILi1EE5applyINS0_13BinaryFunctorIfffZZZNS2_32hermite_polynomial_h_kernel_cudaERNS_18TensorIteratorBaseEENKUlvE_clEvENKUlvE0_clEvEUlffE_EESt5arrayIPcLm3EESD_IN3c1010ScalarTypeELm3EE16OffsetCalculatorILi3EjLb0EEEEvlT_T0_T1_T2_EUlibE_EEviSN_,"axG",@progbits,_ZN2at6native32elementwise_kernel_manual_unrollILi128ELi4EZNS0_12_GLOBAL__N_142type_specialized_broadcast_kernel_launcherILi1EE5applyINS0_13BinaryFunctorIfffZZZNS2_32hermite_polynomial_h_kernel_cudaERNS_18TensorIteratorBaseEENKUlvE_clEvENKUlvE0_clEvEUlffE_EESt5arrayIPcLm3EESD_IN3c1010ScalarTypeELm3EE16OffsetCalculatorILi3EjLb0EEEEvlT_T0_T1_T2_EUlibE_EEviSN_,comdat
.Lfunc_end68:
	.size	_ZN2at6native32elementwise_kernel_manual_unrollILi128ELi4EZNS0_12_GLOBAL__N_142type_specialized_broadcast_kernel_launcherILi1EE5applyINS0_13BinaryFunctorIfffZZZNS2_32hermite_polynomial_h_kernel_cudaERNS_18TensorIteratorBaseEENKUlvE_clEvENKUlvE0_clEvEUlffE_EESt5arrayIPcLm3EESD_IN3c1010ScalarTypeELm3EE16OffsetCalculatorILi3EjLb0EEEEvlT_T0_T1_T2_EUlibE_EEviSN_, .Lfunc_end68-_ZN2at6native32elementwise_kernel_manual_unrollILi128ELi4EZNS0_12_GLOBAL__N_142type_specialized_broadcast_kernel_launcherILi1EE5applyINS0_13BinaryFunctorIfffZZZNS2_32hermite_polynomial_h_kernel_cudaERNS_18TensorIteratorBaseEENKUlvE_clEvENKUlvE0_clEvEUlffE_EESt5arrayIPcLm3EESD_IN3c1010ScalarTypeELm3EE16OffsetCalculatorILi3EjLb0EEEEvlT_T0_T1_T2_EUlibE_EEviSN_
                                        ; -- End function
	.section	.AMDGPU.csdata,"",@progbits
; Kernel info:
; codeLenInByte = 8568
; NumSgprs: 46
; NumVgprs: 20
; ScratchSize: 0
; MemoryBound: 0
; FloatMode: 240
; IeeeMode: 1
; LDSByteSize: 0 bytes/workgroup (compile time only)
; SGPRBlocks: 5
; VGPRBlocks: 2
; NumSGPRsForWavesPerEU: 46
; NumVGPRsForWavesPerEU: 20
; Occupancy: 16
; WaveLimiterHint : 1
; COMPUTE_PGM_RSRC2:SCRATCH_EN: 0
; COMPUTE_PGM_RSRC2:USER_SGPR: 15
; COMPUTE_PGM_RSRC2:TRAP_HANDLER: 0
; COMPUTE_PGM_RSRC2:TGID_X_EN: 1
; COMPUTE_PGM_RSRC2:TGID_Y_EN: 0
; COMPUTE_PGM_RSRC2:TGID_Z_EN: 0
; COMPUTE_PGM_RSRC2:TIDIG_COMP_CNT: 0
	.section	.text._ZN2at6native32elementwise_kernel_manual_unrollILi128ELi4EZNS0_12_GLOBAL__N_142type_specialized_broadcast_kernel_launcherILi2EE5applyINS0_13BinaryFunctorIfffZZZNS2_32hermite_polynomial_h_kernel_cudaERNS_18TensorIteratorBaseEENKUlvE_clEvENKUlvE0_clEvEUlffE_EESt5arrayIPcLm3EESD_IN3c1010ScalarTypeELm3EE16OffsetCalculatorILi3EjLb0EEEEvlT_T0_T1_T2_EUlibE_EEviSN_,"axG",@progbits,_ZN2at6native32elementwise_kernel_manual_unrollILi128ELi4EZNS0_12_GLOBAL__N_142type_specialized_broadcast_kernel_launcherILi2EE5applyINS0_13BinaryFunctorIfffZZZNS2_32hermite_polynomial_h_kernel_cudaERNS_18TensorIteratorBaseEENKUlvE_clEvENKUlvE0_clEvEUlffE_EESt5arrayIPcLm3EESD_IN3c1010ScalarTypeELm3EE16OffsetCalculatorILi3EjLb0EEEEvlT_T0_T1_T2_EUlibE_EEviSN_,comdat
	.globl	_ZN2at6native32elementwise_kernel_manual_unrollILi128ELi4EZNS0_12_GLOBAL__N_142type_specialized_broadcast_kernel_launcherILi2EE5applyINS0_13BinaryFunctorIfffZZZNS2_32hermite_polynomial_h_kernel_cudaERNS_18TensorIteratorBaseEENKUlvE_clEvENKUlvE0_clEvEUlffE_EESt5arrayIPcLm3EESD_IN3c1010ScalarTypeELm3EE16OffsetCalculatorILi3EjLb0EEEEvlT_T0_T1_T2_EUlibE_EEviSN_ ; -- Begin function _ZN2at6native32elementwise_kernel_manual_unrollILi128ELi4EZNS0_12_GLOBAL__N_142type_specialized_broadcast_kernel_launcherILi2EE5applyINS0_13BinaryFunctorIfffZZZNS2_32hermite_polynomial_h_kernel_cudaERNS_18TensorIteratorBaseEENKUlvE_clEvENKUlvE0_clEvEUlffE_EESt5arrayIPcLm3EESD_IN3c1010ScalarTypeELm3EE16OffsetCalculatorILi3EjLb0EEEEvlT_T0_T1_T2_EUlibE_EEviSN_
	.p2align	8
	.type	_ZN2at6native32elementwise_kernel_manual_unrollILi128ELi4EZNS0_12_GLOBAL__N_142type_specialized_broadcast_kernel_launcherILi2EE5applyINS0_13BinaryFunctorIfffZZZNS2_32hermite_polynomial_h_kernel_cudaERNS_18TensorIteratorBaseEENKUlvE_clEvENKUlvE0_clEvEUlffE_EESt5arrayIPcLm3EESD_IN3c1010ScalarTypeELm3EE16OffsetCalculatorILi3EjLb0EEEEvlT_T0_T1_T2_EUlibE_EEviSN_,@function
_ZN2at6native32elementwise_kernel_manual_unrollILi128ELi4EZNS0_12_GLOBAL__N_142type_specialized_broadcast_kernel_launcherILi2EE5applyINS0_13BinaryFunctorIfffZZZNS2_32hermite_polynomial_h_kernel_cudaERNS_18TensorIteratorBaseEENKUlvE_clEvENKUlvE0_clEvEUlffE_EESt5arrayIPcLm3EESD_IN3c1010ScalarTypeELm3EE16OffsetCalculatorILi3EjLb0EEEEvlT_T0_T1_T2_EUlibE_EEviSN_: ; @_ZN2at6native32elementwise_kernel_manual_unrollILi128ELi4EZNS0_12_GLOBAL__N_142type_specialized_broadcast_kernel_launcherILi2EE5applyINS0_13BinaryFunctorIfffZZZNS2_32hermite_polynomial_h_kernel_cudaERNS_18TensorIteratorBaseEENKUlvE_clEvENKUlvE0_clEvEUlffE_EESt5arrayIPcLm3EESD_IN3c1010ScalarTypeELm3EE16OffsetCalculatorILi3EjLb0EEEEvlT_T0_T1_T2_EUlibE_EEviSN_
; %bb.0:
	s_clause 0x1
	s_load_b32 s22, s[0:1], 0x8
	s_load_b32 s28, s[0:1], 0x0
	v_lshl_or_b32 v6, s15, 9, v0
	s_or_b32 s0, s0, 8
	s_mov_b32 s8, 0
                                        ; implicit-def: $vgpr3_vgpr4
                                        ; implicit-def: $vgpr8
	s_mov_b32 s2, exec_lo
	s_delay_alu instid0(VALU_DEP_1) | instskip(SKIP_2) | instid1(SALU_CYCLE_1)
	v_or_b32_e32 v12, 0x180, v6
	s_waitcnt lgkmcnt(0)
	s_add_i32 s23, s22, -1
	s_cmp_gt_u32 s23, 1
	s_cselect_b32 s24, -1, 0
	v_cmpx_le_i32_e64 s28, v12
	s_xor_b32 s25, exec_lo, s2
	s_cbranch_execnz .LBB69_4
; %bb.1:
	s_and_not1_saveexec_b32 s9, s25
	s_cbranch_execnz .LBB69_101
.LBB69_2:
	s_or_b32 exec_lo, exec_lo, s9
	s_and_saveexec_b32 s0, s8
	s_cbranch_execnz .LBB69_190
.LBB69_3:
	s_nop 0
	s_sendmsg sendmsg(MSG_DEALLOC_VGPRS)
	s_endpgm
.LBB69_4:
	s_clause 0x5
	s_load_b128 s[12:15], s[0:1], 0x4
	s_load_b64 s[18:19], s[0:1], 0x14
	s_load_b128 s[8:11], s[0:1], 0xc4
	s_load_b64 s[16:17], s[0:1], 0xd4
	s_load_b64 s[2:3], s[0:1], 0x198
	s_load_b128 s[4:7], s[0:1], 0x188
	s_cmp_lg_u32 s22, 0
	s_mov_b32 s30, exec_lo
	s_cselect_b32 s29, -1, 0
	s_min_u32 s27, s23, 15
	s_cmp_gt_u32 s22, 1
	s_cselect_b32 s26, -1, 0
	v_cmpx_gt_i32_e64 s28, v6
	s_cbranch_execnz .LBB69_7
; %bb.5:
	s_or_b32 exec_lo, exec_lo, s30
	s_delay_alu instid0(SALU_CYCLE_1)
	s_mov_b32 s30, exec_lo
	v_cmpx_gt_i32_e64 s28, v6
	s_cbranch_execnz .LBB69_30
.LBB69_6:
	s_or_b32 exec_lo, exec_lo, s30
	s_delay_alu instid0(SALU_CYCLE_1)
	s_mov_b32 s30, exec_lo
	v_cmpx_gt_i32_e64 s28, v6
	s_cbranch_execnz .LBB69_53
	s_branch .LBB69_76
.LBB69_7:
	s_and_not1_b32 vcc_lo, exec_lo, s24
	s_cbranch_vccnz .LBB69_13
; %bb.8:
	v_dual_mov_b32 v0, 0 :: v_dual_mov_b32 v1, 0
	v_mov_b32_e32 v2, 0
	s_and_not1_b32 vcc_lo, exec_lo, s29
	s_mov_b32 s31, 0
	s_cbranch_vccnz .LBB69_14
; %bb.9:
	s_add_i32 s20, s27, 1
	v_dual_mov_b32 v2, 0 :: v_dual_mov_b32 v1, 0
	v_dual_mov_b32 v0, 0 :: v_dual_mov_b32 v3, v6
	s_and_b32 s33, s20, 30
	s_add_u32 s20, s0, 0xffffffec
	s_addc_u32 s21, s1, -1
	s_set_inst_prefetch_distance 0x1
	.p2align	6
.LBB69_10:                              ; =>This Inner Loop Header: Depth=1
	s_clause 0x2
	s_load_b128 s[36:39], s[20:21], 0x18
	s_load_b64 s[34:35], s[20:21], 0x28
	s_load_b128 s[40:43], s[20:21], 0xd8
	s_waitcnt lgkmcnt(0)
	v_mul_hi_u32 v4, s37, v3
	s_delay_alu instid0(VALU_DEP_1) | instskip(NEXT) | instid1(VALU_DEP_1)
	v_add_nc_u32_e32 v4, v3, v4
	v_lshrrev_b32_e32 v4, s38, v4
	s_delay_alu instid0(VALU_DEP_1)
	v_mul_hi_u32 v5, s34, v4
	v_mul_lo_u32 v7, v4, s36
	s_load_b64 s[36:37], s[20:21], 0xe8
	s_add_u32 s20, s20, 24
	s_addc_u32 s21, s21, 0
	s_add_i32 s33, s33, -2
	s_delay_alu instid0(SALU_CYCLE_1) | instskip(NEXT) | instid1(VALU_DEP_2)
	s_cmp_lg_u32 s33, 0
	v_add_nc_u32_e32 v5, v4, v5
	s_delay_alu instid0(VALU_DEP_2) | instskip(NEXT) | instid1(VALU_DEP_2)
	v_sub_nc_u32_e32 v7, v3, v7
	v_lshrrev_b32_e32 v3, s35, v5
	s_delay_alu instid0(VALU_DEP_2) | instskip(NEXT) | instid1(VALU_DEP_2)
	v_mul_lo_u32 v8, v7, s40
	v_mul_lo_u32 v5, v3, s39
	s_delay_alu instid0(VALU_DEP_1) | instskip(SKIP_2) | instid1(VALU_DEP_3)
	v_sub_nc_u32_e32 v4, v4, v5
	v_mul_lo_u32 v5, v7, s41
	v_mul_lo_u32 v7, v7, s42
	;; [unrolled: 1-line block ×3, first 2 shown]
	s_waitcnt lgkmcnt(0)
	v_mul_lo_u32 v10, v4, s36
	v_mul_lo_u32 v4, v4, s37
	s_delay_alu instid0(VALU_DEP_3) | instskip(NEXT) | instid1(VALU_DEP_3)
	v_add3_u32 v0, v8, v0, v9
	v_add3_u32 v1, v5, v1, v10
	s_delay_alu instid0(VALU_DEP_3)
	v_add3_u32 v2, v7, v2, v4
	s_cbranch_scc1 .LBB69_10
; %bb.11:
	s_set_inst_prefetch_distance 0x2
	s_bitcmp1_b32 s27, 0
	s_cselect_b32 s33, -1, 0
	s_delay_alu instid0(SALU_CYCLE_1)
	s_and_b32 vcc_lo, exec_lo, s33
	s_cbranch_vccnz .LBB69_14
; %bb.12:
	s_clause 0x3
	s_load_b64 s[34:35], s[20:21], 0x18
	s_load_b32 s33, s[20:21], 0x20
	s_load_b64 s[36:37], s[20:21], 0xd8
	s_load_b32 s20, s[20:21], 0xe0
	s_waitcnt lgkmcnt(0)
	v_mul_hi_u32 v4, s35, v3
	s_delay_alu instid0(VALU_DEP_1) | instskip(NEXT) | instid1(VALU_DEP_1)
	v_add_nc_u32_e32 v4, v3, v4
	v_lshrrev_b32_e32 v4, s33, v4
	s_delay_alu instid0(VALU_DEP_1) | instskip(NEXT) | instid1(VALU_DEP_1)
	v_mul_lo_u32 v4, v4, s34
	v_sub_nc_u32_e32 v9, v3, v4
	s_delay_alu instid0(VALU_DEP_1) | instskip(SKIP_1) | instid1(VALU_DEP_2)
	v_mad_u64_u32 v[3:4], null, v9, s36, v[0:1]
	v_mad_u64_u32 v[4:5], null, v9, s37, v[1:2]
	;; [unrolled: 1-line block ×3, first 2 shown]
	s_delay_alu instid0(VALU_DEP_2) | instskip(NEXT) | instid1(VALU_DEP_2)
	v_dual_mov_b32 v0, v3 :: v_dual_mov_b32 v1, v4
	v_mov_b32_e32 v2, v7
	s_branch .LBB69_14
.LBB69_13:
	s_mov_b32 s31, -1
                                        ; implicit-def: $vgpr0
                                        ; implicit-def: $vgpr1
                                        ; implicit-def: $vgpr2
.LBB69_14:
	s_delay_alu instid0(SALU_CYCLE_1)
	s_and_not1_b32 vcc_lo, exec_lo, s31
	s_cbranch_vccnz .LBB69_17
; %bb.15:
	s_waitcnt lgkmcnt(0)
	v_mul_hi_u32 v0, s13, v6
	s_and_not1_b32 vcc_lo, exec_lo, s26
	s_delay_alu instid0(VALU_DEP_1) | instskip(NEXT) | instid1(VALU_DEP_1)
	v_add_nc_u32_e32 v0, v6, v0
	v_lshrrev_b32_e32 v3, s14, v0
	s_delay_alu instid0(VALU_DEP_1) | instskip(NEXT) | instid1(VALU_DEP_1)
	v_mul_lo_u32 v0, v3, s12
	v_sub_nc_u32_e32 v2, v6, v0
	s_delay_alu instid0(VALU_DEP_1)
	v_mul_lo_u32 v0, v2, s8
	v_mul_lo_u32 v1, v2, s9
	;; [unrolled: 1-line block ×3, first 2 shown]
	s_cbranch_vccnz .LBB69_17
; %bb.16:
	v_mul_hi_u32 v4, s18, v3
	s_delay_alu instid0(VALU_DEP_1) | instskip(NEXT) | instid1(VALU_DEP_1)
	v_add_nc_u32_e32 v4, v3, v4
	v_lshrrev_b32_e32 v4, s19, v4
	s_delay_alu instid0(VALU_DEP_1) | instskip(NEXT) | instid1(VALU_DEP_1)
	v_mul_lo_u32 v4, v4, s15
	v_sub_nc_u32_e32 v9, v3, v4
	s_delay_alu instid0(VALU_DEP_1) | instskip(SKIP_1) | instid1(VALU_DEP_2)
	v_mad_u64_u32 v[3:4], null, v9, s11, v[0:1]
	v_mad_u64_u32 v[4:5], null, v9, s16, v[1:2]
	;; [unrolled: 1-line block ×3, first 2 shown]
	s_delay_alu instid0(VALU_DEP_2) | instskip(NEXT) | instid1(VALU_DEP_2)
	v_dual_mov_b32 v0, v3 :: v_dual_mov_b32 v1, v4
	v_mov_b32_e32 v2, v7
.LBB69_17:
	s_waitcnt lgkmcnt(0)
	global_load_b32 v2, v2, s[2:3]
	s_mov_b32 s31, exec_lo
	s_waitcnt vmcnt(0)
	v_trunc_f32_e32 v3, v2
	s_delay_alu instid0(VALU_DEP_1) | instskip(NEXT) | instid1(VALU_DEP_1)
	v_mul_f32_e64 v4, 0x2f800000, |v3|
	v_floor_f32_e32 v4, v4
	s_delay_alu instid0(VALU_DEP_1) | instskip(SKIP_2) | instid1(VALU_DEP_3)
	v_fma_f32 v5, 0xcf800000, v4, |v3|
	v_ashrrev_i32_e32 v3, 31, v3
	v_cvt_u32_f32_e32 v4, v4
	v_cvt_u32_f32_e32 v5, v5
	s_delay_alu instid0(VALU_DEP_2) | instskip(NEXT) | instid1(VALU_DEP_2)
	v_xor_b32_e32 v4, v4, v3
	v_xor_b32_e32 v5, v5, v3
	s_delay_alu instid0(VALU_DEP_1) | instskip(NEXT) | instid1(VALU_DEP_3)
	v_sub_co_u32 v5, vcc_lo, v5, v3
	v_sub_co_ci_u32_e32 v3, vcc_lo, v4, v3, vcc_lo
	v_cmp_class_f32_e64 vcc_lo, v2, 0x1f8
	s_delay_alu instid0(VALU_DEP_2) | instskip(NEXT) | instid1(VALU_DEP_4)
	v_dual_mov_b32 v4, 0 :: v_dual_cndmask_b32 v3, -1, v3
	v_cndmask_b32_e32 v2, -1, v5, vcc_lo
	s_delay_alu instid0(VALU_DEP_1)
	v_cmpx_lt_i64_e32 -1, v[2:3]
	s_cbranch_execz .LBB69_29
; %bb.18:
	v_mov_b32_e32 v4, 1.0
	s_mov_b32 s33, exec_lo
	v_cmpx_lt_i64_e32 0, v[2:3]
	s_cbranch_execz .LBB69_28
; %bb.19:
	global_load_u16 v1, v1, s[6:7]
                                        ; implicit-def: $vgpr4
	s_mov_b32 s20, exec_lo
	s_waitcnt vmcnt(0)
	v_lshlrev_b32_e32 v1, 16, v1
	v_cmpx_ne_u64_e32 1, v[2:3]
	s_xor_b32 s34, exec_lo, s20
	s_cbranch_execz .LBB69_25
; %bb.20:
	v_mov_b32_e32 v4, 0x7fc00000
	s_mov_b32 s35, exec_lo
	v_cmpx_gt_u64_e32 0x81, v[2:3]
	s_cbranch_execz .LBB69_24
; %bb.21:
	v_add_f32_e32 v5, v1, v1
	v_lshlrev_b64 v[1:2], 1, v[2:3]
	v_mov_b32_e32 v3, 1.0
	s_mov_b64 s[20:21], 2
	s_mov_b32 s36, 0
	v_mov_b32_e32 v4, v5
	.p2align	6
.LBB69_22:                              ; =>This Inner Loop Header: Depth=1
	s_clz_i32_u32 s37, s21
	s_delay_alu instid0(SALU_CYCLE_1) | instskip(NEXT) | instid1(SALU_CYCLE_1)
	s_min_u32 s37, s37, 32
	s_lshl_b64 s[38:39], s[20:21], s37
	s_sub_i32 s37, 32, s37
	s_min_u32 s38, s38, 1
	s_delay_alu instid0(SALU_CYCLE_1) | instskip(SKIP_3) | instid1(SALU_CYCLE_1)
	s_or_b32 s38, s39, s38
	s_add_u32 s20, s20, 2
	v_cvt_f32_u32_e32 v7, s38
	s_addc_u32 s21, s21, 0
	v_cmp_ge_u64_e32 vcc_lo, s[20:21], v[1:2]
	s_delay_alu instid0(VALU_DEP_2) | instskip(SKIP_1) | instid1(VALU_DEP_1)
	v_ldexp_f32 v7, v7, s37
	s_or_b32 s36, vcc_lo, s36
	v_mul_f32_e32 v7, v3, v7
	v_mov_b32_e32 v3, v4
	s_delay_alu instid0(VALU_DEP_2)
	v_fma_f32 v4, v5, v4, -v7
	s_and_not1_b32 exec_lo, exec_lo, s36
	s_cbranch_execnz .LBB69_22
; %bb.23:
	s_or_b32 exec_lo, exec_lo, s36
.LBB69_24:
	s_delay_alu instid0(SALU_CYCLE_1)
	s_or_b32 exec_lo, exec_lo, s35
                                        ; implicit-def: $vgpr1
.LBB69_25:
	s_and_not1_saveexec_b32 s20, s34
; %bb.26:
	v_add_f32_e32 v4, v1, v1
; %bb.27:
	s_or_b32 exec_lo, exec_lo, s20
.LBB69_28:
	s_delay_alu instid0(SALU_CYCLE_1)
	s_or_b32 exec_lo, exec_lo, s33
.LBB69_29:
	s_delay_alu instid0(SALU_CYCLE_1) | instskip(NEXT) | instid1(VALU_DEP_1)
	s_or_b32 exec_lo, exec_lo, s31
	v_bfe_u32 v1, v4, 16, 1
	v_cmp_o_f32_e32 vcc_lo, v4, v4
	v_add_nc_u32_e32 v6, 0x80, v6
	s_delay_alu instid0(VALU_DEP_3) | instskip(NEXT) | instid1(VALU_DEP_1)
	v_add3_u32 v1, v4, v1, 0x7fff
	v_lshrrev_b32_e32 v1, 16, v1
	s_delay_alu instid0(VALU_DEP_1) | instskip(SKIP_2) | instid1(SALU_CYCLE_1)
	v_cndmask_b32_e32 v1, 0x7fc0, v1, vcc_lo
	global_store_b16 v0, v1, s[4:5]
	s_or_b32 exec_lo, exec_lo, s30
	s_mov_b32 s30, exec_lo
	v_cmpx_gt_i32_e64 s28, v6
	s_cbranch_execz .LBB69_6
.LBB69_30:
	s_and_not1_b32 vcc_lo, exec_lo, s24
	s_cbranch_vccnz .LBB69_36
; %bb.31:
	v_dual_mov_b32 v0, 0 :: v_dual_mov_b32 v1, 0
	v_mov_b32_e32 v2, 0
	s_and_not1_b32 vcc_lo, exec_lo, s29
	s_mov_b32 s31, 0
	s_cbranch_vccnz .LBB69_37
; %bb.32:
	s_add_i32 s20, s27, 1
	v_dual_mov_b32 v2, 0 :: v_dual_mov_b32 v1, 0
	v_dual_mov_b32 v0, 0 :: v_dual_mov_b32 v3, v6
	s_and_b32 s33, s20, 30
	s_add_u32 s20, s0, 0xffffffec
	s_addc_u32 s21, s1, -1
	s_set_inst_prefetch_distance 0x1
	.p2align	6
.LBB69_33:                              ; =>This Inner Loop Header: Depth=1
	s_clause 0x2
	s_load_b128 s[36:39], s[20:21], 0x18
	s_load_b64 s[34:35], s[20:21], 0x28
	s_load_b128 s[40:43], s[20:21], 0xd8
	s_waitcnt lgkmcnt(0)
	v_mul_hi_u32 v4, s37, v3
	s_delay_alu instid0(VALU_DEP_1) | instskip(NEXT) | instid1(VALU_DEP_1)
	v_add_nc_u32_e32 v4, v3, v4
	v_lshrrev_b32_e32 v4, s38, v4
	s_delay_alu instid0(VALU_DEP_1)
	v_mul_hi_u32 v5, s34, v4
	v_mul_lo_u32 v7, v4, s36
	s_load_b64 s[36:37], s[20:21], 0xe8
	s_add_u32 s20, s20, 24
	s_addc_u32 s21, s21, 0
	s_add_i32 s33, s33, -2
	s_delay_alu instid0(SALU_CYCLE_1) | instskip(NEXT) | instid1(VALU_DEP_2)
	s_cmp_eq_u32 s33, 0
	v_add_nc_u32_e32 v5, v4, v5
	s_delay_alu instid0(VALU_DEP_2) | instskip(NEXT) | instid1(VALU_DEP_2)
	v_sub_nc_u32_e32 v7, v3, v7
	v_lshrrev_b32_e32 v3, s35, v5
	s_delay_alu instid0(VALU_DEP_2) | instskip(NEXT) | instid1(VALU_DEP_2)
	v_mul_lo_u32 v8, v7, s40
	v_mul_lo_u32 v5, v3, s39
	s_delay_alu instid0(VALU_DEP_1) | instskip(SKIP_2) | instid1(VALU_DEP_3)
	v_sub_nc_u32_e32 v4, v4, v5
	v_mul_lo_u32 v5, v7, s41
	v_mul_lo_u32 v7, v7, s42
	;; [unrolled: 1-line block ×3, first 2 shown]
	s_waitcnt lgkmcnt(0)
	v_mul_lo_u32 v10, v4, s36
	v_mul_lo_u32 v4, v4, s37
	s_delay_alu instid0(VALU_DEP_3) | instskip(NEXT) | instid1(VALU_DEP_3)
	v_add3_u32 v0, v8, v0, v9
	v_add3_u32 v1, v5, v1, v10
	s_delay_alu instid0(VALU_DEP_3)
	v_add3_u32 v2, v7, v2, v4
	s_cbranch_scc0 .LBB69_33
; %bb.34:
	s_set_inst_prefetch_distance 0x2
	s_bitcmp1_b32 s27, 0
	s_cselect_b32 s33, -1, 0
	s_delay_alu instid0(SALU_CYCLE_1)
	s_and_b32 vcc_lo, exec_lo, s33
	s_cbranch_vccnz .LBB69_37
; %bb.35:
	s_clause 0x3
	s_load_b64 s[34:35], s[20:21], 0x18
	s_load_b32 s33, s[20:21], 0x20
	s_load_b64 s[36:37], s[20:21], 0xd8
	s_load_b32 s20, s[20:21], 0xe0
	s_waitcnt lgkmcnt(0)
	v_mul_hi_u32 v4, s35, v3
	s_delay_alu instid0(VALU_DEP_1) | instskip(NEXT) | instid1(VALU_DEP_1)
	v_add_nc_u32_e32 v4, v3, v4
	v_lshrrev_b32_e32 v4, s33, v4
	s_delay_alu instid0(VALU_DEP_1) | instskip(NEXT) | instid1(VALU_DEP_1)
	v_mul_lo_u32 v4, v4, s34
	v_sub_nc_u32_e32 v9, v3, v4
	s_delay_alu instid0(VALU_DEP_1) | instskip(SKIP_1) | instid1(VALU_DEP_2)
	v_mad_u64_u32 v[3:4], null, v9, s36, v[0:1]
	v_mad_u64_u32 v[4:5], null, v9, s37, v[1:2]
	;; [unrolled: 1-line block ×3, first 2 shown]
	s_delay_alu instid0(VALU_DEP_2) | instskip(NEXT) | instid1(VALU_DEP_2)
	v_dual_mov_b32 v0, v3 :: v_dual_mov_b32 v1, v4
	v_mov_b32_e32 v2, v7
	s_branch .LBB69_37
.LBB69_36:
	s_mov_b32 s31, -1
                                        ; implicit-def: $vgpr0
                                        ; implicit-def: $vgpr1
                                        ; implicit-def: $vgpr2
.LBB69_37:
	s_delay_alu instid0(SALU_CYCLE_1)
	s_and_not1_b32 vcc_lo, exec_lo, s31
	s_cbranch_vccnz .LBB69_40
; %bb.38:
	s_waitcnt lgkmcnt(0)
	v_mul_hi_u32 v0, s13, v6
	s_and_not1_b32 vcc_lo, exec_lo, s26
	s_delay_alu instid0(VALU_DEP_1) | instskip(NEXT) | instid1(VALU_DEP_1)
	v_add_nc_u32_e32 v0, v6, v0
	v_lshrrev_b32_e32 v3, s14, v0
	s_delay_alu instid0(VALU_DEP_1) | instskip(NEXT) | instid1(VALU_DEP_1)
	v_mul_lo_u32 v0, v3, s12
	v_sub_nc_u32_e32 v2, v6, v0
	s_delay_alu instid0(VALU_DEP_1)
	v_mul_lo_u32 v0, v2, s8
	v_mul_lo_u32 v1, v2, s9
	;; [unrolled: 1-line block ×3, first 2 shown]
	s_cbranch_vccnz .LBB69_40
; %bb.39:
	v_mul_hi_u32 v4, s18, v3
	s_delay_alu instid0(VALU_DEP_1) | instskip(NEXT) | instid1(VALU_DEP_1)
	v_add_nc_u32_e32 v4, v3, v4
	v_lshrrev_b32_e32 v4, s19, v4
	s_delay_alu instid0(VALU_DEP_1) | instskip(NEXT) | instid1(VALU_DEP_1)
	v_mul_lo_u32 v4, v4, s15
	v_sub_nc_u32_e32 v9, v3, v4
	s_delay_alu instid0(VALU_DEP_1) | instskip(SKIP_1) | instid1(VALU_DEP_2)
	v_mad_u64_u32 v[3:4], null, v9, s11, v[0:1]
	v_mad_u64_u32 v[4:5], null, v9, s16, v[1:2]
	;; [unrolled: 1-line block ×3, first 2 shown]
	s_delay_alu instid0(VALU_DEP_2) | instskip(NEXT) | instid1(VALU_DEP_2)
	v_dual_mov_b32 v0, v3 :: v_dual_mov_b32 v1, v4
	v_mov_b32_e32 v2, v7
.LBB69_40:
	s_waitcnt lgkmcnt(0)
	global_load_b32 v2, v2, s[2:3]
	s_mov_b32 s31, exec_lo
	s_waitcnt vmcnt(0)
	v_trunc_f32_e32 v3, v2
	s_delay_alu instid0(VALU_DEP_1) | instskip(NEXT) | instid1(VALU_DEP_1)
	v_mul_f32_e64 v4, 0x2f800000, |v3|
	v_floor_f32_e32 v4, v4
	s_delay_alu instid0(VALU_DEP_1) | instskip(SKIP_2) | instid1(VALU_DEP_3)
	v_fma_f32 v5, 0xcf800000, v4, |v3|
	v_ashrrev_i32_e32 v3, 31, v3
	v_cvt_u32_f32_e32 v4, v4
	v_cvt_u32_f32_e32 v5, v5
	s_delay_alu instid0(VALU_DEP_2) | instskip(NEXT) | instid1(VALU_DEP_2)
	v_xor_b32_e32 v4, v4, v3
	v_xor_b32_e32 v5, v5, v3
	s_delay_alu instid0(VALU_DEP_1) | instskip(NEXT) | instid1(VALU_DEP_3)
	v_sub_co_u32 v5, vcc_lo, v5, v3
	v_sub_co_ci_u32_e32 v3, vcc_lo, v4, v3, vcc_lo
	v_cmp_class_f32_e64 vcc_lo, v2, 0x1f8
	s_delay_alu instid0(VALU_DEP_2) | instskip(NEXT) | instid1(VALU_DEP_4)
	v_dual_mov_b32 v4, 0 :: v_dual_cndmask_b32 v3, -1, v3
	v_cndmask_b32_e32 v2, -1, v5, vcc_lo
	s_delay_alu instid0(VALU_DEP_1)
	v_cmpx_lt_i64_e32 -1, v[2:3]
	s_cbranch_execz .LBB69_52
; %bb.41:
	v_mov_b32_e32 v4, 1.0
	s_mov_b32 s33, exec_lo
	v_cmpx_lt_i64_e32 0, v[2:3]
	s_cbranch_execz .LBB69_51
; %bb.42:
	global_load_u16 v1, v1, s[6:7]
                                        ; implicit-def: $vgpr4
	s_mov_b32 s20, exec_lo
	s_waitcnt vmcnt(0)
	v_lshlrev_b32_e32 v1, 16, v1
	v_cmpx_ne_u64_e32 1, v[2:3]
	s_xor_b32 s34, exec_lo, s20
	s_cbranch_execz .LBB69_48
; %bb.43:
	v_mov_b32_e32 v4, 0x7fc00000
	s_mov_b32 s35, exec_lo
	v_cmpx_gt_u64_e32 0x81, v[2:3]
	s_cbranch_execz .LBB69_47
; %bb.44:
	v_add_f32_e32 v5, v1, v1
	v_lshlrev_b64 v[1:2], 1, v[2:3]
	v_mov_b32_e32 v3, 1.0
	s_mov_b64 s[20:21], 2
	s_mov_b32 s36, 0
	v_mov_b32_e32 v4, v5
	.p2align	6
.LBB69_45:                              ; =>This Inner Loop Header: Depth=1
	s_clz_i32_u32 s37, s21
	s_delay_alu instid0(SALU_CYCLE_1) | instskip(NEXT) | instid1(SALU_CYCLE_1)
	s_min_u32 s37, s37, 32
	s_lshl_b64 s[38:39], s[20:21], s37
	s_sub_i32 s37, 32, s37
	s_min_u32 s38, s38, 1
	s_delay_alu instid0(SALU_CYCLE_1) | instskip(SKIP_3) | instid1(SALU_CYCLE_1)
	s_or_b32 s38, s39, s38
	s_add_u32 s20, s20, 2
	v_cvt_f32_u32_e32 v7, s38
	s_addc_u32 s21, s21, 0
	v_cmp_ge_u64_e32 vcc_lo, s[20:21], v[1:2]
	s_delay_alu instid0(VALU_DEP_2) | instskip(SKIP_1) | instid1(VALU_DEP_1)
	v_ldexp_f32 v7, v7, s37
	s_or_b32 s36, vcc_lo, s36
	v_mul_f32_e32 v7, v3, v7
	v_mov_b32_e32 v3, v4
	s_delay_alu instid0(VALU_DEP_2)
	v_fma_f32 v4, v5, v4, -v7
	s_and_not1_b32 exec_lo, exec_lo, s36
	s_cbranch_execnz .LBB69_45
; %bb.46:
	s_or_b32 exec_lo, exec_lo, s36
.LBB69_47:
	s_delay_alu instid0(SALU_CYCLE_1)
	s_or_b32 exec_lo, exec_lo, s35
                                        ; implicit-def: $vgpr1
.LBB69_48:
	s_and_not1_saveexec_b32 s20, s34
; %bb.49:
	v_add_f32_e32 v4, v1, v1
; %bb.50:
	s_or_b32 exec_lo, exec_lo, s20
.LBB69_51:
	s_delay_alu instid0(SALU_CYCLE_1)
	s_or_b32 exec_lo, exec_lo, s33
.LBB69_52:
	s_delay_alu instid0(SALU_CYCLE_1) | instskip(NEXT) | instid1(VALU_DEP_1)
	s_or_b32 exec_lo, exec_lo, s31
	v_bfe_u32 v1, v4, 16, 1
	v_cmp_o_f32_e32 vcc_lo, v4, v4
	v_add_nc_u32_e32 v6, 0x80, v6
	s_delay_alu instid0(VALU_DEP_3) | instskip(NEXT) | instid1(VALU_DEP_1)
	v_add3_u32 v1, v4, v1, 0x7fff
	v_lshrrev_b32_e32 v1, 16, v1
	s_delay_alu instid0(VALU_DEP_1) | instskip(SKIP_2) | instid1(SALU_CYCLE_1)
	v_cndmask_b32_e32 v1, 0x7fc0, v1, vcc_lo
	global_store_b16 v0, v1, s[4:5]
	s_or_b32 exec_lo, exec_lo, s30
	s_mov_b32 s30, exec_lo
	v_cmpx_gt_i32_e64 s28, v6
	s_cbranch_execz .LBB69_76
.LBB69_53:
	s_and_not1_b32 vcc_lo, exec_lo, s24
	s_cbranch_vccnz .LBB69_59
; %bb.54:
	v_dual_mov_b32 v0, 0 :: v_dual_mov_b32 v1, 0
	v_mov_b32_e32 v2, 0
	s_and_not1_b32 vcc_lo, exec_lo, s29
	s_mov_b32 s31, 0
	s_cbranch_vccnz .LBB69_60
; %bb.55:
	s_add_i32 s20, s27, 1
	v_dual_mov_b32 v2, 0 :: v_dual_mov_b32 v1, 0
	v_dual_mov_b32 v0, 0 :: v_dual_mov_b32 v3, v6
	s_and_b32 s33, s20, 30
	s_add_u32 s20, s0, 0xffffffec
	s_addc_u32 s21, s1, -1
	s_set_inst_prefetch_distance 0x1
	.p2align	6
.LBB69_56:                              ; =>This Inner Loop Header: Depth=1
	s_clause 0x2
	s_load_b128 s[36:39], s[20:21], 0x18
	s_load_b64 s[34:35], s[20:21], 0x28
	s_load_b128 s[40:43], s[20:21], 0xd8
	s_waitcnt lgkmcnt(0)
	v_mul_hi_u32 v4, s37, v3
	s_delay_alu instid0(VALU_DEP_1) | instskip(NEXT) | instid1(VALU_DEP_1)
	v_add_nc_u32_e32 v4, v3, v4
	v_lshrrev_b32_e32 v4, s38, v4
	s_delay_alu instid0(VALU_DEP_1)
	v_mul_hi_u32 v5, s34, v4
	v_mul_lo_u32 v7, v4, s36
	s_load_b64 s[36:37], s[20:21], 0xe8
	s_add_u32 s20, s20, 24
	s_addc_u32 s21, s21, 0
	s_add_i32 s33, s33, -2
	s_delay_alu instid0(SALU_CYCLE_1) | instskip(NEXT) | instid1(VALU_DEP_2)
	s_cmp_eq_u32 s33, 0
	v_add_nc_u32_e32 v5, v4, v5
	s_delay_alu instid0(VALU_DEP_2) | instskip(NEXT) | instid1(VALU_DEP_2)
	v_sub_nc_u32_e32 v7, v3, v7
	v_lshrrev_b32_e32 v3, s35, v5
	s_delay_alu instid0(VALU_DEP_2) | instskip(NEXT) | instid1(VALU_DEP_2)
	v_mul_lo_u32 v8, v7, s40
	v_mul_lo_u32 v5, v3, s39
	s_delay_alu instid0(VALU_DEP_1) | instskip(SKIP_2) | instid1(VALU_DEP_3)
	v_sub_nc_u32_e32 v4, v4, v5
	v_mul_lo_u32 v5, v7, s41
	v_mul_lo_u32 v7, v7, s42
	;; [unrolled: 1-line block ×3, first 2 shown]
	s_waitcnt lgkmcnt(0)
	v_mul_lo_u32 v10, v4, s36
	v_mul_lo_u32 v4, v4, s37
	s_delay_alu instid0(VALU_DEP_3) | instskip(NEXT) | instid1(VALU_DEP_3)
	v_add3_u32 v0, v8, v0, v9
	v_add3_u32 v1, v5, v1, v10
	s_delay_alu instid0(VALU_DEP_3)
	v_add3_u32 v2, v7, v2, v4
	s_cbranch_scc0 .LBB69_56
; %bb.57:
	s_set_inst_prefetch_distance 0x2
	s_bitcmp1_b32 s27, 0
	s_cselect_b32 s33, -1, 0
	s_delay_alu instid0(SALU_CYCLE_1)
	s_and_b32 vcc_lo, exec_lo, s33
	s_cbranch_vccnz .LBB69_60
; %bb.58:
	s_clause 0x3
	s_load_b64 s[34:35], s[20:21], 0x18
	s_load_b32 s33, s[20:21], 0x20
	s_load_b64 s[36:37], s[20:21], 0xd8
	s_load_b32 s20, s[20:21], 0xe0
	s_waitcnt lgkmcnt(0)
	v_mul_hi_u32 v4, s35, v3
	s_delay_alu instid0(VALU_DEP_1) | instskip(NEXT) | instid1(VALU_DEP_1)
	v_add_nc_u32_e32 v4, v3, v4
	v_lshrrev_b32_e32 v4, s33, v4
	s_delay_alu instid0(VALU_DEP_1) | instskip(NEXT) | instid1(VALU_DEP_1)
	v_mul_lo_u32 v4, v4, s34
	v_sub_nc_u32_e32 v9, v3, v4
	s_delay_alu instid0(VALU_DEP_1) | instskip(SKIP_1) | instid1(VALU_DEP_2)
	v_mad_u64_u32 v[3:4], null, v9, s36, v[0:1]
	v_mad_u64_u32 v[4:5], null, v9, s37, v[1:2]
	;; [unrolled: 1-line block ×3, first 2 shown]
	s_delay_alu instid0(VALU_DEP_2) | instskip(NEXT) | instid1(VALU_DEP_2)
	v_dual_mov_b32 v0, v3 :: v_dual_mov_b32 v1, v4
	v_mov_b32_e32 v2, v7
	s_branch .LBB69_60
.LBB69_59:
	s_mov_b32 s31, -1
                                        ; implicit-def: $vgpr0
                                        ; implicit-def: $vgpr1
                                        ; implicit-def: $vgpr2
.LBB69_60:
	s_delay_alu instid0(SALU_CYCLE_1)
	s_and_not1_b32 vcc_lo, exec_lo, s31
	s_cbranch_vccnz .LBB69_63
; %bb.61:
	s_waitcnt lgkmcnt(0)
	v_mul_hi_u32 v0, s13, v6
	s_and_not1_b32 vcc_lo, exec_lo, s26
	s_delay_alu instid0(VALU_DEP_1) | instskip(NEXT) | instid1(VALU_DEP_1)
	v_add_nc_u32_e32 v0, v6, v0
	v_lshrrev_b32_e32 v3, s14, v0
	s_delay_alu instid0(VALU_DEP_1) | instskip(NEXT) | instid1(VALU_DEP_1)
	v_mul_lo_u32 v0, v3, s12
	v_sub_nc_u32_e32 v2, v6, v0
	s_delay_alu instid0(VALU_DEP_1)
	v_mul_lo_u32 v0, v2, s8
	v_mul_lo_u32 v1, v2, s9
	;; [unrolled: 1-line block ×3, first 2 shown]
	s_cbranch_vccnz .LBB69_63
; %bb.62:
	v_mul_hi_u32 v4, s18, v3
	s_delay_alu instid0(VALU_DEP_1) | instskip(NEXT) | instid1(VALU_DEP_1)
	v_add_nc_u32_e32 v4, v3, v4
	v_lshrrev_b32_e32 v4, s19, v4
	s_delay_alu instid0(VALU_DEP_1) | instskip(NEXT) | instid1(VALU_DEP_1)
	v_mul_lo_u32 v4, v4, s15
	v_sub_nc_u32_e32 v9, v3, v4
	s_delay_alu instid0(VALU_DEP_1) | instskip(SKIP_1) | instid1(VALU_DEP_2)
	v_mad_u64_u32 v[3:4], null, v9, s11, v[0:1]
	v_mad_u64_u32 v[4:5], null, v9, s16, v[1:2]
	;; [unrolled: 1-line block ×3, first 2 shown]
	s_delay_alu instid0(VALU_DEP_2) | instskip(NEXT) | instid1(VALU_DEP_2)
	v_dual_mov_b32 v0, v3 :: v_dual_mov_b32 v1, v4
	v_mov_b32_e32 v2, v7
.LBB69_63:
	s_waitcnt lgkmcnt(0)
	global_load_b32 v2, v2, s[2:3]
	s_mov_b32 s31, exec_lo
	s_waitcnt vmcnt(0)
	v_trunc_f32_e32 v3, v2
	s_delay_alu instid0(VALU_DEP_1) | instskip(NEXT) | instid1(VALU_DEP_1)
	v_mul_f32_e64 v4, 0x2f800000, |v3|
	v_floor_f32_e32 v4, v4
	s_delay_alu instid0(VALU_DEP_1) | instskip(SKIP_2) | instid1(VALU_DEP_3)
	v_fma_f32 v5, 0xcf800000, v4, |v3|
	v_ashrrev_i32_e32 v3, 31, v3
	v_cvt_u32_f32_e32 v4, v4
	v_cvt_u32_f32_e32 v5, v5
	s_delay_alu instid0(VALU_DEP_2) | instskip(NEXT) | instid1(VALU_DEP_2)
	v_xor_b32_e32 v4, v4, v3
	v_xor_b32_e32 v5, v5, v3
	s_delay_alu instid0(VALU_DEP_1) | instskip(NEXT) | instid1(VALU_DEP_3)
	v_sub_co_u32 v5, vcc_lo, v5, v3
	v_sub_co_ci_u32_e32 v3, vcc_lo, v4, v3, vcc_lo
	v_cmp_class_f32_e64 vcc_lo, v2, 0x1f8
	s_delay_alu instid0(VALU_DEP_2) | instskip(NEXT) | instid1(VALU_DEP_4)
	v_dual_mov_b32 v4, 0 :: v_dual_cndmask_b32 v3, -1, v3
	v_cndmask_b32_e32 v2, -1, v5, vcc_lo
	s_delay_alu instid0(VALU_DEP_1)
	v_cmpx_lt_i64_e32 -1, v[2:3]
	s_cbranch_execz .LBB69_75
; %bb.64:
	v_mov_b32_e32 v4, 1.0
	s_mov_b32 s33, exec_lo
	v_cmpx_lt_i64_e32 0, v[2:3]
	s_cbranch_execz .LBB69_74
; %bb.65:
	global_load_u16 v1, v1, s[6:7]
                                        ; implicit-def: $vgpr4
	s_mov_b32 s20, exec_lo
	s_waitcnt vmcnt(0)
	v_lshlrev_b32_e32 v1, 16, v1
	v_cmpx_ne_u64_e32 1, v[2:3]
	s_xor_b32 s34, exec_lo, s20
	s_cbranch_execz .LBB69_71
; %bb.66:
	v_mov_b32_e32 v4, 0x7fc00000
	s_mov_b32 s35, exec_lo
	v_cmpx_gt_u64_e32 0x81, v[2:3]
	s_cbranch_execz .LBB69_70
; %bb.67:
	v_add_f32_e32 v5, v1, v1
	v_lshlrev_b64 v[1:2], 1, v[2:3]
	v_mov_b32_e32 v3, 1.0
	s_mov_b64 s[20:21], 2
	s_mov_b32 s36, 0
	v_mov_b32_e32 v4, v5
	.p2align	6
.LBB69_68:                              ; =>This Inner Loop Header: Depth=1
	s_clz_i32_u32 s37, s21
	s_delay_alu instid0(SALU_CYCLE_1) | instskip(NEXT) | instid1(SALU_CYCLE_1)
	s_min_u32 s37, s37, 32
	s_lshl_b64 s[38:39], s[20:21], s37
	s_sub_i32 s37, 32, s37
	s_min_u32 s38, s38, 1
	s_delay_alu instid0(SALU_CYCLE_1) | instskip(SKIP_3) | instid1(SALU_CYCLE_1)
	s_or_b32 s38, s39, s38
	s_add_u32 s20, s20, 2
	v_cvt_f32_u32_e32 v7, s38
	s_addc_u32 s21, s21, 0
	v_cmp_ge_u64_e32 vcc_lo, s[20:21], v[1:2]
	s_delay_alu instid0(VALU_DEP_2) | instskip(SKIP_1) | instid1(VALU_DEP_1)
	v_ldexp_f32 v7, v7, s37
	s_or_b32 s36, vcc_lo, s36
	v_mul_f32_e32 v7, v3, v7
	v_mov_b32_e32 v3, v4
	s_delay_alu instid0(VALU_DEP_2)
	v_fma_f32 v4, v5, v4, -v7
	s_and_not1_b32 exec_lo, exec_lo, s36
	s_cbranch_execnz .LBB69_68
; %bb.69:
	s_or_b32 exec_lo, exec_lo, s36
.LBB69_70:
	s_delay_alu instid0(SALU_CYCLE_1)
	s_or_b32 exec_lo, exec_lo, s35
                                        ; implicit-def: $vgpr1
.LBB69_71:
	s_and_not1_saveexec_b32 s20, s34
; %bb.72:
	v_add_f32_e32 v4, v1, v1
; %bb.73:
	s_or_b32 exec_lo, exec_lo, s20
.LBB69_74:
	s_delay_alu instid0(SALU_CYCLE_1)
	s_or_b32 exec_lo, exec_lo, s33
.LBB69_75:
	s_delay_alu instid0(SALU_CYCLE_1) | instskip(NEXT) | instid1(VALU_DEP_1)
	s_or_b32 exec_lo, exec_lo, s31
	v_bfe_u32 v1, v4, 16, 1
	v_cmp_o_f32_e32 vcc_lo, v4, v4
	v_add_nc_u32_e32 v6, 0x80, v6
	s_delay_alu instid0(VALU_DEP_3) | instskip(NEXT) | instid1(VALU_DEP_1)
	v_add3_u32 v1, v4, v1, 0x7fff
	v_lshrrev_b32_e32 v1, 16, v1
	s_delay_alu instid0(VALU_DEP_1)
	v_cndmask_b32_e32 v1, 0x7fc0, v1, vcc_lo
	global_store_b16 v0, v1, s[4:5]
.LBB69_76:
	s_or_b32 exec_lo, exec_lo, s30
	v_cmp_gt_i32_e32 vcc_lo, s28, v6
	s_mov_b32 s20, 0
                                        ; implicit-def: $vgpr3_vgpr4
                                        ; implicit-def: $vgpr8
	s_and_saveexec_b32 s28, vcc_lo
	s_cbranch_execz .LBB69_100
; %bb.77:
	s_and_not1_b32 vcc_lo, exec_lo, s24
	s_cbranch_vccnz .LBB69_83
; %bb.78:
	v_dual_mov_b32 v1, 0 :: v_dual_mov_b32 v0, 0
	v_mov_b32_e32 v2, 0
	s_and_not1_b32 vcc_lo, exec_lo, s29
	s_mov_b32 s29, 0
	s_cbranch_vccnz .LBB69_84
; %bb.79:
	s_add_i32 s20, s27, 1
	v_dual_mov_b32 v2, 0 :: v_dual_mov_b32 v1, 0
	v_dual_mov_b32 v0, 0 :: v_dual_mov_b32 v3, v6
	s_and_b32 s30, s20, 30
	s_add_u32 s20, s0, 0xffffffec
	s_addc_u32 s21, s1, -1
	s_set_inst_prefetch_distance 0x1
	.p2align	6
.LBB69_80:                              ; =>This Inner Loop Header: Depth=1
	s_clause 0x2
	s_load_b128 s[36:39], s[20:21], 0x18
	s_load_b64 s[34:35], s[20:21], 0x28
	s_load_b128 s[40:43], s[20:21], 0xd8
	s_waitcnt lgkmcnt(0)
	v_mul_hi_u32 v4, s37, v3
	s_delay_alu instid0(VALU_DEP_1) | instskip(NEXT) | instid1(VALU_DEP_1)
	v_add_nc_u32_e32 v4, v3, v4
	v_lshrrev_b32_e32 v4, s38, v4
	s_delay_alu instid0(VALU_DEP_1)
	v_mul_hi_u32 v5, s34, v4
	v_mul_lo_u32 v7, v4, s36
	s_load_b64 s[36:37], s[20:21], 0xe8
	s_add_u32 s20, s20, 24
	s_addc_u32 s21, s21, 0
	s_add_i32 s30, s30, -2
	s_delay_alu instid0(SALU_CYCLE_1) | instskip(NEXT) | instid1(VALU_DEP_2)
	s_cmp_eq_u32 s30, 0
	v_add_nc_u32_e32 v5, v4, v5
	s_delay_alu instid0(VALU_DEP_2) | instskip(NEXT) | instid1(VALU_DEP_2)
	v_sub_nc_u32_e32 v7, v3, v7
	v_lshrrev_b32_e32 v3, s35, v5
	s_delay_alu instid0(VALU_DEP_2) | instskip(NEXT) | instid1(VALU_DEP_2)
	v_mul_lo_u32 v8, v7, s40
	v_mul_lo_u32 v5, v3, s39
	s_delay_alu instid0(VALU_DEP_1) | instskip(SKIP_2) | instid1(VALU_DEP_3)
	v_sub_nc_u32_e32 v4, v4, v5
	v_mul_lo_u32 v5, v7, s41
	v_mul_lo_u32 v7, v7, s42
	;; [unrolled: 1-line block ×3, first 2 shown]
	s_waitcnt lgkmcnt(0)
	v_mul_lo_u32 v10, v4, s36
	v_mul_lo_u32 v4, v4, s37
	s_delay_alu instid0(VALU_DEP_3) | instskip(NEXT) | instid1(VALU_DEP_3)
	v_add3_u32 v1, v8, v1, v9
	v_add3_u32 v0, v5, v0, v10
	s_delay_alu instid0(VALU_DEP_3)
	v_add3_u32 v2, v7, v2, v4
	s_cbranch_scc0 .LBB69_80
; %bb.81:
	s_set_inst_prefetch_distance 0x2
	s_bitcmp1_b32 s27, 0
	s_cselect_b32 s27, -1, 0
	s_delay_alu instid0(SALU_CYCLE_1)
	s_and_b32 vcc_lo, exec_lo, s27
	s_cbranch_vccnz .LBB69_84
; %bb.82:
	s_clause 0x3
	s_load_b64 s[30:31], s[20:21], 0x18
	s_load_b32 s27, s[20:21], 0x20
	s_load_b64 s[34:35], s[20:21], 0xd8
	s_load_b32 s20, s[20:21], 0xe0
	s_waitcnt lgkmcnt(0)
	v_mul_hi_u32 v4, s31, v3
	s_delay_alu instid0(VALU_DEP_1) | instskip(NEXT) | instid1(VALU_DEP_1)
	v_add_nc_u32_e32 v4, v3, v4
	v_lshrrev_b32_e32 v4, s27, v4
	s_delay_alu instid0(VALU_DEP_1) | instskip(NEXT) | instid1(VALU_DEP_1)
	v_mul_lo_u32 v4, v4, s30
	v_sub_nc_u32_e32 v9, v3, v4
	s_delay_alu instid0(VALU_DEP_1) | instskip(SKIP_1) | instid1(VALU_DEP_2)
	v_mad_u64_u32 v[3:4], null, v9, s34, v[1:2]
	v_mad_u64_u32 v[4:5], null, v9, s35, v[0:1]
	;; [unrolled: 1-line block ×3, first 2 shown]
	s_delay_alu instid0(VALU_DEP_2) | instskip(NEXT) | instid1(VALU_DEP_2)
	v_dual_mov_b32 v1, v3 :: v_dual_mov_b32 v0, v4
	v_mov_b32_e32 v2, v7
	s_branch .LBB69_84
.LBB69_83:
	s_mov_b32 s29, -1
                                        ; implicit-def: $vgpr1
                                        ; implicit-def: $vgpr0
                                        ; implicit-def: $vgpr2
.LBB69_84:
	s_delay_alu instid0(SALU_CYCLE_1)
	s_and_not1_b32 vcc_lo, exec_lo, s29
	s_cbranch_vccnz .LBB69_87
; %bb.85:
	s_waitcnt lgkmcnt(0)
	v_mul_hi_u32 v0, s13, v6
	s_and_not1_b32 vcc_lo, exec_lo, s26
	s_delay_alu instid0(VALU_DEP_1) | instskip(NEXT) | instid1(VALU_DEP_1)
	v_add_nc_u32_e32 v0, v6, v0
	v_lshrrev_b32_e32 v3, s14, v0
	s_delay_alu instid0(VALU_DEP_1) | instskip(NEXT) | instid1(VALU_DEP_1)
	v_mul_lo_u32 v0, v3, s12
	v_sub_nc_u32_e32 v2, v6, v0
	s_delay_alu instid0(VALU_DEP_1)
	v_mul_lo_u32 v1, v2, s8
	v_mul_lo_u32 v0, v2, s9
	;; [unrolled: 1-line block ×3, first 2 shown]
	s_cbranch_vccnz .LBB69_87
; %bb.86:
	v_mul_hi_u32 v4, s18, v3
	s_delay_alu instid0(VALU_DEP_1) | instskip(NEXT) | instid1(VALU_DEP_1)
	v_add_nc_u32_e32 v4, v3, v4
	v_lshrrev_b32_e32 v4, s19, v4
	s_delay_alu instid0(VALU_DEP_1) | instskip(NEXT) | instid1(VALU_DEP_1)
	v_mul_lo_u32 v4, v4, s15
	v_sub_nc_u32_e32 v7, v3, v4
	s_delay_alu instid0(VALU_DEP_1) | instskip(SKIP_1) | instid1(VALU_DEP_2)
	v_mad_u64_u32 v[3:4], null, v7, s11, v[1:2]
	v_mad_u64_u32 v[4:5], null, v7, s16, v[0:1]
	;; [unrolled: 1-line block ×3, first 2 shown]
	s_delay_alu instid0(VALU_DEP_2) | instskip(NEXT) | instid1(VALU_DEP_2)
	v_dual_mov_b32 v1, v3 :: v_dual_mov_b32 v0, v4
	v_mov_b32_e32 v2, v5
.LBB69_87:
	s_waitcnt lgkmcnt(0)
	global_load_b32 v2, v2, s[2:3]
	v_mov_b32_e32 v8, 0
	s_waitcnt vmcnt(0)
	v_trunc_f32_e32 v3, v2
	s_delay_alu instid0(VALU_DEP_1) | instskip(NEXT) | instid1(VALU_DEP_1)
	v_mul_f32_e64 v4, 0x2f800000, |v3|
	v_floor_f32_e32 v4, v4
	s_delay_alu instid0(VALU_DEP_1) | instskip(SKIP_2) | instid1(VALU_DEP_3)
	v_fma_f32 v5, 0xcf800000, v4, |v3|
	v_ashrrev_i32_e32 v3, 31, v3
	v_cvt_u32_f32_e32 v4, v4
	v_cvt_u32_f32_e32 v5, v5
	s_delay_alu instid0(VALU_DEP_2) | instskip(NEXT) | instid1(VALU_DEP_2)
	v_xor_b32_e32 v4, v4, v3
	v_xor_b32_e32 v5, v5, v3
	s_delay_alu instid0(VALU_DEP_1) | instskip(NEXT) | instid1(VALU_DEP_3)
	v_sub_co_u32 v5, vcc_lo, v5, v3
	v_sub_co_ci_u32_e32 v3, vcc_lo, v4, v3, vcc_lo
	v_cmp_class_f32_e64 vcc_lo, v2, 0x1f8
	s_delay_alu instid0(VALU_DEP_2) | instskip(SKIP_1) | instid1(VALU_DEP_1)
	v_dual_cndmask_b32 v6, -1, v3 :: v_dual_cndmask_b32 v5, -1, v5
	v_add_co_u32 v3, s2, s4, v1
	v_add_co_ci_u32_e64 v4, null, s5, 0, s2
	s_mov_b32 s4, exec_lo
	s_delay_alu instid0(VALU_DEP_3)
	v_cmpx_lt_i64_e32 -1, v[5:6]
	s_cbranch_execz .LBB69_99
; %bb.88:
	v_mov_b32_e32 v8, 1.0
	s_mov_b32 s5, exec_lo
	v_cmpx_lt_i64_e32 0, v[5:6]
	s_cbranch_execz .LBB69_98
; %bb.89:
	global_load_u16 v0, v0, s[6:7]
                                        ; implicit-def: $vgpr8
	s_mov_b32 s2, exec_lo
	s_waitcnt vmcnt(0)
	v_lshlrev_b32_e32 v0, 16, v0
	v_cmpx_ne_u64_e32 1, v[5:6]
	s_xor_b32 s6, exec_lo, s2
	s_cbranch_execz .LBB69_95
; %bb.90:
	v_mov_b32_e32 v8, 0x7fc00000
	s_mov_b32 s7, exec_lo
	v_cmpx_gt_u64_e32 0x81, v[5:6]
	s_cbranch_execz .LBB69_94
; %bb.91:
	v_add_f32_e32 v2, v0, v0
	v_lshlrev_b64 v[0:1], 1, v[5:6]
	v_mov_b32_e32 v5, 1.0
	s_mov_b64 s[2:3], 2
	s_mov_b32 s8, 0
	v_mov_b32_e32 v8, v2
	.p2align	6
.LBB69_92:                              ; =>This Inner Loop Header: Depth=1
	s_clz_i32_u32 s9, s3
	s_delay_alu instid0(SALU_CYCLE_1) | instskip(NEXT) | instid1(SALU_CYCLE_1)
	s_min_u32 s9, s9, 32
	s_lshl_b64 s[10:11], s[2:3], s9
	s_sub_i32 s9, 32, s9
	s_min_u32 s10, s10, 1
	s_delay_alu instid0(SALU_CYCLE_1) | instskip(SKIP_3) | instid1(SALU_CYCLE_1)
	s_or_b32 s10, s11, s10
	s_add_u32 s2, s2, 2
	v_cvt_f32_u32_e32 v6, s10
	s_addc_u32 s3, s3, 0
	v_cmp_ge_u64_e32 vcc_lo, s[2:3], v[0:1]
	s_delay_alu instid0(VALU_DEP_2) | instskip(SKIP_1) | instid1(VALU_DEP_1)
	v_ldexp_f32 v6, v6, s9
	s_or_b32 s8, vcc_lo, s8
	v_dual_mul_f32 v6, v5, v6 :: v_dual_mov_b32 v5, v8
	s_delay_alu instid0(VALU_DEP_1)
	v_fma_f32 v8, v2, v8, -v6
	s_and_not1_b32 exec_lo, exec_lo, s8
	s_cbranch_execnz .LBB69_92
; %bb.93:
	s_or_b32 exec_lo, exec_lo, s8
.LBB69_94:
	s_delay_alu instid0(SALU_CYCLE_1)
	s_or_b32 exec_lo, exec_lo, s7
                                        ; implicit-def: $vgpr0
.LBB69_95:
	s_and_not1_saveexec_b32 s2, s6
; %bb.96:
	v_add_f32_e32 v8, v0, v0
; %bb.97:
	s_or_b32 exec_lo, exec_lo, s2
.LBB69_98:
	s_delay_alu instid0(SALU_CYCLE_1)
	s_or_b32 exec_lo, exec_lo, s5
.LBB69_99:
	s_delay_alu instid0(SALU_CYCLE_1) | instskip(NEXT) | instid1(SALU_CYCLE_1)
	s_or_b32 exec_lo, exec_lo, s4
	s_mov_b32 s20, exec_lo
.LBB69_100:
	s_or_b32 exec_lo, exec_lo, s28
	s_waitcnt lgkmcnt(0)
	s_and_b32 s8, s20, exec_lo
                                        ; implicit-def: $vgpr12
                                        ; implicit-def: $vgpr6
	s_and_not1_saveexec_b32 s9, s25
	s_cbranch_execz .LBB69_2
.LBB69_101:
	v_cndmask_b32_e64 v10, 0, 1, s24
	s_and_not1_b32 vcc_lo, exec_lo, s24
	s_cbranch_vccnz .LBB69_107
; %bb.102:
	v_dual_mov_b32 v0, 0 :: v_dual_mov_b32 v3, 0
	v_mov_b32_e32 v4, 0
	s_cmp_lg_u32 s22, 0
	s_mov_b32 s4, 0
	s_cbranch_scc0 .LBB69_108
; %bb.103:
	s_min_u32 s5, s23, 15
	v_dual_mov_b32 v4, 0 :: v_dual_mov_b32 v3, 0
	s_add_i32 s2, s5, 1
	v_dual_mov_b32 v0, 0 :: v_dual_mov_b32 v1, v6
	s_and_b32 s6, s2, 30
	s_add_u32 s2, s0, 0xffffffec
	s_addc_u32 s3, s1, -1
	s_set_inst_prefetch_distance 0x1
	.p2align	6
.LBB69_104:                             ; =>This Inner Loop Header: Depth=1
	s_clause 0x2
	s_load_b128 s[12:15], s[2:3], 0x18
	s_load_b64 s[10:11], s[2:3], 0x28
	s_load_b128 s[16:19], s[2:3], 0xd8
	s_waitcnt lgkmcnt(0)
	v_mul_hi_u32 v2, s13, v1
	s_delay_alu instid0(VALU_DEP_1) | instskip(NEXT) | instid1(VALU_DEP_1)
	v_add_nc_u32_e32 v2, v1, v2
	v_lshrrev_b32_e32 v2, s14, v2
	s_delay_alu instid0(VALU_DEP_1)
	v_mul_hi_u32 v5, s10, v2
	v_mul_lo_u32 v7, v2, s12
	s_load_b64 s[12:13], s[2:3], 0xe8
	s_add_u32 s2, s2, 24
	s_addc_u32 s3, s3, 0
	s_add_i32 s6, s6, -2
	s_delay_alu instid0(SALU_CYCLE_1) | instskip(NEXT) | instid1(VALU_DEP_2)
	s_cmp_lg_u32 s6, 0
	v_add_nc_u32_e32 v5, v2, v5
	s_delay_alu instid0(VALU_DEP_2) | instskip(NEXT) | instid1(VALU_DEP_2)
	v_sub_nc_u32_e32 v7, v1, v7
	v_lshrrev_b32_e32 v1, s11, v5
	s_delay_alu instid0(VALU_DEP_2) | instskip(NEXT) | instid1(VALU_DEP_2)
	v_mul_lo_u32 v8, v7, s16
	v_mul_lo_u32 v5, v1, s15
	s_delay_alu instid0(VALU_DEP_1) | instskip(SKIP_2) | instid1(VALU_DEP_3)
	v_sub_nc_u32_e32 v2, v2, v5
	v_mul_lo_u32 v5, v7, s17
	v_mul_lo_u32 v7, v7, s18
	;; [unrolled: 1-line block ×3, first 2 shown]
	s_waitcnt lgkmcnt(0)
	v_mul_lo_u32 v11, v2, s12
	v_mul_lo_u32 v2, v2, s13
	s_delay_alu instid0(VALU_DEP_3) | instskip(NEXT) | instid1(VALU_DEP_3)
	v_add3_u32 v0, v8, v0, v9
	v_add3_u32 v3, v5, v3, v11
	s_delay_alu instid0(VALU_DEP_3)
	v_add3_u32 v4, v7, v4, v2
	s_cbranch_scc1 .LBB69_104
; %bb.105:
	s_set_inst_prefetch_distance 0x2
	s_bitcmp1_b32 s5, 0
	s_cselect_b32 s5, -1, 0
	s_delay_alu instid0(SALU_CYCLE_1)
	s_and_b32 vcc_lo, exec_lo, s5
	s_cbranch_vccnz .LBB69_108
; %bb.106:
	s_clause 0x3
	s_load_b64 s[6:7], s[2:3], 0x18
	s_load_b32 s5, s[2:3], 0x20
	s_load_b64 s[10:11], s[2:3], 0xd8
	s_load_b32 s2, s[2:3], 0xe0
	s_waitcnt lgkmcnt(0)
	v_mul_hi_u32 v2, s7, v1
	s_delay_alu instid0(VALU_DEP_1) | instskip(NEXT) | instid1(VALU_DEP_1)
	v_add_nc_u32_e32 v2, v1, v2
	v_lshrrev_b32_e32 v2, s5, v2
	s_delay_alu instid0(VALU_DEP_1) | instskip(NEXT) | instid1(VALU_DEP_1)
	v_mul_lo_u32 v2, v2, s6
	v_sub_nc_u32_e32 v5, v1, v2
	s_delay_alu instid0(VALU_DEP_1) | instskip(SKIP_2) | instid1(VALU_DEP_2)
	v_mad_u64_u32 v[1:2], null, v5, s10, v[0:1]
	v_mad_u64_u32 v[7:8], null, v5, s11, v[3:4]
	;; [unrolled: 1-line block ×3, first 2 shown]
	v_dual_mov_b32 v0, v1 :: v_dual_mov_b32 v3, v7
	s_delay_alu instid0(VALU_DEP_2)
	v_mov_b32_e32 v4, v2
	s_branch .LBB69_108
.LBB69_107:
	s_mov_b32 s4, -1
                                        ; implicit-def: $vgpr0
                                        ; implicit-def: $vgpr3
                                        ; implicit-def: $vgpr4
.LBB69_108:
	s_delay_alu instid0(SALU_CYCLE_1)
	s_and_not1_b32 vcc_lo, exec_lo, s4
	s_cbranch_vccnz .LBB69_111
; %bb.109:
	s_clause 0x1
	s_load_b128 s[4:7], s[0:1], 0x4
	s_load_b128 s[12:15], s[0:1], 0xc4
	s_cmp_lt_u32 s22, 2
	s_waitcnt lgkmcnt(0)
	v_mul_hi_u32 v0, s5, v6
	s_delay_alu instid0(VALU_DEP_1) | instskip(NEXT) | instid1(VALU_DEP_1)
	v_add_nc_u32_e32 v0, v6, v0
	v_lshrrev_b32_e32 v1, s6, v0
	s_delay_alu instid0(VALU_DEP_1) | instskip(NEXT) | instid1(VALU_DEP_1)
	v_mul_lo_u32 v0, v1, s4
	v_sub_nc_u32_e32 v2, v6, v0
	s_delay_alu instid0(VALU_DEP_1)
	v_mul_lo_u32 v0, v2, s12
	v_mul_lo_u32 v3, v2, s13
	;; [unrolled: 1-line block ×3, first 2 shown]
	s_cbranch_scc1 .LBB69_111
; %bb.110:
	s_clause 0x1
	s_load_b128 s[4:7], s[0:1], 0x10
	s_load_b128 s[12:15], s[0:1], 0xd0
	s_waitcnt lgkmcnt(0)
	v_mul_hi_u32 v2, s5, v1
	s_delay_alu instid0(VALU_DEP_1) | instskip(NEXT) | instid1(VALU_DEP_1)
	v_add_nc_u32_e32 v2, v1, v2
	v_lshrrev_b32_e32 v2, s6, v2
	s_delay_alu instid0(VALU_DEP_1) | instskip(NEXT) | instid1(VALU_DEP_1)
	v_mul_lo_u32 v2, v2, s4
	v_sub_nc_u32_e32 v5, v1, v2
	s_delay_alu instid0(VALU_DEP_1) | instskip(SKIP_2) | instid1(VALU_DEP_2)
	v_mad_u64_u32 v[1:2], null, v5, s12, v[0:1]
	v_mad_u64_u32 v[7:8], null, v5, s13, v[3:4]
	;; [unrolled: 1-line block ×3, first 2 shown]
	v_dual_mov_b32 v0, v1 :: v_dual_mov_b32 v3, v7
	s_delay_alu instid0(VALU_DEP_2)
	v_mov_b32_e32 v4, v2
.LBB69_111:
	v_cmp_ne_u32_e32 vcc_lo, 1, v10
	v_add_nc_u32_e32 v2, 0x80, v6
	s_cbranch_vccnz .LBB69_117
; %bb.112:
	v_mov_b32_e32 v1, 0
	v_mov_b32_e32 v5, 0
	;; [unrolled: 1-line block ×3, first 2 shown]
	s_cmp_lg_u32 s22, 0
	s_mov_b32 s4, 0
	s_cbranch_scc0 .LBB69_118
; %bb.113:
	s_min_u32 s5, s23, 15
	v_dual_mov_b32 v7, 0 :: v_dual_mov_b32 v8, v2
	s_add_i32 s2, s5, 1
	v_mov_b32_e32 v5, 0
	v_mov_b32_e32 v1, 0
	s_and_b32 s6, s2, 30
	s_add_u32 s2, s0, 0xffffffec
	s_addc_u32 s3, s1, -1
	s_set_inst_prefetch_distance 0x1
	.p2align	6
.LBB69_114:                             ; =>This Inner Loop Header: Depth=1
	s_clause 0x2
	s_load_b128 s[12:15], s[2:3], 0x18
	s_load_b64 s[10:11], s[2:3], 0x28
	s_load_b128 s[16:19], s[2:3], 0xd8
	s_waitcnt lgkmcnt(0)
	v_mul_hi_u32 v9, s13, v8
	s_delay_alu instid0(VALU_DEP_1) | instskip(NEXT) | instid1(VALU_DEP_1)
	v_add_nc_u32_e32 v9, v8, v9
	v_lshrrev_b32_e32 v9, s14, v9
	s_delay_alu instid0(VALU_DEP_1)
	v_mul_hi_u32 v11, s10, v9
	v_mul_lo_u32 v13, v9, s12
	s_load_b64 s[12:13], s[2:3], 0xe8
	s_add_u32 s2, s2, 24
	s_addc_u32 s3, s3, 0
	s_add_i32 s6, s6, -2
	s_delay_alu instid0(SALU_CYCLE_1) | instskip(NEXT) | instid1(VALU_DEP_2)
	s_cmp_lg_u32 s6, 0
	v_add_nc_u32_e32 v11, v9, v11
	s_delay_alu instid0(VALU_DEP_2) | instskip(NEXT) | instid1(VALU_DEP_2)
	v_sub_nc_u32_e32 v13, v8, v13
	v_lshrrev_b32_e32 v8, s11, v11
	s_delay_alu instid0(VALU_DEP_2) | instskip(NEXT) | instid1(VALU_DEP_2)
	v_mul_lo_u32 v14, v13, s16
	v_mul_lo_u32 v11, v8, s15
	s_delay_alu instid0(VALU_DEP_1) | instskip(SKIP_2) | instid1(VALU_DEP_3)
	v_sub_nc_u32_e32 v9, v9, v11
	v_mul_lo_u32 v11, v13, s17
	v_mul_lo_u32 v13, v13, s18
	;; [unrolled: 1-line block ×3, first 2 shown]
	s_waitcnt lgkmcnt(0)
	v_mul_lo_u32 v16, v9, s12
	v_mul_lo_u32 v9, v9, s13
	s_delay_alu instid0(VALU_DEP_3) | instskip(NEXT) | instid1(VALU_DEP_3)
	v_add3_u32 v1, v14, v1, v15
	v_add3_u32 v5, v11, v5, v16
	s_delay_alu instid0(VALU_DEP_3)
	v_add3_u32 v7, v13, v7, v9
	s_cbranch_scc1 .LBB69_114
; %bb.115:
	s_set_inst_prefetch_distance 0x2
	s_bitcmp1_b32 s5, 0
	s_cselect_b32 s5, -1, 0
	s_delay_alu instid0(SALU_CYCLE_1)
	s_and_b32 vcc_lo, exec_lo, s5
	s_cbranch_vccnz .LBB69_118
; %bb.116:
	s_clause 0x3
	s_load_b64 s[6:7], s[2:3], 0x18
	s_load_b32 s5, s[2:3], 0x20
	s_load_b64 s[10:11], s[2:3], 0xd8
	s_load_b32 s2, s[2:3], 0xe0
	s_waitcnt lgkmcnt(0)
	v_mul_hi_u32 v9, s7, v8
	s_delay_alu instid0(VALU_DEP_1) | instskip(NEXT) | instid1(VALU_DEP_1)
	v_add_nc_u32_e32 v9, v8, v9
	v_lshrrev_b32_e32 v9, s5, v9
	s_delay_alu instid0(VALU_DEP_1) | instskip(NEXT) | instid1(VALU_DEP_1)
	v_mul_lo_u32 v9, v9, s6
	v_sub_nc_u32_e32 v11, v8, v9
	s_delay_alu instid0(VALU_DEP_1) | instskip(SKIP_1) | instid1(VALU_DEP_2)
	v_mad_u64_u32 v[8:9], null, v11, s10, v[1:2]
	v_mad_u64_u32 v[13:14], null, v11, s11, v[5:6]
	v_mad_u64_u32 v[14:15], null, v11, s2, v[7:8]
	v_mov_b32_e32 v1, v8
	s_delay_alu instid0(VALU_DEP_3) | instskip(NEXT) | instid1(VALU_DEP_3)
	v_mov_b32_e32 v5, v13
	v_mov_b32_e32 v7, v14
	s_branch .LBB69_118
.LBB69_117:
	s_mov_b32 s4, -1
                                        ; implicit-def: $vgpr1
                                        ; implicit-def: $vgpr5
                                        ; implicit-def: $vgpr7
.LBB69_118:
	s_delay_alu instid0(SALU_CYCLE_1)
	s_and_not1_b32 vcc_lo, exec_lo, s4
	s_cbranch_vccnz .LBB69_121
; %bb.119:
	s_clause 0x1
	s_load_b128 s[4:7], s[0:1], 0x4
	s_load_b128 s[12:15], s[0:1], 0xc4
	s_cmp_lt_u32 s22, 2
	s_waitcnt lgkmcnt(0)
	v_mul_hi_u32 v1, s5, v2
	s_delay_alu instid0(VALU_DEP_1) | instskip(NEXT) | instid1(VALU_DEP_1)
	v_add_nc_u32_e32 v1, v2, v1
	v_lshrrev_b32_e32 v8, s6, v1
	s_delay_alu instid0(VALU_DEP_1) | instskip(NEXT) | instid1(VALU_DEP_1)
	v_mul_lo_u32 v1, v8, s4
	v_sub_nc_u32_e32 v2, v2, v1
	s_delay_alu instid0(VALU_DEP_1)
	v_mul_lo_u32 v1, v2, s12
	v_mul_lo_u32 v5, v2, s13
	;; [unrolled: 1-line block ×3, first 2 shown]
	s_cbranch_scc1 .LBB69_121
; %bb.120:
	s_clause 0x1
	s_load_b128 s[4:7], s[0:1], 0x10
	s_load_b128 s[12:15], s[0:1], 0xd0
	s_waitcnt lgkmcnt(0)
	v_mul_hi_u32 v2, s5, v8
	s_delay_alu instid0(VALU_DEP_1) | instskip(NEXT) | instid1(VALU_DEP_1)
	v_add_nc_u32_e32 v2, v8, v2
	v_lshrrev_b32_e32 v2, s6, v2
	s_delay_alu instid0(VALU_DEP_1) | instskip(NEXT) | instid1(VALU_DEP_1)
	v_mul_lo_u32 v2, v2, s4
	v_sub_nc_u32_e32 v2, v8, v2
	s_delay_alu instid0(VALU_DEP_1) | instskip(SKIP_1) | instid1(VALU_DEP_2)
	v_mad_u64_u32 v[8:9], null, v2, s12, v[1:2]
	v_mad_u64_u32 v[13:14], null, v2, s13, v[5:6]
	;; [unrolled: 1-line block ×3, first 2 shown]
	s_delay_alu instid0(VALU_DEP_2) | instskip(SKIP_1) | instid1(VALU_DEP_3)
	v_mov_b32_e32 v5, v13
	v_mov_b32_e32 v1, v8
	;; [unrolled: 1-line block ×3, first 2 shown]
.LBB69_121:
	v_cmp_ne_u32_e32 vcc_lo, 1, v10
	v_add_nc_u32_e32 v6, 0x100, v6
	s_cbranch_vccnz .LBB69_127
; %bb.122:
	v_dual_mov_b32 v2, 0 :: v_dual_mov_b32 v9, 0
	v_mov_b32_e32 v8, 0
	s_cmp_lg_u32 s22, 0
	s_mov_b32 s4, 0
	s_cbranch_scc0 .LBB69_128
; %bb.123:
	s_min_u32 s5, s23, 15
	v_dual_mov_b32 v9, 0 :: v_dual_mov_b32 v8, 0
	s_add_i32 s2, s5, 1
	v_dual_mov_b32 v2, 0 :: v_dual_mov_b32 v11, v6
	s_and_b32 s6, s2, 30
	s_add_u32 s2, s0, 0xffffffec
	s_addc_u32 s3, s1, -1
	s_set_inst_prefetch_distance 0x1
	.p2align	6
.LBB69_124:                             ; =>This Inner Loop Header: Depth=1
	s_clause 0x2
	s_load_b128 s[12:15], s[2:3], 0x18
	s_load_b64 s[10:11], s[2:3], 0x28
	s_load_b128 s[16:19], s[2:3], 0xd8
	s_waitcnt lgkmcnt(0)
	v_mul_hi_u32 v13, s13, v11
	s_delay_alu instid0(VALU_DEP_1) | instskip(NEXT) | instid1(VALU_DEP_1)
	v_add_nc_u32_e32 v13, v11, v13
	v_lshrrev_b32_e32 v13, s14, v13
	s_delay_alu instid0(VALU_DEP_1)
	v_mul_hi_u32 v14, s10, v13
	v_mul_lo_u32 v15, v13, s12
	s_load_b64 s[12:13], s[2:3], 0xe8
	s_add_u32 s2, s2, 24
	s_addc_u32 s3, s3, 0
	s_add_i32 s6, s6, -2
	s_delay_alu instid0(SALU_CYCLE_1) | instskip(NEXT) | instid1(VALU_DEP_2)
	s_cmp_lg_u32 s6, 0
	v_add_nc_u32_e32 v14, v13, v14
	s_delay_alu instid0(VALU_DEP_2) | instskip(NEXT) | instid1(VALU_DEP_2)
	v_sub_nc_u32_e32 v15, v11, v15
	v_lshrrev_b32_e32 v11, s11, v14
	s_delay_alu instid0(VALU_DEP_2) | instskip(NEXT) | instid1(VALU_DEP_2)
	v_mul_lo_u32 v16, v15, s16
	v_mul_lo_u32 v14, v11, s15
	s_delay_alu instid0(VALU_DEP_1) | instskip(SKIP_2) | instid1(VALU_DEP_3)
	v_sub_nc_u32_e32 v13, v13, v14
	v_mul_lo_u32 v14, v15, s17
	v_mul_lo_u32 v15, v15, s18
	v_mul_lo_u32 v17, v13, s19
	s_waitcnt lgkmcnt(0)
	v_mul_lo_u32 v18, v13, s12
	v_mul_lo_u32 v13, v13, s13
	s_delay_alu instid0(VALU_DEP_3) | instskip(NEXT) | instid1(VALU_DEP_3)
	v_add3_u32 v2, v16, v2, v17
	v_add3_u32 v8, v14, v8, v18
	s_delay_alu instid0(VALU_DEP_3)
	v_add3_u32 v9, v15, v9, v13
	s_cbranch_scc1 .LBB69_124
; %bb.125:
	s_set_inst_prefetch_distance 0x2
	s_bitcmp1_b32 s5, 0
	s_cselect_b32 s5, -1, 0
	s_delay_alu instid0(SALU_CYCLE_1)
	s_and_b32 vcc_lo, exec_lo, s5
	s_cbranch_vccnz .LBB69_128
; %bb.126:
	s_clause 0x3
	s_load_b64 s[6:7], s[2:3], 0x18
	s_load_b32 s5, s[2:3], 0x20
	s_load_b64 s[10:11], s[2:3], 0xd8
	s_load_b32 s2, s[2:3], 0xe0
	s_waitcnt lgkmcnt(0)
	v_mul_hi_u32 v13, s7, v11
	s_delay_alu instid0(VALU_DEP_1) | instskip(NEXT) | instid1(VALU_DEP_1)
	v_add_nc_u32_e32 v13, v11, v13
	v_lshrrev_b32_e32 v13, s5, v13
	s_delay_alu instid0(VALU_DEP_1) | instskip(NEXT) | instid1(VALU_DEP_1)
	v_mul_lo_u32 v13, v13, s6
	v_sub_nc_u32_e32 v11, v11, v13
	s_delay_alu instid0(VALU_DEP_1) | instskip(SKIP_2) | instid1(VALU_DEP_3)
	v_mad_u64_u32 v[13:14], null, v11, s10, v[2:3]
	v_mad_u64_u32 v[14:15], null, v11, s11, v[8:9]
	;; [unrolled: 1-line block ×3, first 2 shown]
	v_mov_b32_e32 v2, v13
	s_delay_alu instid0(VALU_DEP_2)
	v_dual_mov_b32 v8, v14 :: v_dual_mov_b32 v9, v15
	s_branch .LBB69_128
.LBB69_127:
	s_mov_b32 s4, -1
                                        ; implicit-def: $vgpr2
                                        ; implicit-def: $vgpr8
                                        ; implicit-def: $vgpr9
.LBB69_128:
	s_delay_alu instid0(SALU_CYCLE_1)
	s_and_not1_b32 vcc_lo, exec_lo, s4
	s_cbranch_vccnz .LBB69_131
; %bb.129:
	s_clause 0x1
	s_load_b128 s[4:7], s[0:1], 0x4
	s_load_b128 s[12:15], s[0:1], 0xc4
	s_cmp_lt_u32 s22, 2
	s_waitcnt lgkmcnt(0)
	v_mul_hi_u32 v2, s5, v6
	s_delay_alu instid0(VALU_DEP_1) | instskip(NEXT) | instid1(VALU_DEP_1)
	v_add_nc_u32_e32 v2, v6, v2
	v_lshrrev_b32_e32 v11, s6, v2
	s_delay_alu instid0(VALU_DEP_1) | instskip(NEXT) | instid1(VALU_DEP_1)
	v_mul_lo_u32 v2, v11, s4
	v_sub_nc_u32_e32 v6, v6, v2
	s_delay_alu instid0(VALU_DEP_1)
	v_mul_lo_u32 v2, v6, s12
	v_mul_lo_u32 v8, v6, s13
	v_mul_lo_u32 v9, v6, s14
	s_cbranch_scc1 .LBB69_131
; %bb.130:
	s_clause 0x1
	s_load_b128 s[4:7], s[0:1], 0x10
	s_load_b128 s[12:15], s[0:1], 0xd0
	s_waitcnt lgkmcnt(0)
	v_mul_hi_u32 v6, s5, v11
	s_delay_alu instid0(VALU_DEP_1) | instskip(NEXT) | instid1(VALU_DEP_1)
	v_add_nc_u32_e32 v6, v11, v6
	v_lshrrev_b32_e32 v6, s6, v6
	s_delay_alu instid0(VALU_DEP_1) | instskip(NEXT) | instid1(VALU_DEP_1)
	v_mul_lo_u32 v6, v6, s4
	v_sub_nc_u32_e32 v6, v11, v6
	s_delay_alu instid0(VALU_DEP_1) | instskip(SKIP_2) | instid1(VALU_DEP_3)
	v_mad_u64_u32 v[13:14], null, v6, s12, v[2:3]
	v_mad_u64_u32 v[14:15], null, v6, s13, v[8:9]
	;; [unrolled: 1-line block ×3, first 2 shown]
	v_mov_b32_e32 v2, v13
	s_delay_alu instid0(VALU_DEP_2)
	v_dual_mov_b32 v8, v14 :: v_dual_mov_b32 v9, v15
.LBB69_131:
	v_cmp_ne_u32_e32 vcc_lo, 1, v10
	s_cbranch_vccnz .LBB69_137
; %bb.132:
	v_dual_mov_b32 v6, 0 :: v_dual_mov_b32 v11, 0
	v_mov_b32_e32 v10, 0
	s_cmp_lg_u32 s22, 0
	s_mov_b32 s4, 0
	s_cbranch_scc0 .LBB69_138
; %bb.133:
	s_min_u32 s5, s23, 15
	v_dual_mov_b32 v11, 0 :: v_dual_mov_b32 v10, 0
	s_add_i32 s2, s5, 1
	v_dual_mov_b32 v6, 0 :: v_dual_mov_b32 v13, v12
	s_and_b32 s6, s2, 30
	s_add_u32 s2, s0, 0xffffffec
	s_addc_u32 s3, s1, -1
	s_set_inst_prefetch_distance 0x1
	.p2align	6
.LBB69_134:                             ; =>This Inner Loop Header: Depth=1
	s_clause 0x2
	s_load_b128 s[12:15], s[2:3], 0x18
	s_load_b64 s[10:11], s[2:3], 0x28
	s_load_b128 s[16:19], s[2:3], 0xd8
	s_waitcnt lgkmcnt(0)
	v_mul_hi_u32 v14, s13, v13
	s_delay_alu instid0(VALU_DEP_1) | instskip(NEXT) | instid1(VALU_DEP_1)
	v_add_nc_u32_e32 v14, v13, v14
	v_lshrrev_b32_e32 v14, s14, v14
	s_delay_alu instid0(VALU_DEP_1)
	v_mul_hi_u32 v15, s10, v14
	v_mul_lo_u32 v16, v14, s12
	s_load_b64 s[12:13], s[2:3], 0xe8
	s_add_u32 s2, s2, 24
	s_addc_u32 s3, s3, 0
	s_add_i32 s6, s6, -2
	s_delay_alu instid0(SALU_CYCLE_1) | instskip(NEXT) | instid1(VALU_DEP_2)
	s_cmp_lg_u32 s6, 0
	v_add_nc_u32_e32 v15, v14, v15
	s_delay_alu instid0(VALU_DEP_2) | instskip(NEXT) | instid1(VALU_DEP_2)
	v_sub_nc_u32_e32 v16, v13, v16
	v_lshrrev_b32_e32 v13, s11, v15
	s_delay_alu instid0(VALU_DEP_2) | instskip(NEXT) | instid1(VALU_DEP_2)
	v_mul_lo_u32 v17, v16, s16
	v_mul_lo_u32 v15, v13, s15
	s_delay_alu instid0(VALU_DEP_1) | instskip(SKIP_2) | instid1(VALU_DEP_3)
	v_sub_nc_u32_e32 v14, v14, v15
	v_mul_lo_u32 v15, v16, s17
	v_mul_lo_u32 v16, v16, s18
	;; [unrolled: 1-line block ×3, first 2 shown]
	s_waitcnt lgkmcnt(0)
	v_mul_lo_u32 v19, v14, s12
	v_mul_lo_u32 v14, v14, s13
	s_delay_alu instid0(VALU_DEP_3) | instskip(NEXT) | instid1(VALU_DEP_3)
	v_add3_u32 v6, v17, v6, v18
	v_add3_u32 v10, v15, v10, v19
	s_delay_alu instid0(VALU_DEP_3)
	v_add3_u32 v11, v16, v11, v14
	s_cbranch_scc1 .LBB69_134
; %bb.135:
	s_set_inst_prefetch_distance 0x2
	s_bitcmp1_b32 s5, 0
	s_cselect_b32 s5, -1, 0
	s_delay_alu instid0(SALU_CYCLE_1)
	s_and_b32 vcc_lo, exec_lo, s5
	s_cbranch_vccnz .LBB69_138
; %bb.136:
	s_clause 0x3
	s_load_b64 s[6:7], s[2:3], 0x18
	s_load_b32 s5, s[2:3], 0x20
	s_load_b64 s[10:11], s[2:3], 0xd8
	s_load_b32 s2, s[2:3], 0xe0
	s_waitcnt lgkmcnt(0)
	v_mul_hi_u32 v14, s7, v13
	s_delay_alu instid0(VALU_DEP_1) | instskip(NEXT) | instid1(VALU_DEP_1)
	v_add_nc_u32_e32 v14, v13, v14
	v_lshrrev_b32_e32 v14, s5, v14
	s_delay_alu instid0(VALU_DEP_1) | instskip(NEXT) | instid1(VALU_DEP_1)
	v_mul_lo_u32 v14, v14, s6
	v_sub_nc_u32_e32 v17, v13, v14
	s_delay_alu instid0(VALU_DEP_1) | instskip(SKIP_2) | instid1(VALU_DEP_3)
	v_mad_u64_u32 v[13:14], null, v17, s10, v[6:7]
	v_mad_u64_u32 v[14:15], null, v17, s11, v[10:11]
	;; [unrolled: 1-line block ×3, first 2 shown]
	v_mov_b32_e32 v6, v13
	s_delay_alu instid0(VALU_DEP_2)
	v_dual_mov_b32 v10, v14 :: v_dual_mov_b32 v11, v15
	s_branch .LBB69_138
.LBB69_137:
	s_mov_b32 s4, -1
                                        ; implicit-def: $vgpr6
                                        ; implicit-def: $vgpr10
                                        ; implicit-def: $vgpr11
.LBB69_138:
	s_delay_alu instid0(SALU_CYCLE_1)
	s_and_not1_b32 vcc_lo, exec_lo, s4
	s_cbranch_vccnz .LBB69_141
; %bb.139:
	s_clause 0x1
	s_load_b128 s[4:7], s[0:1], 0x4
	s_load_b128 s[12:15], s[0:1], 0xc4
	s_cmp_lt_u32 s22, 2
	s_waitcnt lgkmcnt(0)
	v_mul_hi_u32 v6, s5, v12
	s_delay_alu instid0(VALU_DEP_1) | instskip(NEXT) | instid1(VALU_DEP_1)
	v_add_nc_u32_e32 v6, v12, v6
	v_lshrrev_b32_e32 v13, s6, v6
	s_delay_alu instid0(VALU_DEP_1) | instskip(NEXT) | instid1(VALU_DEP_1)
	v_mul_lo_u32 v6, v13, s4
	v_sub_nc_u32_e32 v11, v12, v6
	s_delay_alu instid0(VALU_DEP_1)
	v_mul_lo_u32 v6, v11, s12
	v_mul_lo_u32 v10, v11, s13
	;; [unrolled: 1-line block ×3, first 2 shown]
	s_cbranch_scc1 .LBB69_141
; %bb.140:
	s_clause 0x1
	s_load_b128 s[4:7], s[0:1], 0x10
	s_load_b128 s[12:15], s[0:1], 0xd0
	s_waitcnt lgkmcnt(0)
	v_mul_hi_u32 v12, s5, v13
	s_delay_alu instid0(VALU_DEP_1) | instskip(NEXT) | instid1(VALU_DEP_1)
	v_add_nc_u32_e32 v12, v13, v12
	v_lshrrev_b32_e32 v12, s6, v12
	s_delay_alu instid0(VALU_DEP_1) | instskip(NEXT) | instid1(VALU_DEP_1)
	v_mul_lo_u32 v12, v12, s4
	v_sub_nc_u32_e32 v16, v13, v12
	s_delay_alu instid0(VALU_DEP_1) | instskip(SKIP_1) | instid1(VALU_DEP_2)
	v_mad_u64_u32 v[12:13], null, v16, s12, v[6:7]
	v_mad_u64_u32 v[13:14], null, v16, s13, v[10:11]
	;; [unrolled: 1-line block ×3, first 2 shown]
	v_mov_b32_e32 v6, v12
	s_delay_alu instid0(VALU_DEP_2)
	v_dual_mov_b32 v10, v13 :: v_dual_mov_b32 v11, v14
.LBB69_141:
	s_clause 0x1
	s_load_b64 s[4:5], s[0:1], 0x198
	s_load_b128 s[0:3], s[0:1], 0x188
	s_mov_b32 s10, exec_lo
	s_waitcnt lgkmcnt(0)
	global_load_b32 v4, v4, s[4:5]
	s_waitcnt vmcnt(0)
	v_trunc_f32_e32 v12, v4
	s_delay_alu instid0(VALU_DEP_1) | instskip(NEXT) | instid1(VALU_DEP_1)
	v_mul_f32_e64 v13, 0x2f800000, |v12|
	v_floor_f32_e32 v13, v13
	s_delay_alu instid0(VALU_DEP_1) | instskip(SKIP_2) | instid1(VALU_DEP_3)
	v_fma_f32 v14, 0xcf800000, v13, |v12|
	v_ashrrev_i32_e32 v12, 31, v12
	v_cvt_u32_f32_e32 v13, v13
	v_cvt_u32_f32_e32 v14, v14
	s_delay_alu instid0(VALU_DEP_2) | instskip(NEXT) | instid1(VALU_DEP_2)
	v_xor_b32_e32 v13, v13, v12
	v_xor_b32_e32 v14, v14, v12
	s_delay_alu instid0(VALU_DEP_1) | instskip(NEXT) | instid1(VALU_DEP_3)
	v_sub_co_u32 v14, vcc_lo, v14, v12
	v_sub_co_ci_u32_e32 v12, vcc_lo, v13, v12, vcc_lo
	v_cmp_class_f32_e64 vcc_lo, v4, 0x1f8
	s_delay_alu instid0(VALU_DEP_2) | instskip(SKIP_1) | instid1(VALU_DEP_2)
	v_dual_cndmask_b32 v13, -1, v12 :: v_dual_cndmask_b32 v12, -1, v14
	v_mov_b32_e32 v14, 0
	v_cmpx_lt_i64_e32 -1, v[12:13]
	s_cbranch_execz .LBB69_153
; %bb.142:
	v_mov_b32_e32 v14, 1.0
	s_mov_b32 s11, exec_lo
	v_cmpx_lt_i64_e32 0, v[12:13]
	s_cbranch_execz .LBB69_152
; %bb.143:
	global_load_u16 v3, v3, s[2:3]
                                        ; implicit-def: $vgpr14
	s_mov_b32 s6, exec_lo
	s_waitcnt vmcnt(0)
	v_lshlrev_b32_e32 v3, 16, v3
	v_cmpx_ne_u64_e32 1, v[12:13]
	s_xor_b32 s12, exec_lo, s6
	s_cbranch_execz .LBB69_149
; %bb.144:
	v_mov_b32_e32 v14, 0x7fc00000
	s_mov_b32 s13, exec_lo
	v_cmpx_gt_u64_e32 0x81, v[12:13]
	s_cbranch_execz .LBB69_148
; %bb.145:
	v_add_f32_e32 v15, v3, v3
	v_lshlrev_b64 v[3:4], 1, v[12:13]
	v_mov_b32_e32 v12, 1.0
	s_mov_b64 s[6:7], 2
	s_mov_b32 s14, 0
	v_mov_b32_e32 v14, v15
	.p2align	6
.LBB69_146:                             ; =>This Inner Loop Header: Depth=1
	s_clz_i32_u32 s15, s7
	s_delay_alu instid0(SALU_CYCLE_1) | instskip(NEXT) | instid1(SALU_CYCLE_1)
	s_min_u32 s15, s15, 32
	s_lshl_b64 s[16:17], s[6:7], s15
	s_sub_i32 s15, 32, s15
	s_min_u32 s16, s16, 1
	s_delay_alu instid0(SALU_CYCLE_1) | instskip(SKIP_3) | instid1(SALU_CYCLE_1)
	s_or_b32 s16, s17, s16
	s_add_u32 s6, s6, 2
	v_cvt_f32_u32_e32 v13, s16
	s_addc_u32 s7, s7, 0
	v_cmp_ge_u64_e32 vcc_lo, s[6:7], v[3:4]
	s_delay_alu instid0(VALU_DEP_2) | instskip(SKIP_1) | instid1(VALU_DEP_1)
	v_ldexp_f32 v13, v13, s15
	s_or_b32 s14, vcc_lo, s14
	v_dual_mul_f32 v13, v12, v13 :: v_dual_mov_b32 v12, v14
	s_delay_alu instid0(VALU_DEP_1)
	v_fma_f32 v14, v15, v14, -v13
	s_and_not1_b32 exec_lo, exec_lo, s14
	s_cbranch_execnz .LBB69_146
; %bb.147:
	s_or_b32 exec_lo, exec_lo, s14
.LBB69_148:
	s_delay_alu instid0(SALU_CYCLE_1)
	s_or_b32 exec_lo, exec_lo, s13
                                        ; implicit-def: $vgpr3
.LBB69_149:
	s_and_not1_saveexec_b32 s6, s12
; %bb.150:
	v_add_f32_e32 v14, v3, v3
; %bb.151:
	s_or_b32 exec_lo, exec_lo, s6
.LBB69_152:
	s_delay_alu instid0(SALU_CYCLE_1)
	s_or_b32 exec_lo, exec_lo, s11
.LBB69_153:
	s_delay_alu instid0(SALU_CYCLE_1) | instskip(SKIP_4) | instid1(VALU_DEP_1)
	s_or_b32 exec_lo, exec_lo, s10
	global_load_b32 v3, v7, s[4:5]
	s_mov_b32 s10, exec_lo
	s_waitcnt vmcnt(0)
	v_trunc_f32_e32 v4, v3
	v_mul_f32_e64 v7, 0x2f800000, |v4|
	s_delay_alu instid0(VALU_DEP_1) | instskip(NEXT) | instid1(VALU_DEP_1)
	v_floor_f32_e32 v7, v7
	v_fma_f32 v12, 0xcf800000, v7, |v4|
	v_ashrrev_i32_e32 v4, 31, v4
	v_cvt_u32_f32_e32 v7, v7
	s_delay_alu instid0(VALU_DEP_3) | instskip(NEXT) | instid1(VALU_DEP_2)
	v_cvt_u32_f32_e32 v12, v12
	v_xor_b32_e32 v7, v7, v4
	s_delay_alu instid0(VALU_DEP_2) | instskip(NEXT) | instid1(VALU_DEP_1)
	v_xor_b32_e32 v12, v12, v4
	v_sub_co_u32 v12, vcc_lo, v12, v4
	s_delay_alu instid0(VALU_DEP_3) | instskip(SKIP_1) | instid1(VALU_DEP_2)
	v_sub_co_ci_u32_e32 v4, vcc_lo, v7, v4, vcc_lo
	v_cmp_class_f32_e64 vcc_lo, v3, 0x1f8
	v_dual_mov_b32 v7, 0 :: v_dual_cndmask_b32 v4, -1, v4
	s_delay_alu instid0(VALU_DEP_4) | instskip(NEXT) | instid1(VALU_DEP_1)
	v_cndmask_b32_e32 v3, -1, v12, vcc_lo
	v_cmpx_lt_i64_e32 -1, v[3:4]
	s_cbranch_execz .LBB69_165
; %bb.154:
	v_mov_b32_e32 v7, 1.0
	s_mov_b32 s11, exec_lo
	v_cmpx_lt_i64_e32 0, v[3:4]
	s_cbranch_execz .LBB69_164
; %bb.155:
	global_load_u16 v5, v5, s[2:3]
                                        ; implicit-def: $vgpr7
	s_mov_b32 s6, exec_lo
	s_waitcnt vmcnt(0)
	v_lshlrev_b32_e32 v5, 16, v5
	v_cmpx_ne_u64_e32 1, v[3:4]
	s_xor_b32 s12, exec_lo, s6
	s_cbranch_execz .LBB69_161
; %bb.156:
	v_mov_b32_e32 v7, 0x7fc00000
	s_mov_b32 s13, exec_lo
	v_cmpx_gt_u64_e32 0x81, v[3:4]
	s_cbranch_execz .LBB69_160
; %bb.157:
	v_dual_add_f32 v5, v5, v5 :: v_dual_mov_b32 v12, 1.0
	v_lshlrev_b64 v[3:4], 1, v[3:4]
	s_mov_b64 s[6:7], 2
	s_mov_b32 s14, 0
	s_delay_alu instid0(VALU_DEP_2)
	v_mov_b32_e32 v7, v5
	.p2align	6
.LBB69_158:                             ; =>This Inner Loop Header: Depth=1
	s_clz_i32_u32 s15, s7
	s_delay_alu instid0(SALU_CYCLE_1) | instskip(NEXT) | instid1(SALU_CYCLE_1)
	s_min_u32 s15, s15, 32
	s_lshl_b64 s[16:17], s[6:7], s15
	s_sub_i32 s15, 32, s15
	s_min_u32 s16, s16, 1
	s_delay_alu instid0(SALU_CYCLE_1) | instskip(SKIP_3) | instid1(SALU_CYCLE_1)
	s_or_b32 s16, s17, s16
	s_add_u32 s6, s6, 2
	v_cvt_f32_u32_e32 v13, s16
	s_addc_u32 s7, s7, 0
	v_cmp_ge_u64_e32 vcc_lo, s[6:7], v[3:4]
	s_delay_alu instid0(VALU_DEP_2) | instskip(SKIP_1) | instid1(VALU_DEP_1)
	v_ldexp_f32 v13, v13, s15
	s_or_b32 s14, vcc_lo, s14
	v_dual_mul_f32 v13, v12, v13 :: v_dual_mov_b32 v12, v7
	s_delay_alu instid0(VALU_DEP_1)
	v_fma_f32 v7, v5, v7, -v13
	s_and_not1_b32 exec_lo, exec_lo, s14
	s_cbranch_execnz .LBB69_158
; %bb.159:
	s_or_b32 exec_lo, exec_lo, s14
.LBB69_160:
	s_delay_alu instid0(SALU_CYCLE_1)
	s_or_b32 exec_lo, exec_lo, s13
                                        ; implicit-def: $vgpr5
.LBB69_161:
	s_and_not1_saveexec_b32 s6, s12
; %bb.162:
	v_add_f32_e32 v7, v5, v5
; %bb.163:
	s_or_b32 exec_lo, exec_lo, s6
.LBB69_164:
	s_delay_alu instid0(SALU_CYCLE_1)
	s_or_b32 exec_lo, exec_lo, s11
.LBB69_165:
	s_delay_alu instid0(SALU_CYCLE_1) | instskip(SKIP_4) | instid1(VALU_DEP_1)
	s_or_b32 exec_lo, exec_lo, s10
	global_load_b32 v3, v9, s[4:5]
	s_mov_b32 s10, exec_lo
	s_waitcnt vmcnt(0)
	v_trunc_f32_e32 v4, v3
	v_mul_f32_e64 v5, 0x2f800000, |v4|
	s_delay_alu instid0(VALU_DEP_1) | instskip(NEXT) | instid1(VALU_DEP_1)
	v_floor_f32_e32 v5, v5
	v_fma_f32 v9, 0xcf800000, v5, |v4|
	v_ashrrev_i32_e32 v4, 31, v4
	v_cvt_u32_f32_e32 v5, v5
	s_delay_alu instid0(VALU_DEP_3) | instskip(NEXT) | instid1(VALU_DEP_2)
	v_cvt_u32_f32_e32 v9, v9
	v_xor_b32_e32 v5, v5, v4
	s_delay_alu instid0(VALU_DEP_2) | instskip(NEXT) | instid1(VALU_DEP_1)
	v_xor_b32_e32 v9, v9, v4
	v_sub_co_u32 v9, vcc_lo, v9, v4
	s_delay_alu instid0(VALU_DEP_3) | instskip(SKIP_1) | instid1(VALU_DEP_2)
	v_sub_co_ci_u32_e32 v4, vcc_lo, v5, v4, vcc_lo
	v_cmp_class_f32_e64 vcc_lo, v3, 0x1f8
	v_dual_mov_b32 v5, 0 :: v_dual_cndmask_b32 v4, -1, v4
	s_delay_alu instid0(VALU_DEP_4) | instskip(NEXT) | instid1(VALU_DEP_1)
	v_cndmask_b32_e32 v3, -1, v9, vcc_lo
	v_cmpx_lt_i64_e32 -1, v[3:4]
	s_cbranch_execz .LBB69_177
; %bb.166:
	v_mov_b32_e32 v5, 1.0
	s_mov_b32 s11, exec_lo
	v_cmpx_lt_i64_e32 0, v[3:4]
	s_cbranch_execz .LBB69_176
; %bb.167:
	global_load_u16 v5, v8, s[2:3]
	s_mov_b32 s6, exec_lo
	s_waitcnt vmcnt(0)
	v_lshlrev_b32_e32 v8, 16, v5
                                        ; implicit-def: $vgpr5
	v_cmpx_ne_u64_e32 1, v[3:4]
	s_xor_b32 s12, exec_lo, s6
	s_cbranch_execz .LBB69_173
; %bb.168:
	v_mov_b32_e32 v5, 0x7fc00000
	s_mov_b32 s13, exec_lo
	v_cmpx_gt_u64_e32 0x81, v[3:4]
	s_cbranch_execz .LBB69_172
; %bb.169:
	v_dual_add_f32 v8, v8, v8 :: v_dual_mov_b32 v9, 1.0
	v_lshlrev_b64 v[3:4], 1, v[3:4]
	s_mov_b64 s[6:7], 2
	s_mov_b32 s14, 0
	s_delay_alu instid0(VALU_DEP_2)
	v_mov_b32_e32 v5, v8
	.p2align	6
.LBB69_170:                             ; =>This Inner Loop Header: Depth=1
	s_clz_i32_u32 s15, s7
	s_delay_alu instid0(SALU_CYCLE_1) | instskip(NEXT) | instid1(SALU_CYCLE_1)
	s_min_u32 s15, s15, 32
	s_lshl_b64 s[16:17], s[6:7], s15
	s_sub_i32 s15, 32, s15
	s_min_u32 s16, s16, 1
	s_delay_alu instid0(SALU_CYCLE_1) | instskip(SKIP_3) | instid1(SALU_CYCLE_1)
	s_or_b32 s16, s17, s16
	s_add_u32 s6, s6, 2
	v_cvt_f32_u32_e32 v12, s16
	s_addc_u32 s7, s7, 0
	v_cmp_ge_u64_e32 vcc_lo, s[6:7], v[3:4]
	s_delay_alu instid0(VALU_DEP_2) | instskip(SKIP_1) | instid1(VALU_DEP_1)
	v_ldexp_f32 v12, v12, s15
	s_or_b32 s14, vcc_lo, s14
	v_mul_f32_e32 v12, v9, v12
	v_mov_b32_e32 v9, v5
	s_delay_alu instid0(VALU_DEP_2)
	v_fma_f32 v5, v8, v5, -v12
	s_and_not1_b32 exec_lo, exec_lo, s14
	s_cbranch_execnz .LBB69_170
; %bb.171:
	s_or_b32 exec_lo, exec_lo, s14
.LBB69_172:
	s_delay_alu instid0(SALU_CYCLE_1)
	s_or_b32 exec_lo, exec_lo, s13
                                        ; implicit-def: $vgpr8
.LBB69_173:
	s_and_not1_saveexec_b32 s6, s12
; %bb.174:
	v_add_f32_e32 v5, v8, v8
; %bb.175:
	s_or_b32 exec_lo, exec_lo, s6
.LBB69_176:
	s_delay_alu instid0(SALU_CYCLE_1)
	s_or_b32 exec_lo, exec_lo, s11
.LBB69_177:
	s_delay_alu instid0(SALU_CYCLE_1) | instskip(SKIP_4) | instid1(VALU_DEP_1)
	s_or_b32 exec_lo, exec_lo, s10
	global_load_b32 v3, v11, s[4:5]
	s_mov_b32 s4, exec_lo
	s_waitcnt vmcnt(0)
	v_trunc_f32_e32 v4, v3
	v_mul_f32_e64 v8, 0x2f800000, |v4|
	s_delay_alu instid0(VALU_DEP_1) | instskip(NEXT) | instid1(VALU_DEP_1)
	v_floor_f32_e32 v8, v8
	v_fma_f32 v9, 0xcf800000, v8, |v4|
	v_ashrrev_i32_e32 v4, 31, v4
	v_cvt_u32_f32_e32 v8, v8
	s_delay_alu instid0(VALU_DEP_3) | instskip(NEXT) | instid1(VALU_DEP_2)
	v_cvt_u32_f32_e32 v9, v9
	v_xor_b32_e32 v8, v8, v4
	s_delay_alu instid0(VALU_DEP_2) | instskip(NEXT) | instid1(VALU_DEP_1)
	v_xor_b32_e32 v9, v9, v4
	v_sub_co_u32 v9, vcc_lo, v9, v4
	s_delay_alu instid0(VALU_DEP_3) | instskip(SKIP_2) | instid1(VALU_DEP_3)
	v_sub_co_ci_u32_e32 v4, vcc_lo, v8, v4, vcc_lo
	v_cmp_class_f32_e64 vcc_lo, v3, 0x1f8
	v_mov_b32_e32 v8, 0
	v_dual_cndmask_b32 v4, -1, v4 :: v_dual_cndmask_b32 v3, -1, v9
	s_delay_alu instid0(VALU_DEP_1)
	v_cmpx_lt_i64_e32 -1, v[3:4]
	s_cbranch_execz .LBB69_189
; %bb.178:
	v_mov_b32_e32 v8, 1.0
	s_mov_b32 s5, exec_lo
	v_cmpx_lt_i64_e32 0, v[3:4]
	s_cbranch_execz .LBB69_188
; %bb.179:
	global_load_u16 v8, v10, s[2:3]
	s_mov_b32 s2, exec_lo
	s_waitcnt vmcnt(0)
	v_lshlrev_b32_e32 v9, 16, v8
                                        ; implicit-def: $vgpr8
	v_cmpx_ne_u64_e32 1, v[3:4]
	s_xor_b32 s6, exec_lo, s2
	s_cbranch_execz .LBB69_185
; %bb.180:
	v_mov_b32_e32 v8, 0x7fc00000
	s_mov_b32 s7, exec_lo
	v_cmpx_gt_u64_e32 0x81, v[3:4]
	s_cbranch_execz .LBB69_184
; %bb.181:
	v_dual_add_f32 v9, v9, v9 :: v_dual_mov_b32 v10, 1.0
	v_lshlrev_b64 v[3:4], 1, v[3:4]
	s_mov_b64 s[2:3], 2
	s_mov_b32 s10, 0
	s_delay_alu instid0(VALU_DEP_2)
	v_mov_b32_e32 v8, v9
	.p2align	6
.LBB69_182:                             ; =>This Inner Loop Header: Depth=1
	s_clz_i32_u32 s11, s3
	s_delay_alu instid0(SALU_CYCLE_1) | instskip(NEXT) | instid1(SALU_CYCLE_1)
	s_min_u32 s11, s11, 32
	s_lshl_b64 s[12:13], s[2:3], s11
	s_sub_i32 s11, 32, s11
	s_min_u32 s12, s12, 1
	s_delay_alu instid0(SALU_CYCLE_1) | instskip(SKIP_3) | instid1(SALU_CYCLE_1)
	s_or_b32 s12, s13, s12
	s_add_u32 s2, s2, 2
	v_cvt_f32_u32_e32 v11, s12
	s_addc_u32 s3, s3, 0
	v_cmp_ge_u64_e32 vcc_lo, s[2:3], v[3:4]
	s_delay_alu instid0(VALU_DEP_2) | instskip(SKIP_1) | instid1(VALU_DEP_1)
	v_ldexp_f32 v11, v11, s11
	s_or_b32 s10, vcc_lo, s10
	v_dual_mul_f32 v11, v10, v11 :: v_dual_mov_b32 v10, v8
	s_delay_alu instid0(VALU_DEP_1)
	v_fma_f32 v8, v9, v8, -v11
	s_and_not1_b32 exec_lo, exec_lo, s10
	s_cbranch_execnz .LBB69_182
; %bb.183:
	s_or_b32 exec_lo, exec_lo, s10
.LBB69_184:
	s_delay_alu instid0(SALU_CYCLE_1)
	s_or_b32 exec_lo, exec_lo, s7
                                        ; implicit-def: $vgpr9
.LBB69_185:
	s_and_not1_saveexec_b32 s2, s6
; %bb.186:
	v_add_f32_e32 v8, v9, v9
; %bb.187:
	s_or_b32 exec_lo, exec_lo, s2
.LBB69_188:
	s_delay_alu instid0(SALU_CYCLE_1)
	s_or_b32 exec_lo, exec_lo, s5
.LBB69_189:
	s_delay_alu instid0(SALU_CYCLE_1)
	s_or_b32 exec_lo, exec_lo, s4
	v_bfe_u32 v3, v14, 16, 1
	v_bfe_u32 v4, v7, 16, 1
	;; [unrolled: 1-line block ×3, first 2 shown]
	v_cmp_o_f32_e32 vcc_lo, v14, v14
	s_or_b32 s8, s8, exec_lo
	v_add3_u32 v3, v14, v3, 0x7fff
	v_add3_u32 v4, v7, v4, 0x7fff
	;; [unrolled: 1-line block ×3, first 2 shown]
	s_delay_alu instid0(VALU_DEP_3) | instskip(NEXT) | instid1(VALU_DEP_3)
	v_lshrrev_b32_e32 v3, 16, v3
	v_lshrrev_b32_e32 v4, 16, v4
	s_delay_alu instid0(VALU_DEP_3) | instskip(NEXT) | instid1(VALU_DEP_3)
	v_lshrrev_b32_e32 v9, 16, v9
	v_cndmask_b32_e32 v10, 0x7fc0, v3, vcc_lo
	v_cmp_o_f32_e32 vcc_lo, v7, v7
	v_add_co_u32 v3, s2, s0, v6
	v_cndmask_b32_e32 v7, 0x7fc0, v4, vcc_lo
	v_cmp_o_f32_e32 vcc_lo, v5, v5
	v_add_co_ci_u32_e64 v4, null, s1, 0, s2
	s_clause 0x1
	global_store_b16 v0, v10, s[0:1]
	global_store_b16 v1, v7, s[0:1]
	v_cndmask_b32_e32 v5, 0x7fc0, v9, vcc_lo
	global_store_b16 v2, v5, s[0:1]
	s_or_b32 exec_lo, exec_lo, s9
	s_and_saveexec_b32 s0, s8
	s_cbranch_execz .LBB69_3
.LBB69_190:
	v_bfe_u32 v0, v8, 16, 1
	v_cmp_o_f32_e32 vcc_lo, v8, v8
	s_delay_alu instid0(VALU_DEP_2) | instskip(NEXT) | instid1(VALU_DEP_1)
	v_add3_u32 v0, v8, v0, 0x7fff
	v_lshrrev_b32_e32 v0, 16, v0
	s_delay_alu instid0(VALU_DEP_1)
	v_cndmask_b32_e32 v0, 0x7fc0, v0, vcc_lo
	global_store_b16 v[3:4], v0, off
	s_nop 0
	s_sendmsg sendmsg(MSG_DEALLOC_VGPRS)
	s_endpgm
	.section	.rodata,"a",@progbits
	.p2align	6, 0x0
	.amdhsa_kernel _ZN2at6native32elementwise_kernel_manual_unrollILi128ELi4EZNS0_12_GLOBAL__N_142type_specialized_broadcast_kernel_launcherILi2EE5applyINS0_13BinaryFunctorIfffZZZNS2_32hermite_polynomial_h_kernel_cudaERNS_18TensorIteratorBaseEENKUlvE_clEvENKUlvE0_clEvEUlffE_EESt5arrayIPcLm3EESD_IN3c1010ScalarTypeELm3EE16OffsetCalculatorILi3EjLb0EEEEvlT_T0_T1_T2_EUlibE_EEviSN_
		.amdhsa_group_segment_fixed_size 0
		.amdhsa_private_segment_fixed_size 0
		.amdhsa_kernarg_size 432
		.amdhsa_user_sgpr_count 15
		.amdhsa_user_sgpr_dispatch_ptr 0
		.amdhsa_user_sgpr_queue_ptr 0
		.amdhsa_user_sgpr_kernarg_segment_ptr 1
		.amdhsa_user_sgpr_dispatch_id 0
		.amdhsa_user_sgpr_private_segment_size 0
		.amdhsa_wavefront_size32 1
		.amdhsa_uses_dynamic_stack 0
		.amdhsa_enable_private_segment 0
		.amdhsa_system_sgpr_workgroup_id_x 1
		.amdhsa_system_sgpr_workgroup_id_y 0
		.amdhsa_system_sgpr_workgroup_id_z 0
		.amdhsa_system_sgpr_workgroup_info 0
		.amdhsa_system_vgpr_workitem_id 0
		.amdhsa_next_free_vgpr 20
		.amdhsa_next_free_sgpr 44
		.amdhsa_reserve_vcc 1
		.amdhsa_float_round_mode_32 0
		.amdhsa_float_round_mode_16_64 0
		.amdhsa_float_denorm_mode_32 3
		.amdhsa_float_denorm_mode_16_64 3
		.amdhsa_dx10_clamp 1
		.amdhsa_ieee_mode 1
		.amdhsa_fp16_overflow 0
		.amdhsa_workgroup_processor_mode 1
		.amdhsa_memory_ordered 1
		.amdhsa_forward_progress 0
		.amdhsa_shared_vgpr_count 0
		.amdhsa_exception_fp_ieee_invalid_op 0
		.amdhsa_exception_fp_denorm_src 0
		.amdhsa_exception_fp_ieee_div_zero 0
		.amdhsa_exception_fp_ieee_overflow 0
		.amdhsa_exception_fp_ieee_underflow 0
		.amdhsa_exception_fp_ieee_inexact 0
		.amdhsa_exception_int_div_zero 0
	.end_amdhsa_kernel
	.section	.text._ZN2at6native32elementwise_kernel_manual_unrollILi128ELi4EZNS0_12_GLOBAL__N_142type_specialized_broadcast_kernel_launcherILi2EE5applyINS0_13BinaryFunctorIfffZZZNS2_32hermite_polynomial_h_kernel_cudaERNS_18TensorIteratorBaseEENKUlvE_clEvENKUlvE0_clEvEUlffE_EESt5arrayIPcLm3EESD_IN3c1010ScalarTypeELm3EE16OffsetCalculatorILi3EjLb0EEEEvlT_T0_T1_T2_EUlibE_EEviSN_,"axG",@progbits,_ZN2at6native32elementwise_kernel_manual_unrollILi128ELi4EZNS0_12_GLOBAL__N_142type_specialized_broadcast_kernel_launcherILi2EE5applyINS0_13BinaryFunctorIfffZZZNS2_32hermite_polynomial_h_kernel_cudaERNS_18TensorIteratorBaseEENKUlvE_clEvENKUlvE0_clEvEUlffE_EESt5arrayIPcLm3EESD_IN3c1010ScalarTypeELm3EE16OffsetCalculatorILi3EjLb0EEEEvlT_T0_T1_T2_EUlibE_EEviSN_,comdat
.Lfunc_end69:
	.size	_ZN2at6native32elementwise_kernel_manual_unrollILi128ELi4EZNS0_12_GLOBAL__N_142type_specialized_broadcast_kernel_launcherILi2EE5applyINS0_13BinaryFunctorIfffZZZNS2_32hermite_polynomial_h_kernel_cudaERNS_18TensorIteratorBaseEENKUlvE_clEvENKUlvE0_clEvEUlffE_EESt5arrayIPcLm3EESD_IN3c1010ScalarTypeELm3EE16OffsetCalculatorILi3EjLb0EEEEvlT_T0_T1_T2_EUlibE_EEviSN_, .Lfunc_end69-_ZN2at6native32elementwise_kernel_manual_unrollILi128ELi4EZNS0_12_GLOBAL__N_142type_specialized_broadcast_kernel_launcherILi2EE5applyINS0_13BinaryFunctorIfffZZZNS2_32hermite_polynomial_h_kernel_cudaERNS_18TensorIteratorBaseEENKUlvE_clEvENKUlvE0_clEvEUlffE_EESt5arrayIPcLm3EESD_IN3c1010ScalarTypeELm3EE16OffsetCalculatorILi3EjLb0EEEEvlT_T0_T1_T2_EUlibE_EEviSN_
                                        ; -- End function
	.section	.AMDGPU.csdata,"",@progbits
; Kernel info:
; codeLenInByte = 8900
; NumSgprs: 46
; NumVgprs: 20
; ScratchSize: 0
; MemoryBound: 0
; FloatMode: 240
; IeeeMode: 1
; LDSByteSize: 0 bytes/workgroup (compile time only)
; SGPRBlocks: 5
; VGPRBlocks: 2
; NumSGPRsForWavesPerEU: 46
; NumVGPRsForWavesPerEU: 20
; Occupancy: 16
; WaveLimiterHint : 1
; COMPUTE_PGM_RSRC2:SCRATCH_EN: 0
; COMPUTE_PGM_RSRC2:USER_SGPR: 15
; COMPUTE_PGM_RSRC2:TRAP_HANDLER: 0
; COMPUTE_PGM_RSRC2:TGID_X_EN: 1
; COMPUTE_PGM_RSRC2:TGID_Y_EN: 0
; COMPUTE_PGM_RSRC2:TGID_Z_EN: 0
; COMPUTE_PGM_RSRC2:TIDIG_COMP_CNT: 0
	.section	.text._ZN2at6native32elementwise_kernel_manual_unrollILi128ELi4EZNS0_12_GLOBAL__N_142type_specialized_broadcast_kernel_launcherILi3EE5applyINS0_13BinaryFunctorIfffZZZNS2_32hermite_polynomial_h_kernel_cudaERNS_18TensorIteratorBaseEENKUlvE_clEvENKUlvE0_clEvEUlffE_EESt5arrayIPcLm3EESD_IN3c1010ScalarTypeELm3EE16OffsetCalculatorILi3EjLb0EEEEvlT_T0_T1_T2_EUlibE_EEviSN_,"axG",@progbits,_ZN2at6native32elementwise_kernel_manual_unrollILi128ELi4EZNS0_12_GLOBAL__N_142type_specialized_broadcast_kernel_launcherILi3EE5applyINS0_13BinaryFunctorIfffZZZNS2_32hermite_polynomial_h_kernel_cudaERNS_18TensorIteratorBaseEENKUlvE_clEvENKUlvE0_clEvEUlffE_EESt5arrayIPcLm3EESD_IN3c1010ScalarTypeELm3EE16OffsetCalculatorILi3EjLb0EEEEvlT_T0_T1_T2_EUlibE_EEviSN_,comdat
	.globl	_ZN2at6native32elementwise_kernel_manual_unrollILi128ELi4EZNS0_12_GLOBAL__N_142type_specialized_broadcast_kernel_launcherILi3EE5applyINS0_13BinaryFunctorIfffZZZNS2_32hermite_polynomial_h_kernel_cudaERNS_18TensorIteratorBaseEENKUlvE_clEvENKUlvE0_clEvEUlffE_EESt5arrayIPcLm3EESD_IN3c1010ScalarTypeELm3EE16OffsetCalculatorILi3EjLb0EEEEvlT_T0_T1_T2_EUlibE_EEviSN_ ; -- Begin function _ZN2at6native32elementwise_kernel_manual_unrollILi128ELi4EZNS0_12_GLOBAL__N_142type_specialized_broadcast_kernel_launcherILi3EE5applyINS0_13BinaryFunctorIfffZZZNS2_32hermite_polynomial_h_kernel_cudaERNS_18TensorIteratorBaseEENKUlvE_clEvENKUlvE0_clEvEUlffE_EESt5arrayIPcLm3EESD_IN3c1010ScalarTypeELm3EE16OffsetCalculatorILi3EjLb0EEEEvlT_T0_T1_T2_EUlibE_EEviSN_
	.p2align	8
	.type	_ZN2at6native32elementwise_kernel_manual_unrollILi128ELi4EZNS0_12_GLOBAL__N_142type_specialized_broadcast_kernel_launcherILi3EE5applyINS0_13BinaryFunctorIfffZZZNS2_32hermite_polynomial_h_kernel_cudaERNS_18TensorIteratorBaseEENKUlvE_clEvENKUlvE0_clEvEUlffE_EESt5arrayIPcLm3EESD_IN3c1010ScalarTypeELm3EE16OffsetCalculatorILi3EjLb0EEEEvlT_T0_T1_T2_EUlibE_EEviSN_,@function
_ZN2at6native32elementwise_kernel_manual_unrollILi128ELi4EZNS0_12_GLOBAL__N_142type_specialized_broadcast_kernel_launcherILi3EE5applyINS0_13BinaryFunctorIfffZZZNS2_32hermite_polynomial_h_kernel_cudaERNS_18TensorIteratorBaseEENKUlvE_clEvENKUlvE0_clEvEUlffE_EESt5arrayIPcLm3EESD_IN3c1010ScalarTypeELm3EE16OffsetCalculatorILi3EjLb0EEEEvlT_T0_T1_T2_EUlibE_EEviSN_: ; @_ZN2at6native32elementwise_kernel_manual_unrollILi128ELi4EZNS0_12_GLOBAL__N_142type_specialized_broadcast_kernel_launcherILi3EE5applyINS0_13BinaryFunctorIfffZZZNS2_32hermite_polynomial_h_kernel_cudaERNS_18TensorIteratorBaseEENKUlvE_clEvENKUlvE0_clEvEUlffE_EESt5arrayIPcLm3EESD_IN3c1010ScalarTypeELm3EE16OffsetCalculatorILi3EjLb0EEEEvlT_T0_T1_T2_EUlibE_EEviSN_
; %bb.0:
	s_clause 0x1
	s_load_b32 s22, s[0:1], 0x8
	s_load_b32 s28, s[0:1], 0x0
	v_lshl_or_b32 v7, s15, 9, v0
	s_or_b32 s0, s0, 8
	s_mov_b32 s2, exec_lo
	s_delay_alu instid0(VALU_DEP_1) | instskip(SKIP_2) | instid1(SALU_CYCLE_1)
	v_or_b32_e32 v12, 0x180, v7
	s_waitcnt lgkmcnt(0)
	s_add_i32 s23, s22, -1
	s_cmp_gt_u32 s23, 1
	s_cselect_b32 s24, -1, 0
	v_cmpx_le_i32_e64 s28, v12
	s_xor_b32 s25, exec_lo, s2
	s_cbranch_execz .LBB70_8
; %bb.1:
	s_clause 0x5
	s_load_b128 s[12:15], s[0:1], 0x4
	s_load_b64 s[18:19], s[0:1], 0x14
	s_load_b128 s[8:11], s[0:1], 0xc4
	s_load_b64 s[16:17], s[0:1], 0xd4
	s_load_b64 s[2:3], s[0:1], 0x198
	s_load_b128 s[4:7], s[0:1], 0x188
	s_cmp_lg_u32 s22, 0
	s_mov_b32 s30, exec_lo
	s_cselect_b32 s29, -1, 0
	s_min_u32 s27, s23, 15
	s_cmp_gt_u32 s22, 1
	s_cselect_b32 s26, -1, 0
	v_cmpx_gt_i32_e64 s28, v7
	s_cbranch_execz .LBB70_15
; %bb.2:
	s_and_not1_b32 vcc_lo, exec_lo, s24
	s_cbranch_vccnz .LBB70_105
; %bb.3:
	v_dual_mov_b32 v0, 0 :: v_dual_mov_b32 v1, 0
	v_mov_b32_e32 v2, 0
	s_and_not1_b32 vcc_lo, exec_lo, s29
	s_mov_b32 s31, 0
	s_cbranch_vccnz .LBB70_106
; %bb.4:
	s_add_i32 s20, s27, 1
	v_dual_mov_b32 v2, 0 :: v_dual_mov_b32 v1, 0
	v_dual_mov_b32 v0, 0 :: v_dual_mov_b32 v3, v7
	s_and_b32 s33, s20, 30
	s_add_u32 s20, s0, 0xffffffec
	s_addc_u32 s21, s1, -1
	s_set_inst_prefetch_distance 0x1
	.p2align	6
.LBB70_5:                               ; =>This Inner Loop Header: Depth=1
	s_clause 0x2
	s_load_b128 s[36:39], s[20:21], 0x18
	s_load_b64 s[34:35], s[20:21], 0x28
	s_load_b128 s[40:43], s[20:21], 0xd8
	s_waitcnt lgkmcnt(0)
	v_mul_hi_u32 v4, s37, v3
	s_delay_alu instid0(VALU_DEP_1) | instskip(NEXT) | instid1(VALU_DEP_1)
	v_add_nc_u32_e32 v4, v3, v4
	v_lshrrev_b32_e32 v4, s38, v4
	s_delay_alu instid0(VALU_DEP_1)
	v_mul_hi_u32 v5, s34, v4
	v_mul_lo_u32 v6, v4, s36
	s_load_b64 s[36:37], s[20:21], 0xe8
	s_add_u32 s20, s20, 24
	s_addc_u32 s21, s21, 0
	s_add_i32 s33, s33, -2
	s_delay_alu instid0(SALU_CYCLE_1) | instskip(NEXT) | instid1(VALU_DEP_2)
	s_cmp_lg_u32 s33, 0
	v_add_nc_u32_e32 v5, v4, v5
	s_delay_alu instid0(VALU_DEP_2) | instskip(NEXT) | instid1(VALU_DEP_2)
	v_sub_nc_u32_e32 v6, v3, v6
	v_lshrrev_b32_e32 v3, s35, v5
	s_delay_alu instid0(VALU_DEP_2) | instskip(NEXT) | instid1(VALU_DEP_2)
	v_mul_lo_u32 v8, v6, s40
	v_mul_lo_u32 v5, v3, s39
	s_delay_alu instid0(VALU_DEP_1) | instskip(SKIP_2) | instid1(VALU_DEP_3)
	v_sub_nc_u32_e32 v4, v4, v5
	v_mul_lo_u32 v5, v6, s41
	v_mul_lo_u32 v6, v6, s42
	;; [unrolled: 1-line block ×3, first 2 shown]
	s_waitcnt lgkmcnt(0)
	v_mul_lo_u32 v10, v4, s36
	v_mul_lo_u32 v4, v4, s37
	s_delay_alu instid0(VALU_DEP_3) | instskip(NEXT) | instid1(VALU_DEP_3)
	v_add3_u32 v0, v8, v0, v9
	v_add3_u32 v1, v5, v1, v10
	s_delay_alu instid0(VALU_DEP_3)
	v_add3_u32 v2, v6, v2, v4
	s_cbranch_scc1 .LBB70_5
; %bb.6:
	s_set_inst_prefetch_distance 0x2
	s_bitcmp1_b32 s27, 0
	s_cselect_b32 s33, -1, 0
	s_delay_alu instid0(SALU_CYCLE_1)
	s_and_b32 vcc_lo, exec_lo, s33
	s_cbranch_vccnz .LBB70_106
; %bb.7:
	s_clause 0x3
	s_load_b64 s[34:35], s[20:21], 0x18
	s_load_b32 s33, s[20:21], 0x20
	s_load_b64 s[36:37], s[20:21], 0xd8
	s_load_b32 s20, s[20:21], 0xe0
	s_waitcnt lgkmcnt(0)
	v_mul_hi_u32 v4, s35, v3
	s_delay_alu instid0(VALU_DEP_1) | instskip(NEXT) | instid1(VALU_DEP_1)
	v_add_nc_u32_e32 v4, v3, v4
	v_lshrrev_b32_e32 v4, s33, v4
	s_delay_alu instid0(VALU_DEP_1) | instskip(NEXT) | instid1(VALU_DEP_1)
	v_mul_lo_u32 v4, v4, s34
	v_sub_nc_u32_e32 v8, v3, v4
	s_delay_alu instid0(VALU_DEP_1) | instskip(SKIP_1) | instid1(VALU_DEP_2)
	v_mad_u64_u32 v[3:4], null, v8, s36, v[0:1]
	v_mad_u64_u32 v[4:5], null, v8, s37, v[1:2]
	;; [unrolled: 1-line block ×3, first 2 shown]
	s_delay_alu instid0(VALU_DEP_2) | instskip(NEXT) | instid1(VALU_DEP_2)
	v_dual_mov_b32 v0, v3 :: v_dual_mov_b32 v1, v4
	v_mov_b32_e32 v2, v5
	s_branch .LBB70_106
.LBB70_8:
	s_and_not1_saveexec_b32 s2, s25
	s_cbranch_execz .LBB70_148
.LBB70_9:
	v_cndmask_b32_e64 v10, 0, 1, s24
	s_and_not1_b32 vcc_lo, exec_lo, s24
	s_cbranch_vccnz .LBB70_22
; %bb.10:
	v_dual_mov_b32 v0, 0 :: v_dual_mov_b32 v3, 0
	v_mov_b32_e32 v4, 0
	s_cmp_lg_u32 s22, 0
	s_mov_b32 s4, 0
	s_cbranch_scc0 .LBB70_23
; %bb.11:
	s_min_u32 s5, s23, 15
	v_dual_mov_b32 v4, 0 :: v_dual_mov_b32 v3, 0
	s_add_i32 s2, s5, 1
	s_waitcnt vmcnt(0)
	v_dual_mov_b32 v0, 0 :: v_dual_mov_b32 v1, v7
	s_and_b32 s6, s2, 30
	s_add_u32 s2, s0, 0xffffffec
	s_addc_u32 s3, s1, -1
	s_set_inst_prefetch_distance 0x1
	.p2align	6
.LBB70_12:                              ; =>This Inner Loop Header: Depth=1
	s_clause 0x2
	s_load_b128 s[8:11], s[2:3], 0x18
	s_load_b64 s[16:17], s[2:3], 0x28
	s_load_b128 s[12:15], s[2:3], 0xd8
	s_waitcnt lgkmcnt(0)
	v_mul_hi_u32 v2, s9, v1
	s_delay_alu instid0(VALU_DEP_1) | instskip(NEXT) | instid1(VALU_DEP_1)
	v_add_nc_u32_e32 v2, v1, v2
	v_lshrrev_b32_e32 v2, s10, v2
	s_delay_alu instid0(VALU_DEP_1)
	v_mul_hi_u32 v5, s16, v2
	v_mul_lo_u32 v6, v2, s8
	s_load_b64 s[8:9], s[2:3], 0xe8
	s_add_u32 s2, s2, 24
	s_addc_u32 s3, s3, 0
	s_add_i32 s6, s6, -2
	s_delay_alu instid0(SALU_CYCLE_1) | instskip(NEXT) | instid1(VALU_DEP_2)
	s_cmp_lg_u32 s6, 0
	v_add_nc_u32_e32 v5, v2, v5
	s_delay_alu instid0(VALU_DEP_2) | instskip(NEXT) | instid1(VALU_DEP_2)
	v_sub_nc_u32_e32 v6, v1, v6
	v_lshrrev_b32_e32 v1, s17, v5
	s_delay_alu instid0(VALU_DEP_2) | instskip(NEXT) | instid1(VALU_DEP_2)
	v_mul_lo_u32 v8, v6, s12
	v_mul_lo_u32 v5, v1, s11
	s_delay_alu instid0(VALU_DEP_1) | instskip(SKIP_2) | instid1(VALU_DEP_3)
	v_sub_nc_u32_e32 v2, v2, v5
	v_mul_lo_u32 v5, v6, s13
	v_mul_lo_u32 v6, v6, s14
	;; [unrolled: 1-line block ×3, first 2 shown]
	s_waitcnt lgkmcnt(0)
	v_mul_lo_u32 v11, v2, s8
	v_mul_lo_u32 v2, v2, s9
	s_delay_alu instid0(VALU_DEP_3) | instskip(NEXT) | instid1(VALU_DEP_3)
	v_add3_u32 v0, v8, v0, v9
	v_add3_u32 v3, v5, v3, v11
	s_delay_alu instid0(VALU_DEP_3)
	v_add3_u32 v4, v6, v4, v2
	s_cbranch_scc1 .LBB70_12
; %bb.13:
	s_set_inst_prefetch_distance 0x2
	s_bitcmp1_b32 s5, 0
	s_cselect_b32 s5, -1, 0
	s_delay_alu instid0(SALU_CYCLE_1)
	s_and_b32 vcc_lo, exec_lo, s5
	s_cbranch_vccnz .LBB70_23
; %bb.14:
	s_clause 0x3
	s_load_b64 s[6:7], s[2:3], 0x18
	s_load_b32 s5, s[2:3], 0x20
	s_load_b64 s[8:9], s[2:3], 0xd8
	s_load_b32 s2, s[2:3], 0xe0
	s_waitcnt lgkmcnt(0)
	v_mul_hi_u32 v2, s7, v1
	s_delay_alu instid0(VALU_DEP_1) | instskip(NEXT) | instid1(VALU_DEP_1)
	v_add_nc_u32_e32 v2, v1, v2
	v_lshrrev_b32_e32 v2, s5, v2
	s_delay_alu instid0(VALU_DEP_1) | instskip(NEXT) | instid1(VALU_DEP_1)
	v_mul_lo_u32 v2, v2, s6
	v_sub_nc_u32_e32 v8, v1, v2
	s_delay_alu instid0(VALU_DEP_1) | instskip(SKIP_1) | instid1(VALU_DEP_2)
	v_mad_u64_u32 v[5:6], null, v8, s9, v[3:4]
	v_mad_u64_u32 v[1:2], null, v8, s8, v[0:1]
	;; [unrolled: 1-line block ×3, first 2 shown]
	s_delay_alu instid0(VALU_DEP_2) | instskip(NEXT) | instid1(VALU_DEP_2)
	v_mov_b32_e32 v0, v1
	v_dual_mov_b32 v3, v5 :: v_dual_mov_b32 v4, v2
	s_branch .LBB70_23
.LBB70_15:
	s_or_b32 exec_lo, exec_lo, s30
	s_delay_alu instid0(SALU_CYCLE_1)
	s_mov_b32 s30, exec_lo
	v_cmpx_gt_i32_e64 s28, v7
	s_cbranch_execz .LBB70_122
.LBB70_16:
	s_and_not1_b32 vcc_lo, exec_lo, s24
	s_cbranch_vccnz .LBB70_129
; %bb.17:
	s_waitcnt vmcnt(0)
	v_dual_mov_b32 v0, 0 :: v_dual_mov_b32 v1, 0
	v_mov_b32_e32 v2, 0
	s_and_not1_b32 vcc_lo, exec_lo, s29
	s_mov_b32 s31, 0
	s_cbranch_vccnz .LBB70_130
; %bb.18:
	s_add_i32 s20, s27, 1
	v_dual_mov_b32 v2, 0 :: v_dual_mov_b32 v1, 0
	v_dual_mov_b32 v0, 0 :: v_dual_mov_b32 v3, v7
	s_and_b32 s33, s20, 30
	s_add_u32 s20, s0, 0xffffffec
	s_addc_u32 s21, s1, -1
	s_set_inst_prefetch_distance 0x1
	.p2align	6
.LBB70_19:                              ; =>This Inner Loop Header: Depth=1
	s_clause 0x2
	s_load_b128 s[36:39], s[20:21], 0x18
	s_load_b64 s[34:35], s[20:21], 0x28
	s_load_b128 s[40:43], s[20:21], 0xd8
	s_waitcnt lgkmcnt(0)
	v_mul_hi_u32 v4, s37, v3
	s_delay_alu instid0(VALU_DEP_1) | instskip(NEXT) | instid1(VALU_DEP_1)
	v_add_nc_u32_e32 v4, v3, v4
	v_lshrrev_b32_e32 v4, s38, v4
	s_delay_alu instid0(VALU_DEP_1)
	v_mul_hi_u32 v5, s34, v4
	v_mul_lo_u32 v6, v4, s36
	s_load_b64 s[36:37], s[20:21], 0xe8
	s_add_u32 s20, s20, 24
	s_addc_u32 s21, s21, 0
	s_add_i32 s33, s33, -2
	s_delay_alu instid0(SALU_CYCLE_1) | instskip(NEXT) | instid1(VALU_DEP_2)
	s_cmp_eq_u32 s33, 0
	v_add_nc_u32_e32 v5, v4, v5
	s_delay_alu instid0(VALU_DEP_2) | instskip(NEXT) | instid1(VALU_DEP_2)
	v_sub_nc_u32_e32 v6, v3, v6
	v_lshrrev_b32_e32 v3, s35, v5
	s_delay_alu instid0(VALU_DEP_2) | instskip(NEXT) | instid1(VALU_DEP_2)
	v_mul_lo_u32 v8, v6, s40
	v_mul_lo_u32 v5, v3, s39
	s_delay_alu instid0(VALU_DEP_1) | instskip(SKIP_2) | instid1(VALU_DEP_3)
	v_sub_nc_u32_e32 v4, v4, v5
	v_mul_lo_u32 v5, v6, s41
	v_mul_lo_u32 v6, v6, s42
	v_mul_lo_u32 v9, v4, s43
	s_waitcnt lgkmcnt(0)
	v_mul_lo_u32 v10, v4, s36
	v_mul_lo_u32 v4, v4, s37
	s_delay_alu instid0(VALU_DEP_3) | instskip(NEXT) | instid1(VALU_DEP_3)
	v_add3_u32 v0, v8, v0, v9
	v_add3_u32 v1, v5, v1, v10
	s_delay_alu instid0(VALU_DEP_3)
	v_add3_u32 v2, v6, v2, v4
	s_cbranch_scc0 .LBB70_19
; %bb.20:
	s_set_inst_prefetch_distance 0x2
	s_bitcmp1_b32 s27, 0
	s_cselect_b32 s33, -1, 0
	s_delay_alu instid0(SALU_CYCLE_1)
	s_and_b32 vcc_lo, exec_lo, s33
	s_cbranch_vccnz .LBB70_130
; %bb.21:
	s_clause 0x3
	s_load_b64 s[34:35], s[20:21], 0x18
	s_load_b32 s33, s[20:21], 0x20
	s_load_b64 s[36:37], s[20:21], 0xd8
	s_load_b32 s20, s[20:21], 0xe0
	s_waitcnt lgkmcnt(0)
	v_mul_hi_u32 v4, s35, v3
	s_delay_alu instid0(VALU_DEP_1) | instskip(NEXT) | instid1(VALU_DEP_1)
	v_add_nc_u32_e32 v4, v3, v4
	v_lshrrev_b32_e32 v4, s33, v4
	s_delay_alu instid0(VALU_DEP_1) | instskip(NEXT) | instid1(VALU_DEP_1)
	v_mul_lo_u32 v4, v4, s34
	v_sub_nc_u32_e32 v8, v3, v4
	s_delay_alu instid0(VALU_DEP_1) | instskip(SKIP_1) | instid1(VALU_DEP_2)
	v_mad_u64_u32 v[3:4], null, v8, s36, v[0:1]
	v_mad_u64_u32 v[4:5], null, v8, s37, v[1:2]
	;; [unrolled: 1-line block ×3, first 2 shown]
	s_delay_alu instid0(VALU_DEP_2) | instskip(NEXT) | instid1(VALU_DEP_2)
	v_dual_mov_b32 v0, v3 :: v_dual_mov_b32 v1, v4
	v_mov_b32_e32 v2, v5
	s_branch .LBB70_130
.LBB70_22:
	s_mov_b32 s4, -1
                                        ; implicit-def: $vgpr0
                                        ; implicit-def: $vgpr3
                                        ; implicit-def: $vgpr4
.LBB70_23:
	s_delay_alu instid0(SALU_CYCLE_1)
	s_and_not1_b32 vcc_lo, exec_lo, s4
	s_cbranch_vccnz .LBB70_26
; %bb.24:
	s_clause 0x1
	s_load_b128 s[4:7], s[0:1], 0x4
	s_load_b128 s[8:11], s[0:1], 0xc4
	s_cmp_lt_u32 s22, 2
	s_waitcnt lgkmcnt(0)
	v_mul_hi_u32 v0, s5, v7
	s_delay_alu instid0(VALU_DEP_1) | instskip(SKIP_1) | instid1(VALU_DEP_1)
	v_add_nc_u32_e32 v0, v7, v0
	s_waitcnt vmcnt(0)
	v_lshrrev_b32_e32 v1, s6, v0
	s_delay_alu instid0(VALU_DEP_1) | instskip(NEXT) | instid1(VALU_DEP_1)
	v_mul_lo_u32 v0, v1, s4
	v_sub_nc_u32_e32 v2, v7, v0
	s_delay_alu instid0(VALU_DEP_1)
	v_mul_lo_u32 v0, v2, s8
	v_mul_lo_u32 v3, v2, s9
	;; [unrolled: 1-line block ×3, first 2 shown]
	s_cbranch_scc1 .LBB70_26
; %bb.25:
	s_clause 0x1
	s_load_b128 s[4:7], s[0:1], 0x10
	s_load_b128 s[8:11], s[0:1], 0xd0
	s_waitcnt lgkmcnt(0)
	v_mul_hi_u32 v2, s5, v1
	s_delay_alu instid0(VALU_DEP_1) | instskip(NEXT) | instid1(VALU_DEP_1)
	v_add_nc_u32_e32 v2, v1, v2
	v_lshrrev_b32_e32 v2, s6, v2
	s_delay_alu instid0(VALU_DEP_1) | instskip(NEXT) | instid1(VALU_DEP_1)
	v_mul_lo_u32 v2, v2, s4
	v_sub_nc_u32_e32 v8, v1, v2
	s_delay_alu instid0(VALU_DEP_1) | instskip(SKIP_1) | instid1(VALU_DEP_2)
	v_mad_u64_u32 v[5:6], null, v8, s9, v[3:4]
	v_mad_u64_u32 v[1:2], null, v8, s8, v[0:1]
	;; [unrolled: 1-line block ×3, first 2 shown]
	s_delay_alu instid0(VALU_DEP_2) | instskip(NEXT) | instid1(VALU_DEP_2)
	v_mov_b32_e32 v0, v1
	v_dual_mov_b32 v3, v5 :: v_dual_mov_b32 v4, v2
.LBB70_26:
	v_cmp_ne_u32_e32 vcc_lo, 1, v10
	v_add_nc_u32_e32 v2, 0x80, v7
	s_cbranch_vccnz .LBB70_32
; %bb.27:
	s_waitcnt vmcnt(0)
	v_dual_mov_b32 v1, 0 :: v_dual_mov_b32 v6, 0
	v_mov_b32_e32 v5, 0
	s_cmp_lg_u32 s22, 0
	s_mov_b32 s4, 0
	s_cbranch_scc0 .LBB70_33
; %bb.28:
	s_min_u32 s5, s23, 15
	v_dual_mov_b32 v6, 0 :: v_dual_mov_b32 v5, 0
	s_add_i32 s2, s5, 1
	v_dual_mov_b32 v1, 0 :: v_dual_mov_b32 v8, v2
	s_and_b32 s6, s2, 30
	s_add_u32 s2, s0, 0xffffffec
	s_addc_u32 s3, s1, -1
	s_set_inst_prefetch_distance 0x1
	.p2align	6
.LBB70_29:                              ; =>This Inner Loop Header: Depth=1
	s_clause 0x2
	s_load_b128 s[8:11], s[2:3], 0x18
	s_load_b64 s[16:17], s[2:3], 0x28
	s_load_b128 s[12:15], s[2:3], 0xd8
	s_waitcnt lgkmcnt(0)
	v_mul_hi_u32 v9, s9, v8
	s_delay_alu instid0(VALU_DEP_1) | instskip(NEXT) | instid1(VALU_DEP_1)
	v_add_nc_u32_e32 v9, v8, v9
	v_lshrrev_b32_e32 v9, s10, v9
	s_delay_alu instid0(VALU_DEP_1)
	v_mul_hi_u32 v11, s16, v9
	v_mul_lo_u32 v13, v9, s8
	s_load_b64 s[8:9], s[2:3], 0xe8
	s_add_u32 s2, s2, 24
	s_addc_u32 s3, s3, 0
	s_add_i32 s6, s6, -2
	s_delay_alu instid0(SALU_CYCLE_1) | instskip(NEXT) | instid1(VALU_DEP_2)
	s_cmp_lg_u32 s6, 0
	v_add_nc_u32_e32 v11, v9, v11
	s_delay_alu instid0(VALU_DEP_2) | instskip(NEXT) | instid1(VALU_DEP_2)
	v_sub_nc_u32_e32 v13, v8, v13
	v_lshrrev_b32_e32 v8, s17, v11
	s_delay_alu instid0(VALU_DEP_2) | instskip(NEXT) | instid1(VALU_DEP_2)
	v_mul_lo_u32 v14, v13, s12
	v_mul_lo_u32 v11, v8, s11
	s_delay_alu instid0(VALU_DEP_1) | instskip(SKIP_2) | instid1(VALU_DEP_3)
	v_sub_nc_u32_e32 v9, v9, v11
	v_mul_lo_u32 v11, v13, s13
	v_mul_lo_u32 v13, v13, s14
	;; [unrolled: 1-line block ×3, first 2 shown]
	s_waitcnt lgkmcnt(0)
	v_mul_lo_u32 v16, v9, s8
	v_mul_lo_u32 v9, v9, s9
	s_delay_alu instid0(VALU_DEP_3) | instskip(NEXT) | instid1(VALU_DEP_3)
	v_add3_u32 v1, v14, v1, v15
	v_add3_u32 v5, v11, v5, v16
	s_delay_alu instid0(VALU_DEP_3)
	v_add3_u32 v6, v13, v6, v9
	s_cbranch_scc1 .LBB70_29
; %bb.30:
	s_set_inst_prefetch_distance 0x2
	s_bitcmp1_b32 s5, 0
	s_cselect_b32 s5, -1, 0
	s_delay_alu instid0(SALU_CYCLE_1)
	s_and_b32 vcc_lo, exec_lo, s5
	s_cbranch_vccnz .LBB70_33
; %bb.31:
	s_clause 0x3
	s_load_b64 s[6:7], s[2:3], 0x18
	s_load_b32 s5, s[2:3], 0x20
	s_load_b64 s[8:9], s[2:3], 0xd8
	s_load_b32 s2, s[2:3], 0xe0
	s_waitcnt lgkmcnt(0)
	v_mul_hi_u32 v9, s7, v8
	s_delay_alu instid0(VALU_DEP_1) | instskip(NEXT) | instid1(VALU_DEP_1)
	v_add_nc_u32_e32 v9, v8, v9
	v_lshrrev_b32_e32 v9, s5, v9
	s_delay_alu instid0(VALU_DEP_1) | instskip(NEXT) | instid1(VALU_DEP_1)
	v_mul_lo_u32 v9, v9, s6
	v_sub_nc_u32_e32 v11, v8, v9
	s_delay_alu instid0(VALU_DEP_1) | instskip(SKIP_2) | instid1(VALU_DEP_3)
	v_mad_u64_u32 v[13:14], null, v11, s9, v[5:6]
	v_mad_u64_u32 v[8:9], null, v11, s8, v[1:2]
	;; [unrolled: 1-line block ×3, first 2 shown]
	v_mov_b32_e32 v5, v13
	s_delay_alu instid0(VALU_DEP_2)
	v_dual_mov_b32 v1, v8 :: v_dual_mov_b32 v6, v14
	s_branch .LBB70_33
.LBB70_32:
	s_mov_b32 s4, -1
                                        ; implicit-def: $vgpr1
                                        ; implicit-def: $vgpr5
                                        ; implicit-def: $vgpr6
.LBB70_33:
	s_delay_alu instid0(SALU_CYCLE_1)
	s_and_not1_b32 vcc_lo, exec_lo, s4
	s_cbranch_vccnz .LBB70_36
; %bb.34:
	s_clause 0x1
	s_load_b128 s[4:7], s[0:1], 0x4
	s_load_b128 s[8:11], s[0:1], 0xc4
	s_cmp_lt_u32 s22, 2
	s_waitcnt vmcnt(0) lgkmcnt(0)
	v_mul_hi_u32 v1, s5, v2
	s_delay_alu instid0(VALU_DEP_1) | instskip(NEXT) | instid1(VALU_DEP_1)
	v_add_nc_u32_e32 v1, v2, v1
	v_lshrrev_b32_e32 v8, s6, v1
	s_delay_alu instid0(VALU_DEP_1) | instskip(NEXT) | instid1(VALU_DEP_1)
	v_mul_lo_u32 v1, v8, s4
	v_sub_nc_u32_e32 v2, v2, v1
	s_delay_alu instid0(VALU_DEP_1)
	v_mul_lo_u32 v1, v2, s8
	v_mul_lo_u32 v5, v2, s9
	;; [unrolled: 1-line block ×3, first 2 shown]
	s_cbranch_scc1 .LBB70_36
; %bb.35:
	s_clause 0x1
	s_load_b128 s[4:7], s[0:1], 0x10
	s_load_b128 s[8:11], s[0:1], 0xd0
	s_waitcnt lgkmcnt(0)
	v_mul_hi_u32 v2, s5, v8
	s_delay_alu instid0(VALU_DEP_1) | instskip(NEXT) | instid1(VALU_DEP_1)
	v_add_nc_u32_e32 v2, v8, v2
	v_lshrrev_b32_e32 v2, s6, v2
	s_delay_alu instid0(VALU_DEP_1) | instskip(NEXT) | instid1(VALU_DEP_1)
	v_mul_lo_u32 v2, v2, s4
	v_sub_nc_u32_e32 v2, v8, v2
	s_delay_alu instid0(VALU_DEP_1) | instskip(SKIP_2) | instid1(VALU_DEP_3)
	v_mad_u64_u32 v[13:14], null, v2, s9, v[5:6]
	v_mad_u64_u32 v[8:9], null, v2, s8, v[1:2]
	;; [unrolled: 1-line block ×3, first 2 shown]
	v_mov_b32_e32 v5, v13
	s_delay_alu instid0(VALU_DEP_2)
	v_dual_mov_b32 v1, v8 :: v_dual_mov_b32 v6, v14
.LBB70_36:
	v_cmp_ne_u32_e32 vcc_lo, 1, v10
	v_add_nc_u32_e32 v7, 0x100, v7
	s_cbranch_vccnz .LBB70_42
; %bb.37:
	v_dual_mov_b32 v2, 0 :: v_dual_mov_b32 v9, 0
	v_mov_b32_e32 v8, 0
	s_cmp_lg_u32 s22, 0
	s_mov_b32 s4, 0
	s_cbranch_scc0 .LBB70_43
; %bb.38:
	s_min_u32 s5, s23, 15
	v_dual_mov_b32 v9, 0 :: v_dual_mov_b32 v8, 0
	s_add_i32 s2, s5, 1
	v_dual_mov_b32 v2, 0 :: v_dual_mov_b32 v11, v7
	s_and_b32 s6, s2, 30
	s_add_u32 s2, s0, 0xffffffec
	s_addc_u32 s3, s1, -1
	s_set_inst_prefetch_distance 0x1
	.p2align	6
.LBB70_39:                              ; =>This Inner Loop Header: Depth=1
	s_clause 0x2
	s_load_b128 s[8:11], s[2:3], 0x18
	s_load_b64 s[16:17], s[2:3], 0x28
	s_load_b128 s[12:15], s[2:3], 0xd8
	s_waitcnt lgkmcnt(0)
	v_mul_hi_u32 v13, s9, v11
	s_delay_alu instid0(VALU_DEP_1) | instskip(NEXT) | instid1(VALU_DEP_1)
	v_add_nc_u32_e32 v13, v11, v13
	v_lshrrev_b32_e32 v13, s10, v13
	s_delay_alu instid0(VALU_DEP_1)
	v_mul_hi_u32 v14, s16, v13
	v_mul_lo_u32 v15, v13, s8
	s_load_b64 s[8:9], s[2:3], 0xe8
	s_add_u32 s2, s2, 24
	s_addc_u32 s3, s3, 0
	s_add_i32 s6, s6, -2
	s_delay_alu instid0(SALU_CYCLE_1) | instskip(NEXT) | instid1(VALU_DEP_2)
	s_cmp_lg_u32 s6, 0
	v_add_nc_u32_e32 v14, v13, v14
	s_delay_alu instid0(VALU_DEP_2) | instskip(NEXT) | instid1(VALU_DEP_2)
	v_sub_nc_u32_e32 v15, v11, v15
	v_lshrrev_b32_e32 v11, s17, v14
	s_delay_alu instid0(VALU_DEP_2) | instskip(NEXT) | instid1(VALU_DEP_2)
	v_mul_lo_u32 v16, v15, s12
	v_mul_lo_u32 v14, v11, s11
	s_delay_alu instid0(VALU_DEP_1) | instskip(SKIP_2) | instid1(VALU_DEP_3)
	v_sub_nc_u32_e32 v13, v13, v14
	v_mul_lo_u32 v14, v15, s13
	v_mul_lo_u32 v15, v15, s14
	;; [unrolled: 1-line block ×3, first 2 shown]
	s_waitcnt lgkmcnt(0)
	v_mul_lo_u32 v18, v13, s8
	v_mul_lo_u32 v13, v13, s9
	s_delay_alu instid0(VALU_DEP_3) | instskip(NEXT) | instid1(VALU_DEP_3)
	v_add3_u32 v2, v16, v2, v17
	v_add3_u32 v8, v14, v8, v18
	s_delay_alu instid0(VALU_DEP_3)
	v_add3_u32 v9, v15, v9, v13
	s_cbranch_scc1 .LBB70_39
; %bb.40:
	s_set_inst_prefetch_distance 0x2
	s_bitcmp1_b32 s5, 0
	s_cselect_b32 s5, -1, 0
	s_delay_alu instid0(SALU_CYCLE_1)
	s_and_b32 vcc_lo, exec_lo, s5
	s_cbranch_vccnz .LBB70_43
; %bb.41:
	s_clause 0x3
	s_load_b64 s[6:7], s[2:3], 0x18
	s_load_b32 s5, s[2:3], 0x20
	s_load_b64 s[8:9], s[2:3], 0xd8
	s_load_b32 s2, s[2:3], 0xe0
	s_waitcnt lgkmcnt(0)
	v_mul_hi_u32 v13, s7, v11
	s_delay_alu instid0(VALU_DEP_1) | instskip(NEXT) | instid1(VALU_DEP_1)
	v_add_nc_u32_e32 v13, v11, v13
	v_lshrrev_b32_e32 v13, s5, v13
	s_delay_alu instid0(VALU_DEP_1) | instskip(NEXT) | instid1(VALU_DEP_1)
	v_mul_lo_u32 v13, v13, s6
	v_sub_nc_u32_e32 v11, v11, v13
	s_delay_alu instid0(VALU_DEP_1) | instskip(SKIP_2) | instid1(VALU_DEP_3)
	v_mad_u64_u32 v[13:14], null, v11, s8, v[2:3]
	v_mad_u64_u32 v[14:15], null, v11, s9, v[8:9]
	;; [unrolled: 1-line block ×3, first 2 shown]
	v_mov_b32_e32 v2, v13
	s_delay_alu instid0(VALU_DEP_2)
	v_dual_mov_b32 v8, v14 :: v_dual_mov_b32 v9, v15
	s_branch .LBB70_43
.LBB70_42:
	s_mov_b32 s4, -1
                                        ; implicit-def: $vgpr2
                                        ; implicit-def: $vgpr8
                                        ; implicit-def: $vgpr9
.LBB70_43:
	s_delay_alu instid0(SALU_CYCLE_1)
	s_and_not1_b32 vcc_lo, exec_lo, s4
	s_cbranch_vccnz .LBB70_46
; %bb.44:
	s_clause 0x1
	s_load_b128 s[4:7], s[0:1], 0x4
	s_load_b128 s[8:11], s[0:1], 0xc4
	s_cmp_lt_u32 s22, 2
	s_waitcnt lgkmcnt(0)
	v_mul_hi_u32 v2, s5, v7
	s_delay_alu instid0(VALU_DEP_1) | instskip(NEXT) | instid1(VALU_DEP_1)
	v_add_nc_u32_e32 v2, v7, v2
	v_lshrrev_b32_e32 v11, s6, v2
	s_delay_alu instid0(VALU_DEP_1) | instskip(NEXT) | instid1(VALU_DEP_1)
	v_mul_lo_u32 v2, v11, s4
	v_sub_nc_u32_e32 v7, v7, v2
	s_delay_alu instid0(VALU_DEP_1)
	v_mul_lo_u32 v2, v7, s8
	v_mul_lo_u32 v8, v7, s9
	;; [unrolled: 1-line block ×3, first 2 shown]
	s_cbranch_scc1 .LBB70_46
; %bb.45:
	s_clause 0x1
	s_load_b128 s[4:7], s[0:1], 0x10
	s_load_b128 s[8:11], s[0:1], 0xd0
	s_waitcnt lgkmcnt(0)
	v_mul_hi_u32 v7, s5, v11
	s_delay_alu instid0(VALU_DEP_1) | instskip(NEXT) | instid1(VALU_DEP_1)
	v_add_nc_u32_e32 v7, v11, v7
	v_lshrrev_b32_e32 v7, s6, v7
	s_delay_alu instid0(VALU_DEP_1) | instskip(NEXT) | instid1(VALU_DEP_1)
	v_mul_lo_u32 v7, v7, s4
	v_sub_nc_u32_e32 v11, v11, v7
	s_delay_alu instid0(VALU_DEP_1) | instskip(SKIP_2) | instid1(VALU_DEP_3)
	v_mad_u64_u32 v[13:14], null, v11, s8, v[2:3]
	v_mad_u64_u32 v[14:15], null, v11, s9, v[8:9]
	;; [unrolled: 1-line block ×3, first 2 shown]
	v_mov_b32_e32 v2, v13
	s_delay_alu instid0(VALU_DEP_2)
	v_dual_mov_b32 v8, v14 :: v_dual_mov_b32 v9, v7
.LBB70_46:
	v_cmp_ne_u32_e32 vcc_lo, 1, v10
	s_cbranch_vccnz .LBB70_52
; %bb.47:
	v_dual_mov_b32 v7, 0 :: v_dual_mov_b32 v10, 0
	v_mov_b32_e32 v11, 0
	s_cmp_lg_u32 s22, 0
	s_mov_b32 s4, 0
	s_cbranch_scc0 .LBB70_53
; %bb.48:
	s_min_u32 s5, s23, 15
	v_dual_mov_b32 v11, 0 :: v_dual_mov_b32 v10, 0
	s_add_i32 s2, s5, 1
	v_mov_b32_e32 v7, 0
	v_mov_b32_e32 v13, v12
	s_and_b32 s6, s2, 30
	s_add_u32 s2, s0, 0xffffffec
	s_addc_u32 s3, s1, -1
	s_set_inst_prefetch_distance 0x1
	.p2align	6
.LBB70_49:                              ; =>This Inner Loop Header: Depth=1
	s_clause 0x2
	s_load_b128 s[8:11], s[2:3], 0x18
	s_load_b64 s[16:17], s[2:3], 0x28
	s_load_b128 s[12:15], s[2:3], 0xd8
	s_waitcnt lgkmcnt(0)
	v_mul_hi_u32 v14, s9, v13
	s_delay_alu instid0(VALU_DEP_1) | instskip(NEXT) | instid1(VALU_DEP_1)
	v_add_nc_u32_e32 v14, v13, v14
	v_lshrrev_b32_e32 v14, s10, v14
	s_delay_alu instid0(VALU_DEP_1)
	v_mul_hi_u32 v15, s16, v14
	v_mul_lo_u32 v16, v14, s8
	s_load_b64 s[8:9], s[2:3], 0xe8
	s_add_u32 s2, s2, 24
	s_addc_u32 s3, s3, 0
	s_add_i32 s6, s6, -2
	s_delay_alu instid0(SALU_CYCLE_1) | instskip(NEXT) | instid1(VALU_DEP_2)
	s_cmp_lg_u32 s6, 0
	v_add_nc_u32_e32 v15, v14, v15
	s_delay_alu instid0(VALU_DEP_2) | instskip(NEXT) | instid1(VALU_DEP_2)
	v_sub_nc_u32_e32 v16, v13, v16
	v_lshrrev_b32_e32 v13, s17, v15
	s_delay_alu instid0(VALU_DEP_2) | instskip(NEXT) | instid1(VALU_DEP_2)
	v_mul_lo_u32 v17, v16, s12
	v_mul_lo_u32 v15, v13, s11
	s_delay_alu instid0(VALU_DEP_1) | instskip(SKIP_2) | instid1(VALU_DEP_3)
	v_sub_nc_u32_e32 v14, v14, v15
	v_mul_lo_u32 v15, v16, s13
	v_mul_lo_u32 v16, v16, s14
	v_mul_lo_u32 v18, v14, s15
	s_waitcnt lgkmcnt(0)
	v_mul_lo_u32 v19, v14, s8
	v_mul_lo_u32 v14, v14, s9
	s_delay_alu instid0(VALU_DEP_3) | instskip(NEXT) | instid1(VALU_DEP_3)
	v_add3_u32 v7, v17, v7, v18
	v_add3_u32 v10, v15, v10, v19
	s_delay_alu instid0(VALU_DEP_3)
	v_add3_u32 v11, v16, v11, v14
	s_cbranch_scc1 .LBB70_49
; %bb.50:
	s_set_inst_prefetch_distance 0x2
	s_bitcmp1_b32 s5, 0
	s_cselect_b32 s5, -1, 0
	s_delay_alu instid0(SALU_CYCLE_1)
	s_and_b32 vcc_lo, exec_lo, s5
	s_cbranch_vccnz .LBB70_53
; %bb.51:
	s_clause 0x3
	s_load_b64 s[6:7], s[2:3], 0x18
	s_load_b32 s5, s[2:3], 0x20
	s_load_b64 s[8:9], s[2:3], 0xd8
	s_load_b32 s2, s[2:3], 0xe0
	s_waitcnt lgkmcnt(0)
	v_mul_hi_u32 v14, s7, v13
	s_delay_alu instid0(VALU_DEP_1) | instskip(NEXT) | instid1(VALU_DEP_1)
	v_add_nc_u32_e32 v14, v13, v14
	v_lshrrev_b32_e32 v14, s5, v14
	s_delay_alu instid0(VALU_DEP_1) | instskip(NEXT) | instid1(VALU_DEP_1)
	v_mul_lo_u32 v14, v14, s6
	v_sub_nc_u32_e32 v17, v13, v14
	s_delay_alu instid0(VALU_DEP_1) | instskip(SKIP_2) | instid1(VALU_DEP_2)
	v_mad_u64_u32 v[13:14], null, v17, s8, v[7:8]
	v_mad_u64_u32 v[14:15], null, v17, s9, v[10:11]
	v_mad_u64_u32 v[15:16], null, v17, s2, v[11:12]
	v_dual_mov_b32 v7, v13 :: v_dual_mov_b32 v10, v14
	s_delay_alu instid0(VALU_DEP_2)
	v_mov_b32_e32 v11, v15
	s_branch .LBB70_53
.LBB70_52:
	s_mov_b32 s4, -1
                                        ; implicit-def: $vgpr7
                                        ; implicit-def: $vgpr10
                                        ; implicit-def: $vgpr11
.LBB70_53:
	s_delay_alu instid0(SALU_CYCLE_1)
	s_and_not1_b32 vcc_lo, exec_lo, s4
	s_cbranch_vccnz .LBB70_56
; %bb.54:
	s_clause 0x1
	s_load_b128 s[4:7], s[0:1], 0x4
	s_load_b128 s[8:11], s[0:1], 0xc4
	s_cmp_lt_u32 s22, 2
	s_waitcnt lgkmcnt(0)
	v_mul_hi_u32 v7, s5, v12
	s_delay_alu instid0(VALU_DEP_1) | instskip(NEXT) | instid1(VALU_DEP_1)
	v_add_nc_u32_e32 v7, v12, v7
	v_lshrrev_b32_e32 v13, s6, v7
	s_delay_alu instid0(VALU_DEP_1) | instskip(NEXT) | instid1(VALU_DEP_1)
	v_mul_lo_u32 v7, v13, s4
	v_sub_nc_u32_e32 v11, v12, v7
	s_delay_alu instid0(VALU_DEP_1)
	v_mul_lo_u32 v7, v11, s8
	v_mul_lo_u32 v10, v11, s9
	;; [unrolled: 1-line block ×3, first 2 shown]
	s_cbranch_scc1 .LBB70_56
; %bb.55:
	s_clause 0x1
	s_load_b128 s[4:7], s[0:1], 0x10
	s_load_b128 s[8:11], s[0:1], 0xd0
	s_waitcnt lgkmcnt(0)
	v_mul_hi_u32 v12, s5, v13
	s_delay_alu instid0(VALU_DEP_1) | instskip(NEXT) | instid1(VALU_DEP_1)
	v_add_nc_u32_e32 v12, v13, v12
	v_lshrrev_b32_e32 v12, s6, v12
	s_delay_alu instid0(VALU_DEP_1) | instskip(NEXT) | instid1(VALU_DEP_1)
	v_mul_lo_u32 v12, v12, s4
	v_sub_nc_u32_e32 v16, v13, v12
	s_delay_alu instid0(VALU_DEP_1) | instskip(SKIP_1) | instid1(VALU_DEP_2)
	v_mad_u64_u32 v[12:13], null, v16, s8, v[7:8]
	v_mad_u64_u32 v[13:14], null, v16, s9, v[10:11]
	;; [unrolled: 1-line block ×3, first 2 shown]
	s_delay_alu instid0(VALU_DEP_2) | instskip(NEXT) | instid1(VALU_DEP_2)
	v_dual_mov_b32 v7, v12 :: v_dual_mov_b32 v10, v13
	v_mov_b32_e32 v11, v14
.LBB70_56:
	s_clause 0x1
	s_load_b64 s[4:5], s[0:1], 0x198
	s_load_b128 s[0:3], s[0:1], 0x188
	v_mov_b32_e32 v14, 0
	s_mov_b32 s8, exec_lo
	s_waitcnt lgkmcnt(0)
	global_load_u16 v4, v4, s[4:5]
	s_waitcnt vmcnt(0)
	v_cvt_f32_f16_e32 v12, v4
	v_cmp_class_f16_e64 vcc_lo, v4, 0x1f8
	s_delay_alu instid0(VALU_DEP_2) | instskip(NEXT) | instid1(VALU_DEP_1)
	v_cvt_i32_f32_e32 v12, v12
	v_ashrrev_i32_e32 v13, 31, v12
	s_delay_alu instid0(VALU_DEP_1) | instskip(NEXT) | instid1(VALU_DEP_1)
	v_dual_cndmask_b32 v12, -1, v12 :: v_dual_cndmask_b32 v13, -1, v13
	v_cmpx_lt_i64_e32 -1, v[12:13]
	s_cbranch_execz .LBB70_68
; %bb.57:
	v_mov_b32_e32 v14, 1.0
	s_mov_b32 s9, exec_lo
	v_cmpx_lt_i64_e32 0, v[12:13]
	s_cbranch_execz .LBB70_67
; %bb.58:
	global_load_b32 v3, v3, s[2:3]
                                        ; implicit-def: $vgpr14
	s_mov_b32 s6, exec_lo
	v_cmpx_ne_u64_e32 1, v[12:13]
	s_xor_b32 s10, exec_lo, s6
	s_cbranch_execz .LBB70_64
; %bb.59:
	v_mov_b32_e32 v14, 0x7fc00000
	s_mov_b32 s11, exec_lo
	v_cmpx_gt_u64_e32 0x81, v[12:13]
	s_cbranch_execz .LBB70_63
; %bb.60:
	s_waitcnt vmcnt(0)
	v_add_f32_e32 v15, v3, v3
	v_lshlrev_b64 v[3:4], 1, v[12:13]
	v_mov_b32_e32 v12, 1.0
	s_mov_b64 s[6:7], 2
	s_mov_b32 s12, 0
	v_mov_b32_e32 v14, v15
	.p2align	6
.LBB70_61:                              ; =>This Inner Loop Header: Depth=1
	s_clz_i32_u32 s13, s7
	s_delay_alu instid0(SALU_CYCLE_1) | instskip(NEXT) | instid1(SALU_CYCLE_1)
	s_min_u32 s13, s13, 32
	s_lshl_b64 s[14:15], s[6:7], s13
	s_sub_i32 s13, 32, s13
	s_min_u32 s14, s14, 1
	s_delay_alu instid0(SALU_CYCLE_1) | instskip(SKIP_3) | instid1(SALU_CYCLE_1)
	s_or_b32 s14, s15, s14
	s_add_u32 s6, s6, 2
	v_cvt_f32_u32_e32 v13, s14
	s_addc_u32 s7, s7, 0
	v_cmp_ge_u64_e32 vcc_lo, s[6:7], v[3:4]
	s_delay_alu instid0(VALU_DEP_2) | instskip(SKIP_1) | instid1(VALU_DEP_1)
	v_ldexp_f32 v13, v13, s13
	s_or_b32 s12, vcc_lo, s12
	v_dual_mul_f32 v13, v12, v13 :: v_dual_mov_b32 v12, v14
	s_delay_alu instid0(VALU_DEP_1)
	v_fma_f32 v14, v15, v14, -v13
	s_and_not1_b32 exec_lo, exec_lo, s12
	s_cbranch_execnz .LBB70_61
; %bb.62:
	s_or_b32 exec_lo, exec_lo, s12
.LBB70_63:
	s_delay_alu instid0(SALU_CYCLE_1)
	s_or_b32 exec_lo, exec_lo, s11
                                        ; implicit-def: $vgpr3
.LBB70_64:
	s_and_not1_saveexec_b32 s6, s10
	s_cbranch_execz .LBB70_66
; %bb.65:
	s_waitcnt vmcnt(0)
	v_add_f32_e32 v14, v3, v3
.LBB70_66:
	s_or_b32 exec_lo, exec_lo, s6
.LBB70_67:
	s_delay_alu instid0(SALU_CYCLE_1)
	s_or_b32 exec_lo, exec_lo, s9
.LBB70_68:
	s_delay_alu instid0(SALU_CYCLE_1)
	s_or_b32 exec_lo, exec_lo, s8
	global_load_u16 v3, v6, s[4:5]
	s_mov_b32 s8, exec_lo
	s_waitcnt vmcnt(0)
	v_cvt_f32_f16_e32 v4, v3
	v_cmp_class_f16_e64 vcc_lo, v3, 0x1f8
	s_delay_alu instid0(VALU_DEP_2) | instskip(NEXT) | instid1(VALU_DEP_1)
	v_cvt_i32_f32_e32 v6, v4
	v_ashrrev_i32_e32 v4, 31, v6
	v_dual_cndmask_b32 v3, -1, v6 :: v_dual_mov_b32 v6, 0
	s_delay_alu instid0(VALU_DEP_2) | instskip(NEXT) | instid1(VALU_DEP_1)
	v_cndmask_b32_e32 v4, -1, v4, vcc_lo
	v_cmpx_lt_i64_e32 -1, v[3:4]
	s_cbranch_execz .LBB70_80
; %bb.69:
	v_mov_b32_e32 v6, 1.0
	s_mov_b32 s9, exec_lo
	v_cmpx_lt_i64_e32 0, v[3:4]
	s_cbranch_execz .LBB70_79
; %bb.70:
	global_load_b32 v5, v5, s[2:3]
                                        ; implicit-def: $vgpr6
	s_mov_b32 s6, exec_lo
	v_cmpx_ne_u64_e32 1, v[3:4]
	s_xor_b32 s10, exec_lo, s6
	s_cbranch_execz .LBB70_76
; %bb.71:
	v_mov_b32_e32 v6, 0x7fc00000
	s_mov_b32 s11, exec_lo
	v_cmpx_gt_u64_e32 0x81, v[3:4]
	s_cbranch_execz .LBB70_75
; %bb.72:
	s_waitcnt vmcnt(0)
	v_dual_add_f32 v5, v5, v5 :: v_dual_mov_b32 v12, 1.0
	v_lshlrev_b64 v[3:4], 1, v[3:4]
	s_mov_b64 s[6:7], 2
	s_mov_b32 s12, 0
	s_delay_alu instid0(VALU_DEP_2)
	v_mov_b32_e32 v6, v5
	.p2align	6
.LBB70_73:                              ; =>This Inner Loop Header: Depth=1
	s_clz_i32_u32 s13, s7
	s_delay_alu instid0(SALU_CYCLE_1) | instskip(NEXT) | instid1(SALU_CYCLE_1)
	s_min_u32 s13, s13, 32
	s_lshl_b64 s[14:15], s[6:7], s13
	s_sub_i32 s13, 32, s13
	s_min_u32 s14, s14, 1
	s_delay_alu instid0(SALU_CYCLE_1) | instskip(SKIP_3) | instid1(SALU_CYCLE_1)
	s_or_b32 s14, s15, s14
	s_add_u32 s6, s6, 2
	v_cvt_f32_u32_e32 v13, s14
	s_addc_u32 s7, s7, 0
	v_cmp_ge_u64_e32 vcc_lo, s[6:7], v[3:4]
	s_delay_alu instid0(VALU_DEP_2) | instskip(SKIP_1) | instid1(VALU_DEP_1)
	v_ldexp_f32 v13, v13, s13
	s_or_b32 s12, vcc_lo, s12
	v_dual_mul_f32 v13, v12, v13 :: v_dual_mov_b32 v12, v6
	s_delay_alu instid0(VALU_DEP_1)
	v_fma_f32 v6, v5, v6, -v13
	s_and_not1_b32 exec_lo, exec_lo, s12
	s_cbranch_execnz .LBB70_73
; %bb.74:
	s_or_b32 exec_lo, exec_lo, s12
.LBB70_75:
	s_delay_alu instid0(SALU_CYCLE_1)
	s_or_b32 exec_lo, exec_lo, s11
                                        ; implicit-def: $vgpr5
.LBB70_76:
	s_and_not1_saveexec_b32 s6, s10
	s_cbranch_execz .LBB70_78
; %bb.77:
	s_waitcnt vmcnt(0)
	v_add_f32_e32 v6, v5, v5
.LBB70_78:
	s_or_b32 exec_lo, exec_lo, s6
.LBB70_79:
	s_delay_alu instid0(SALU_CYCLE_1)
	s_or_b32 exec_lo, exec_lo, s9
.LBB70_80:
	s_delay_alu instid0(SALU_CYCLE_1)
	s_or_b32 exec_lo, exec_lo, s8
	global_load_u16 v3, v9, s[4:5]
	s_mov_b32 s8, exec_lo
	s_waitcnt vmcnt(0)
	v_cvt_f32_f16_e32 v4, v3
	v_cmp_class_f16_e64 vcc_lo, v3, 0x1f8
	s_delay_alu instid0(VALU_DEP_2) | instskip(NEXT) | instid1(VALU_DEP_1)
	v_cvt_i32_f32_e32 v5, v4
	v_ashrrev_i32_e32 v4, 31, v5
	v_cndmask_b32_e32 v3, -1, v5, vcc_lo
	s_delay_alu instid0(VALU_DEP_2) | instskip(NEXT) | instid1(VALU_DEP_1)
	v_dual_mov_b32 v5, 0 :: v_dual_cndmask_b32 v4, -1, v4
	v_cmpx_lt_i64_e32 -1, v[3:4]
	s_cbranch_execz .LBB70_92
; %bb.81:
	v_mov_b32_e32 v5, 1.0
	s_mov_b32 s9, exec_lo
	v_cmpx_lt_i64_e32 0, v[3:4]
	s_cbranch_execz .LBB70_91
; %bb.82:
	global_load_b32 v8, v8, s[2:3]
                                        ; implicit-def: $vgpr5
	s_mov_b32 s6, exec_lo
	v_cmpx_ne_u64_e32 1, v[3:4]
	s_xor_b32 s10, exec_lo, s6
	s_cbranch_execz .LBB70_88
; %bb.83:
	v_mov_b32_e32 v5, 0x7fc00000
	s_mov_b32 s11, exec_lo
	v_cmpx_gt_u64_e32 0x81, v[3:4]
	s_cbranch_execz .LBB70_87
; %bb.84:
	s_waitcnt vmcnt(0)
	v_dual_add_f32 v8, v8, v8 :: v_dual_mov_b32 v9, 1.0
	v_lshlrev_b64 v[3:4], 1, v[3:4]
	s_mov_b64 s[6:7], 2
	s_mov_b32 s12, 0
	s_delay_alu instid0(VALU_DEP_2)
	v_mov_b32_e32 v5, v8
	.p2align	6
.LBB70_85:                              ; =>This Inner Loop Header: Depth=1
	s_clz_i32_u32 s13, s7
	s_delay_alu instid0(SALU_CYCLE_1) | instskip(NEXT) | instid1(SALU_CYCLE_1)
	s_min_u32 s13, s13, 32
	s_lshl_b64 s[14:15], s[6:7], s13
	s_sub_i32 s13, 32, s13
	s_min_u32 s14, s14, 1
	s_delay_alu instid0(SALU_CYCLE_1) | instskip(SKIP_3) | instid1(SALU_CYCLE_1)
	s_or_b32 s14, s15, s14
	s_add_u32 s6, s6, 2
	v_cvt_f32_u32_e32 v12, s14
	s_addc_u32 s7, s7, 0
	v_cmp_ge_u64_e32 vcc_lo, s[6:7], v[3:4]
	s_delay_alu instid0(VALU_DEP_2) | instskip(SKIP_1) | instid1(VALU_DEP_1)
	v_ldexp_f32 v12, v12, s13
	s_or_b32 s12, vcc_lo, s12
	v_mul_f32_e32 v12, v9, v12
	v_mov_b32_e32 v9, v5
	s_delay_alu instid0(VALU_DEP_2)
	v_fma_f32 v5, v8, v5, -v12
	s_and_not1_b32 exec_lo, exec_lo, s12
	s_cbranch_execnz .LBB70_85
; %bb.86:
	s_or_b32 exec_lo, exec_lo, s12
.LBB70_87:
	s_delay_alu instid0(SALU_CYCLE_1)
	s_or_b32 exec_lo, exec_lo, s11
                                        ; implicit-def: $vgpr8
.LBB70_88:
	s_and_not1_saveexec_b32 s6, s10
	s_cbranch_execz .LBB70_90
; %bb.89:
	s_waitcnt vmcnt(0)
	v_add_f32_e32 v5, v8, v8
.LBB70_90:
	s_or_b32 exec_lo, exec_lo, s6
.LBB70_91:
	s_delay_alu instid0(SALU_CYCLE_1)
	s_or_b32 exec_lo, exec_lo, s9
.LBB70_92:
	s_delay_alu instid0(SALU_CYCLE_1)
	s_or_b32 exec_lo, exec_lo, s8
	global_load_u16 v3, v11, s[4:5]
	s_mov_b32 s4, exec_lo
	s_waitcnt vmcnt(0)
	v_cvt_f32_f16_e32 v4, v3
	v_cmp_class_f16_e64 vcc_lo, v3, 0x1f8
	s_delay_alu instid0(VALU_DEP_2) | instskip(NEXT) | instid1(VALU_DEP_1)
	v_cvt_i32_f32_e32 v8, v4
	v_ashrrev_i32_e32 v4, 31, v8
	v_dual_cndmask_b32 v3, -1, v8 :: v_dual_mov_b32 v8, 0
	s_delay_alu instid0(VALU_DEP_2) | instskip(NEXT) | instid1(VALU_DEP_1)
	v_cndmask_b32_e32 v4, -1, v4, vcc_lo
	v_cmpx_lt_i64_e32 -1, v[3:4]
	s_cbranch_execz .LBB70_104
; %bb.93:
	v_mov_b32_e32 v8, 1.0
	s_mov_b32 s5, exec_lo
	v_cmpx_lt_i64_e32 0, v[3:4]
	s_cbranch_execz .LBB70_103
; %bb.94:
	global_load_b32 v9, v10, s[2:3]
                                        ; implicit-def: $vgpr8
	s_mov_b32 s2, exec_lo
	v_cmpx_ne_u64_e32 1, v[3:4]
	s_xor_b32 s6, exec_lo, s2
	s_cbranch_execz .LBB70_100
; %bb.95:
	v_mov_b32_e32 v8, 0x7fc00000
	s_mov_b32 s7, exec_lo
	v_cmpx_gt_u64_e32 0x81, v[3:4]
	s_cbranch_execz .LBB70_99
; %bb.96:
	s_waitcnt vmcnt(0)
	v_dual_add_f32 v9, v9, v9 :: v_dual_mov_b32 v10, 1.0
	v_lshlrev_b64 v[3:4], 1, v[3:4]
	s_mov_b64 s[2:3], 2
	s_mov_b32 s8, 0
	s_delay_alu instid0(VALU_DEP_2)
	v_mov_b32_e32 v8, v9
	.p2align	6
.LBB70_97:                              ; =>This Inner Loop Header: Depth=1
	s_clz_i32_u32 s9, s3
	s_delay_alu instid0(SALU_CYCLE_1) | instskip(NEXT) | instid1(SALU_CYCLE_1)
	s_min_u32 s9, s9, 32
	s_lshl_b64 s[10:11], s[2:3], s9
	s_sub_i32 s9, 32, s9
	s_min_u32 s10, s10, 1
	s_delay_alu instid0(SALU_CYCLE_1) | instskip(SKIP_3) | instid1(SALU_CYCLE_1)
	s_or_b32 s10, s11, s10
	s_add_u32 s2, s2, 2
	v_cvt_f32_u32_e32 v11, s10
	s_addc_u32 s3, s3, 0
	v_cmp_ge_u64_e32 vcc_lo, s[2:3], v[3:4]
	s_delay_alu instid0(VALU_DEP_2) | instskip(SKIP_1) | instid1(VALU_DEP_1)
	v_ldexp_f32 v11, v11, s9
	s_or_b32 s8, vcc_lo, s8
	v_dual_mul_f32 v11, v10, v11 :: v_dual_mov_b32 v10, v8
	s_delay_alu instid0(VALU_DEP_1)
	v_fma_f32 v8, v9, v8, -v11
	s_and_not1_b32 exec_lo, exec_lo, s8
	s_cbranch_execnz .LBB70_97
; %bb.98:
	s_or_b32 exec_lo, exec_lo, s8
.LBB70_99:
	s_delay_alu instid0(SALU_CYCLE_1)
	s_or_b32 exec_lo, exec_lo, s7
                                        ; implicit-def: $vgpr9
.LBB70_100:
	s_and_not1_saveexec_b32 s2, s6
	s_cbranch_execz .LBB70_102
; %bb.101:
	s_waitcnt vmcnt(0)
	v_add_f32_e32 v8, v9, v9
.LBB70_102:
	s_or_b32 exec_lo, exec_lo, s2
.LBB70_103:
	s_delay_alu instid0(SALU_CYCLE_1)
	s_or_b32 exec_lo, exec_lo, s5
.LBB70_104:
	s_delay_alu instid0(SALU_CYCLE_1)
	s_or_b32 exec_lo, exec_lo, s4
	s_clause 0x3
	global_store_b32 v0, v14, s[0:1]
	global_store_b32 v1, v6, s[0:1]
	;; [unrolled: 1-line block ×4, first 2 shown]
	s_nop 0
	s_sendmsg sendmsg(MSG_DEALLOC_VGPRS)
	s_endpgm
.LBB70_105:
	s_mov_b32 s31, -1
                                        ; implicit-def: $vgpr0
                                        ; implicit-def: $vgpr1
                                        ; implicit-def: $vgpr2
.LBB70_106:
	s_delay_alu instid0(SALU_CYCLE_1)
	s_and_not1_b32 vcc_lo, exec_lo, s31
	s_cbranch_vccnz .LBB70_109
; %bb.107:
	s_waitcnt lgkmcnt(0)
	v_mul_hi_u32 v0, s13, v7
	s_and_not1_b32 vcc_lo, exec_lo, s26
	s_delay_alu instid0(VALU_DEP_1) | instskip(NEXT) | instid1(VALU_DEP_1)
	v_add_nc_u32_e32 v0, v7, v0
	v_lshrrev_b32_e32 v3, s14, v0
	s_delay_alu instid0(VALU_DEP_1) | instskip(NEXT) | instid1(VALU_DEP_1)
	v_mul_lo_u32 v0, v3, s12
	v_sub_nc_u32_e32 v2, v7, v0
	s_delay_alu instid0(VALU_DEP_1)
	v_mul_lo_u32 v0, v2, s8
	v_mul_lo_u32 v1, v2, s9
	;; [unrolled: 1-line block ×3, first 2 shown]
	s_cbranch_vccnz .LBB70_109
; %bb.108:
	v_mul_hi_u32 v4, s18, v3
	s_delay_alu instid0(VALU_DEP_1) | instskip(NEXT) | instid1(VALU_DEP_1)
	v_add_nc_u32_e32 v4, v3, v4
	v_lshrrev_b32_e32 v4, s19, v4
	s_delay_alu instid0(VALU_DEP_1) | instskip(NEXT) | instid1(VALU_DEP_1)
	v_mul_lo_u32 v4, v4, s15
	v_sub_nc_u32_e32 v8, v3, v4
	s_delay_alu instid0(VALU_DEP_1) | instskip(SKIP_1) | instid1(VALU_DEP_2)
	v_mad_u64_u32 v[3:4], null, v8, s11, v[0:1]
	v_mad_u64_u32 v[4:5], null, v8, s16, v[1:2]
	;; [unrolled: 1-line block ×3, first 2 shown]
	s_delay_alu instid0(VALU_DEP_2) | instskip(NEXT) | instid1(VALU_DEP_2)
	v_dual_mov_b32 v0, v3 :: v_dual_mov_b32 v1, v4
	v_mov_b32_e32 v2, v5
.LBB70_109:
	s_waitcnt lgkmcnt(0)
	global_load_u16 v2, v2, s[2:3]
	s_mov_b32 s31, exec_lo
	s_waitcnt vmcnt(0)
	v_cvt_f32_f16_e32 v3, v2
	v_cmp_class_f16_e64 vcc_lo, v2, 0x1f8
	s_delay_alu instid0(VALU_DEP_2) | instskip(NEXT) | instid1(VALU_DEP_1)
	v_cvt_i32_f32_e32 v4, v3
	v_ashrrev_i32_e32 v3, 31, v4
	v_cndmask_b32_e32 v2, -1, v4, vcc_lo
	s_delay_alu instid0(VALU_DEP_2) | instskip(NEXT) | instid1(VALU_DEP_1)
	v_dual_mov_b32 v4, 0 :: v_dual_cndmask_b32 v3, -1, v3
	v_cmpx_lt_i64_e32 -1, v[2:3]
	s_cbranch_execz .LBB70_121
; %bb.110:
	v_mov_b32_e32 v4, 1.0
	s_mov_b32 s33, exec_lo
	v_cmpx_lt_i64_e32 0, v[2:3]
	s_cbranch_execz .LBB70_120
; %bb.111:
	global_load_b32 v1, v1, s[6:7]
                                        ; implicit-def: $vgpr4
	s_mov_b32 s20, exec_lo
	v_cmpx_ne_u64_e32 1, v[2:3]
	s_xor_b32 s34, exec_lo, s20
	s_cbranch_execz .LBB70_117
; %bb.112:
	v_mov_b32_e32 v4, 0x7fc00000
	s_mov_b32 s35, exec_lo
	v_cmpx_gt_u64_e32 0x81, v[2:3]
	s_cbranch_execz .LBB70_116
; %bb.113:
	s_waitcnt vmcnt(0)
	v_add_f32_e32 v5, v1, v1
	v_lshlrev_b64 v[1:2], 1, v[2:3]
	v_mov_b32_e32 v3, 1.0
	s_mov_b64 s[20:21], 2
	s_mov_b32 s36, 0
	v_mov_b32_e32 v4, v5
	.p2align	6
.LBB70_114:                             ; =>This Inner Loop Header: Depth=1
	s_clz_i32_u32 s37, s21
	s_delay_alu instid0(SALU_CYCLE_1) | instskip(NEXT) | instid1(SALU_CYCLE_1)
	s_min_u32 s37, s37, 32
	s_lshl_b64 s[38:39], s[20:21], s37
	s_sub_i32 s37, 32, s37
	s_min_u32 s38, s38, 1
	s_delay_alu instid0(SALU_CYCLE_1) | instskip(SKIP_3) | instid1(SALU_CYCLE_1)
	s_or_b32 s38, s39, s38
	s_add_u32 s20, s20, 2
	v_cvt_f32_u32_e32 v6, s38
	s_addc_u32 s21, s21, 0
	v_cmp_ge_u64_e32 vcc_lo, s[20:21], v[1:2]
	s_delay_alu instid0(VALU_DEP_2) | instskip(SKIP_1) | instid1(VALU_DEP_1)
	v_ldexp_f32 v6, v6, s37
	s_or_b32 s36, vcc_lo, s36
	v_dual_mul_f32 v6, v3, v6 :: v_dual_mov_b32 v3, v4
	s_delay_alu instid0(VALU_DEP_1)
	v_fma_f32 v4, v5, v4, -v6
	s_and_not1_b32 exec_lo, exec_lo, s36
	s_cbranch_execnz .LBB70_114
; %bb.115:
	s_or_b32 exec_lo, exec_lo, s36
.LBB70_116:
	s_delay_alu instid0(SALU_CYCLE_1)
	s_or_b32 exec_lo, exec_lo, s35
                                        ; implicit-def: $vgpr1
.LBB70_117:
	s_and_not1_saveexec_b32 s20, s34
	s_cbranch_execz .LBB70_119
; %bb.118:
	s_waitcnt vmcnt(0)
	v_add_f32_e32 v4, v1, v1
.LBB70_119:
	s_or_b32 exec_lo, exec_lo, s20
.LBB70_120:
	s_delay_alu instid0(SALU_CYCLE_1)
	s_or_b32 exec_lo, exec_lo, s33
.LBB70_121:
	s_delay_alu instid0(SALU_CYCLE_1) | instskip(SKIP_3) | instid1(SALU_CYCLE_1)
	s_or_b32 exec_lo, exec_lo, s31
	v_add_nc_u32_e32 v7, 0x80, v7
	global_store_b32 v0, v4, s[4:5]
	s_or_b32 exec_lo, exec_lo, s30
	s_mov_b32 s30, exec_lo
	v_cmpx_gt_i32_e64 s28, v7
	s_cbranch_execnz .LBB70_16
.LBB70_122:
	s_or_b32 exec_lo, exec_lo, s30
	s_delay_alu instid0(SALU_CYCLE_1)
	s_mov_b32 s30, exec_lo
	v_cmpx_gt_i32_e64 s28, v7
	s_cbranch_execz .LBB70_146
.LBB70_123:
	s_and_not1_b32 vcc_lo, exec_lo, s24
	s_cbranch_vccnz .LBB70_149
; %bb.124:
	s_waitcnt vmcnt(0)
	v_dual_mov_b32 v0, 0 :: v_dual_mov_b32 v1, 0
	v_mov_b32_e32 v2, 0
	s_and_not1_b32 vcc_lo, exec_lo, s29
	s_mov_b32 s31, 0
	s_cbranch_vccnz .LBB70_150
; %bb.125:
	s_add_i32 s20, s27, 1
	v_dual_mov_b32 v2, 0 :: v_dual_mov_b32 v1, 0
	v_dual_mov_b32 v0, 0 :: v_dual_mov_b32 v3, v7
	s_and_b32 s33, s20, 30
	s_add_u32 s20, s0, 0xffffffec
	s_addc_u32 s21, s1, -1
	s_set_inst_prefetch_distance 0x1
	.p2align	6
.LBB70_126:                             ; =>This Inner Loop Header: Depth=1
	s_clause 0x2
	s_load_b128 s[36:39], s[20:21], 0x18
	s_load_b64 s[34:35], s[20:21], 0x28
	s_load_b128 s[40:43], s[20:21], 0xd8
	s_waitcnt lgkmcnt(0)
	v_mul_hi_u32 v4, s37, v3
	s_delay_alu instid0(VALU_DEP_1) | instskip(NEXT) | instid1(VALU_DEP_1)
	v_add_nc_u32_e32 v4, v3, v4
	v_lshrrev_b32_e32 v4, s38, v4
	s_delay_alu instid0(VALU_DEP_1)
	v_mul_hi_u32 v5, s34, v4
	v_mul_lo_u32 v6, v4, s36
	s_load_b64 s[36:37], s[20:21], 0xe8
	s_add_u32 s20, s20, 24
	s_addc_u32 s21, s21, 0
	s_add_i32 s33, s33, -2
	s_delay_alu instid0(SALU_CYCLE_1) | instskip(NEXT) | instid1(VALU_DEP_2)
	s_cmp_eq_u32 s33, 0
	v_add_nc_u32_e32 v5, v4, v5
	s_delay_alu instid0(VALU_DEP_2) | instskip(NEXT) | instid1(VALU_DEP_2)
	v_sub_nc_u32_e32 v6, v3, v6
	v_lshrrev_b32_e32 v3, s35, v5
	s_delay_alu instid0(VALU_DEP_2) | instskip(NEXT) | instid1(VALU_DEP_2)
	v_mul_lo_u32 v8, v6, s40
	v_mul_lo_u32 v5, v3, s39
	s_delay_alu instid0(VALU_DEP_1) | instskip(SKIP_2) | instid1(VALU_DEP_3)
	v_sub_nc_u32_e32 v4, v4, v5
	v_mul_lo_u32 v5, v6, s41
	v_mul_lo_u32 v6, v6, s42
	;; [unrolled: 1-line block ×3, first 2 shown]
	s_waitcnt lgkmcnt(0)
	v_mul_lo_u32 v10, v4, s36
	v_mul_lo_u32 v4, v4, s37
	s_delay_alu instid0(VALU_DEP_3) | instskip(NEXT) | instid1(VALU_DEP_3)
	v_add3_u32 v0, v8, v0, v9
	v_add3_u32 v1, v5, v1, v10
	s_delay_alu instid0(VALU_DEP_3)
	v_add3_u32 v2, v6, v2, v4
	s_cbranch_scc0 .LBB70_126
; %bb.127:
	s_set_inst_prefetch_distance 0x2
	s_bitcmp1_b32 s27, 0
	s_cselect_b32 s33, -1, 0
	s_delay_alu instid0(SALU_CYCLE_1)
	s_and_b32 vcc_lo, exec_lo, s33
	s_cbranch_vccnz .LBB70_150
; %bb.128:
	s_clause 0x3
	s_load_b64 s[34:35], s[20:21], 0x18
	s_load_b32 s33, s[20:21], 0x20
	s_load_b64 s[36:37], s[20:21], 0xd8
	s_load_b32 s20, s[20:21], 0xe0
	s_waitcnt lgkmcnt(0)
	v_mul_hi_u32 v4, s35, v3
	s_delay_alu instid0(VALU_DEP_1) | instskip(NEXT) | instid1(VALU_DEP_1)
	v_add_nc_u32_e32 v4, v3, v4
	v_lshrrev_b32_e32 v4, s33, v4
	s_delay_alu instid0(VALU_DEP_1) | instskip(NEXT) | instid1(VALU_DEP_1)
	v_mul_lo_u32 v4, v4, s34
	v_sub_nc_u32_e32 v8, v3, v4
	s_delay_alu instid0(VALU_DEP_1) | instskip(SKIP_1) | instid1(VALU_DEP_2)
	v_mad_u64_u32 v[3:4], null, v8, s36, v[0:1]
	v_mad_u64_u32 v[4:5], null, v8, s37, v[1:2]
	v_mad_u64_u32 v[5:6], null, v8, s20, v[2:3]
	s_delay_alu instid0(VALU_DEP_2) | instskip(NEXT) | instid1(VALU_DEP_2)
	v_dual_mov_b32 v0, v3 :: v_dual_mov_b32 v1, v4
	v_mov_b32_e32 v2, v5
	s_branch .LBB70_150
.LBB70_129:
	s_mov_b32 s31, -1
                                        ; implicit-def: $vgpr0
                                        ; implicit-def: $vgpr1
                                        ; implicit-def: $vgpr2
.LBB70_130:
	s_delay_alu instid0(SALU_CYCLE_1)
	s_and_not1_b32 vcc_lo, exec_lo, s31
	s_cbranch_vccnz .LBB70_133
; %bb.131:
	s_waitcnt lgkmcnt(0)
	v_mul_hi_u32 v0, s13, v7
	s_and_not1_b32 vcc_lo, exec_lo, s26
	s_delay_alu instid0(VALU_DEP_1) | instskip(NEXT) | instid1(VALU_DEP_1)
	v_add_nc_u32_e32 v0, v7, v0
	v_lshrrev_b32_e32 v3, s14, v0
	s_delay_alu instid0(VALU_DEP_1) | instskip(NEXT) | instid1(VALU_DEP_1)
	v_mul_lo_u32 v0, v3, s12
	v_sub_nc_u32_e32 v2, v7, v0
	s_delay_alu instid0(VALU_DEP_1)
	v_mul_lo_u32 v0, v2, s8
	s_waitcnt vmcnt(0)
	v_mul_lo_u32 v1, v2, s9
	v_mul_lo_u32 v2, v2, s10
	s_cbranch_vccnz .LBB70_133
; %bb.132:
	v_mul_hi_u32 v4, s18, v3
	s_delay_alu instid0(VALU_DEP_1) | instskip(NEXT) | instid1(VALU_DEP_1)
	v_add_nc_u32_e32 v4, v3, v4
	v_lshrrev_b32_e32 v4, s19, v4
	s_delay_alu instid0(VALU_DEP_1) | instskip(NEXT) | instid1(VALU_DEP_1)
	v_mul_lo_u32 v4, v4, s15
	v_sub_nc_u32_e32 v8, v3, v4
	s_delay_alu instid0(VALU_DEP_1) | instskip(SKIP_1) | instid1(VALU_DEP_2)
	v_mad_u64_u32 v[3:4], null, v8, s11, v[0:1]
	v_mad_u64_u32 v[4:5], null, v8, s16, v[1:2]
	;; [unrolled: 1-line block ×3, first 2 shown]
	s_delay_alu instid0(VALU_DEP_2) | instskip(NEXT) | instid1(VALU_DEP_2)
	v_dual_mov_b32 v0, v3 :: v_dual_mov_b32 v1, v4
	v_mov_b32_e32 v2, v5
.LBB70_133:
	s_waitcnt lgkmcnt(0)
	global_load_u16 v2, v2, s[2:3]
	s_mov_b32 s31, exec_lo
	s_waitcnt vmcnt(0)
	v_cvt_f32_f16_e32 v3, v2
	v_cmp_class_f16_e64 vcc_lo, v2, 0x1f8
	s_delay_alu instid0(VALU_DEP_2) | instskip(NEXT) | instid1(VALU_DEP_1)
	v_cvt_i32_f32_e32 v4, v3
	v_ashrrev_i32_e32 v3, 31, v4
	v_cndmask_b32_e32 v2, -1, v4, vcc_lo
	s_delay_alu instid0(VALU_DEP_2) | instskip(NEXT) | instid1(VALU_DEP_1)
	v_dual_mov_b32 v4, 0 :: v_dual_cndmask_b32 v3, -1, v3
	v_cmpx_lt_i64_e32 -1, v[2:3]
	s_cbranch_execz .LBB70_145
; %bb.134:
	v_mov_b32_e32 v4, 1.0
	s_mov_b32 s33, exec_lo
	v_cmpx_lt_i64_e32 0, v[2:3]
	s_cbranch_execz .LBB70_144
; %bb.135:
	global_load_b32 v1, v1, s[6:7]
                                        ; implicit-def: $vgpr4
	s_mov_b32 s20, exec_lo
	v_cmpx_ne_u64_e32 1, v[2:3]
	s_xor_b32 s34, exec_lo, s20
	s_cbranch_execz .LBB70_141
; %bb.136:
	v_mov_b32_e32 v4, 0x7fc00000
	s_mov_b32 s35, exec_lo
	v_cmpx_gt_u64_e32 0x81, v[2:3]
	s_cbranch_execz .LBB70_140
; %bb.137:
	s_waitcnt vmcnt(0)
	v_add_f32_e32 v5, v1, v1
	v_lshlrev_b64 v[1:2], 1, v[2:3]
	v_mov_b32_e32 v3, 1.0
	s_mov_b64 s[20:21], 2
	s_mov_b32 s36, 0
	v_mov_b32_e32 v4, v5
	.p2align	6
.LBB70_138:                             ; =>This Inner Loop Header: Depth=1
	s_clz_i32_u32 s37, s21
	s_delay_alu instid0(SALU_CYCLE_1) | instskip(NEXT) | instid1(SALU_CYCLE_1)
	s_min_u32 s37, s37, 32
	s_lshl_b64 s[38:39], s[20:21], s37
	s_sub_i32 s37, 32, s37
	s_min_u32 s38, s38, 1
	s_delay_alu instid0(SALU_CYCLE_1) | instskip(SKIP_3) | instid1(SALU_CYCLE_1)
	s_or_b32 s38, s39, s38
	s_add_u32 s20, s20, 2
	v_cvt_f32_u32_e32 v6, s38
	s_addc_u32 s21, s21, 0
	v_cmp_ge_u64_e32 vcc_lo, s[20:21], v[1:2]
	s_delay_alu instid0(VALU_DEP_2) | instskip(SKIP_1) | instid1(VALU_DEP_1)
	v_ldexp_f32 v6, v6, s37
	s_or_b32 s36, vcc_lo, s36
	v_dual_mul_f32 v6, v3, v6 :: v_dual_mov_b32 v3, v4
	s_delay_alu instid0(VALU_DEP_1)
	v_fma_f32 v4, v5, v4, -v6
	s_and_not1_b32 exec_lo, exec_lo, s36
	s_cbranch_execnz .LBB70_138
; %bb.139:
	s_or_b32 exec_lo, exec_lo, s36
.LBB70_140:
	s_delay_alu instid0(SALU_CYCLE_1)
	s_or_b32 exec_lo, exec_lo, s35
                                        ; implicit-def: $vgpr1
.LBB70_141:
	s_and_not1_saveexec_b32 s20, s34
	s_cbranch_execz .LBB70_143
; %bb.142:
	s_waitcnt vmcnt(0)
	v_add_f32_e32 v4, v1, v1
.LBB70_143:
	s_or_b32 exec_lo, exec_lo, s20
.LBB70_144:
	s_delay_alu instid0(SALU_CYCLE_1)
	s_or_b32 exec_lo, exec_lo, s33
.LBB70_145:
	s_delay_alu instid0(SALU_CYCLE_1) | instskip(SKIP_3) | instid1(SALU_CYCLE_1)
	s_or_b32 exec_lo, exec_lo, s31
	v_add_nc_u32_e32 v7, 0x80, v7
	global_store_b32 v0, v4, s[4:5]
	s_or_b32 exec_lo, exec_lo, s30
	s_mov_b32 s30, exec_lo
	v_cmpx_gt_i32_e64 s28, v7
	s_cbranch_execnz .LBB70_123
.LBB70_146:
	s_or_b32 exec_lo, exec_lo, s30
	v_cmp_gt_i32_e32 vcc_lo, s28, v7
	s_and_saveexec_b32 s28, vcc_lo
	s_cbranch_execnz .LBB70_166
.LBB70_147:
	s_or_b32 exec_lo, exec_lo, s28
                                        ; implicit-def: $vgpr12
                                        ; implicit-def: $vgpr7
	s_waitcnt lgkmcnt(0)
	s_and_not1_saveexec_b32 s2, s25
	s_cbranch_execnz .LBB70_9
.LBB70_148:
	s_nop 0
	s_sendmsg sendmsg(MSG_DEALLOC_VGPRS)
	s_endpgm
.LBB70_149:
	s_mov_b32 s31, -1
                                        ; implicit-def: $vgpr0
                                        ; implicit-def: $vgpr1
                                        ; implicit-def: $vgpr2
.LBB70_150:
	s_delay_alu instid0(SALU_CYCLE_1)
	s_and_not1_b32 vcc_lo, exec_lo, s31
	s_cbranch_vccnz .LBB70_153
; %bb.151:
	s_waitcnt lgkmcnt(0)
	v_mul_hi_u32 v0, s13, v7
	s_and_not1_b32 vcc_lo, exec_lo, s26
	s_delay_alu instid0(VALU_DEP_1) | instskip(NEXT) | instid1(VALU_DEP_1)
	v_add_nc_u32_e32 v0, v7, v0
	v_lshrrev_b32_e32 v3, s14, v0
	s_delay_alu instid0(VALU_DEP_1) | instskip(NEXT) | instid1(VALU_DEP_1)
	v_mul_lo_u32 v0, v3, s12
	v_sub_nc_u32_e32 v2, v7, v0
	s_delay_alu instid0(VALU_DEP_1)
	v_mul_lo_u32 v0, v2, s8
	s_waitcnt vmcnt(0)
	v_mul_lo_u32 v1, v2, s9
	v_mul_lo_u32 v2, v2, s10
	s_cbranch_vccnz .LBB70_153
; %bb.152:
	v_mul_hi_u32 v4, s18, v3
	s_delay_alu instid0(VALU_DEP_1) | instskip(NEXT) | instid1(VALU_DEP_1)
	v_add_nc_u32_e32 v4, v3, v4
	v_lshrrev_b32_e32 v4, s19, v4
	s_delay_alu instid0(VALU_DEP_1) | instskip(NEXT) | instid1(VALU_DEP_1)
	v_mul_lo_u32 v4, v4, s15
	v_sub_nc_u32_e32 v8, v3, v4
	s_delay_alu instid0(VALU_DEP_1) | instskip(SKIP_1) | instid1(VALU_DEP_2)
	v_mad_u64_u32 v[3:4], null, v8, s11, v[0:1]
	v_mad_u64_u32 v[4:5], null, v8, s16, v[1:2]
	v_mad_u64_u32 v[5:6], null, v8, s17, v[2:3]
	s_delay_alu instid0(VALU_DEP_2) | instskip(NEXT) | instid1(VALU_DEP_2)
	v_dual_mov_b32 v0, v3 :: v_dual_mov_b32 v1, v4
	v_mov_b32_e32 v2, v5
.LBB70_153:
	s_waitcnt lgkmcnt(0)
	global_load_u16 v2, v2, s[2:3]
	s_mov_b32 s31, exec_lo
	s_waitcnt vmcnt(0)
	v_cvt_f32_f16_e32 v3, v2
	v_cmp_class_f16_e64 vcc_lo, v2, 0x1f8
	s_delay_alu instid0(VALU_DEP_2) | instskip(NEXT) | instid1(VALU_DEP_1)
	v_cvt_i32_f32_e32 v4, v3
	v_ashrrev_i32_e32 v3, 31, v4
	v_cndmask_b32_e32 v2, -1, v4, vcc_lo
	s_delay_alu instid0(VALU_DEP_2) | instskip(NEXT) | instid1(VALU_DEP_1)
	v_dual_mov_b32 v4, 0 :: v_dual_cndmask_b32 v3, -1, v3
	v_cmpx_lt_i64_e32 -1, v[2:3]
	s_cbranch_execz .LBB70_165
; %bb.154:
	v_mov_b32_e32 v4, 1.0
	s_mov_b32 s33, exec_lo
	v_cmpx_lt_i64_e32 0, v[2:3]
	s_cbranch_execz .LBB70_164
; %bb.155:
	global_load_b32 v1, v1, s[6:7]
                                        ; implicit-def: $vgpr4
	s_mov_b32 s20, exec_lo
	v_cmpx_ne_u64_e32 1, v[2:3]
	s_xor_b32 s34, exec_lo, s20
	s_cbranch_execz .LBB70_161
; %bb.156:
	v_mov_b32_e32 v4, 0x7fc00000
	s_mov_b32 s35, exec_lo
	v_cmpx_gt_u64_e32 0x81, v[2:3]
	s_cbranch_execz .LBB70_160
; %bb.157:
	s_waitcnt vmcnt(0)
	v_add_f32_e32 v5, v1, v1
	v_lshlrev_b64 v[1:2], 1, v[2:3]
	v_mov_b32_e32 v3, 1.0
	s_mov_b64 s[20:21], 2
	s_mov_b32 s36, 0
	v_mov_b32_e32 v4, v5
	.p2align	6
.LBB70_158:                             ; =>This Inner Loop Header: Depth=1
	s_clz_i32_u32 s37, s21
	s_delay_alu instid0(SALU_CYCLE_1) | instskip(NEXT) | instid1(SALU_CYCLE_1)
	s_min_u32 s37, s37, 32
	s_lshl_b64 s[38:39], s[20:21], s37
	s_sub_i32 s37, 32, s37
	s_min_u32 s38, s38, 1
	s_delay_alu instid0(SALU_CYCLE_1) | instskip(SKIP_3) | instid1(SALU_CYCLE_1)
	s_or_b32 s38, s39, s38
	s_add_u32 s20, s20, 2
	v_cvt_f32_u32_e32 v6, s38
	s_addc_u32 s21, s21, 0
	v_cmp_ge_u64_e32 vcc_lo, s[20:21], v[1:2]
	s_delay_alu instid0(VALU_DEP_2) | instskip(SKIP_1) | instid1(VALU_DEP_1)
	v_ldexp_f32 v6, v6, s37
	s_or_b32 s36, vcc_lo, s36
	v_dual_mul_f32 v6, v3, v6 :: v_dual_mov_b32 v3, v4
	s_delay_alu instid0(VALU_DEP_1)
	v_fma_f32 v4, v5, v4, -v6
	s_and_not1_b32 exec_lo, exec_lo, s36
	s_cbranch_execnz .LBB70_158
; %bb.159:
	s_or_b32 exec_lo, exec_lo, s36
.LBB70_160:
	s_delay_alu instid0(SALU_CYCLE_1)
	s_or_b32 exec_lo, exec_lo, s35
                                        ; implicit-def: $vgpr1
.LBB70_161:
	s_and_not1_saveexec_b32 s20, s34
	s_cbranch_execz .LBB70_163
; %bb.162:
	s_waitcnt vmcnt(0)
	v_add_f32_e32 v4, v1, v1
.LBB70_163:
	s_or_b32 exec_lo, exec_lo, s20
.LBB70_164:
	s_delay_alu instid0(SALU_CYCLE_1)
	s_or_b32 exec_lo, exec_lo, s33
.LBB70_165:
	s_delay_alu instid0(SALU_CYCLE_1)
	s_or_b32 exec_lo, exec_lo, s31
	v_add_nc_u32_e32 v7, 0x80, v7
	global_store_b32 v0, v4, s[4:5]
	s_or_b32 exec_lo, exec_lo, s30
	v_cmp_gt_i32_e32 vcc_lo, s28, v7
	s_and_saveexec_b32 s28, vcc_lo
	s_cbranch_execz .LBB70_147
.LBB70_166:
	s_and_not1_b32 vcc_lo, exec_lo, s24
	s_cbranch_vccnz .LBB70_172
; %bb.167:
	s_waitcnt vmcnt(0)
	v_dual_mov_b32 v0, 0 :: v_dual_mov_b32 v1, 0
	v_mov_b32_e32 v2, 0
	s_and_not1_b32 vcc_lo, exec_lo, s29
	s_mov_b32 s29, 0
	s_cbranch_vccnz .LBB70_173
; %bb.168:
	s_add_i32 s20, s27, 1
	v_dual_mov_b32 v2, 0 :: v_dual_mov_b32 v1, 0
	v_dual_mov_b32 v0, 0 :: v_dual_mov_b32 v3, v7
	s_and_b32 s30, s20, 30
	s_add_u32 s20, s0, 0xffffffec
	s_addc_u32 s21, s1, -1
	s_set_inst_prefetch_distance 0x1
	.p2align	6
.LBB70_169:                             ; =>This Inner Loop Header: Depth=1
	s_clause 0x2
	s_load_b128 s[36:39], s[20:21], 0x18
	s_load_b64 s[34:35], s[20:21], 0x28
	s_load_b128 s[40:43], s[20:21], 0xd8
	s_waitcnt lgkmcnt(0)
	v_mul_hi_u32 v4, s37, v3
	s_delay_alu instid0(VALU_DEP_1) | instskip(NEXT) | instid1(VALU_DEP_1)
	v_add_nc_u32_e32 v4, v3, v4
	v_lshrrev_b32_e32 v4, s38, v4
	s_delay_alu instid0(VALU_DEP_1)
	v_mul_hi_u32 v5, s34, v4
	v_mul_lo_u32 v6, v4, s36
	s_load_b64 s[36:37], s[20:21], 0xe8
	s_add_u32 s20, s20, 24
	s_addc_u32 s21, s21, 0
	s_add_i32 s30, s30, -2
	s_delay_alu instid0(SALU_CYCLE_1) | instskip(NEXT) | instid1(VALU_DEP_2)
	s_cmp_eq_u32 s30, 0
	v_add_nc_u32_e32 v5, v4, v5
	s_delay_alu instid0(VALU_DEP_2) | instskip(NEXT) | instid1(VALU_DEP_2)
	v_sub_nc_u32_e32 v6, v3, v6
	v_lshrrev_b32_e32 v3, s35, v5
	s_delay_alu instid0(VALU_DEP_2) | instskip(NEXT) | instid1(VALU_DEP_2)
	v_mul_lo_u32 v8, v6, s40
	v_mul_lo_u32 v5, v3, s39
	s_delay_alu instid0(VALU_DEP_1) | instskip(SKIP_2) | instid1(VALU_DEP_3)
	v_sub_nc_u32_e32 v4, v4, v5
	v_mul_lo_u32 v5, v6, s41
	v_mul_lo_u32 v6, v6, s42
	;; [unrolled: 1-line block ×3, first 2 shown]
	s_waitcnt lgkmcnt(0)
	v_mul_lo_u32 v10, v4, s36
	v_mul_lo_u32 v4, v4, s37
	s_delay_alu instid0(VALU_DEP_3) | instskip(NEXT) | instid1(VALU_DEP_3)
	v_add3_u32 v0, v8, v0, v9
	v_add3_u32 v1, v5, v1, v10
	s_delay_alu instid0(VALU_DEP_3)
	v_add3_u32 v2, v6, v2, v4
	s_cbranch_scc0 .LBB70_169
; %bb.170:
	s_set_inst_prefetch_distance 0x2
	s_bitcmp1_b32 s27, 0
	s_cselect_b32 s27, -1, 0
	s_delay_alu instid0(SALU_CYCLE_1)
	s_and_b32 vcc_lo, exec_lo, s27
	s_cbranch_vccnz .LBB70_173
; %bb.171:
	s_clause 0x3
	s_load_b64 s[30:31], s[20:21], 0x18
	s_load_b32 s27, s[20:21], 0x20
	s_load_b64 s[34:35], s[20:21], 0xd8
	s_load_b32 s20, s[20:21], 0xe0
	s_waitcnt lgkmcnt(0)
	v_mul_hi_u32 v4, s31, v3
	s_delay_alu instid0(VALU_DEP_1) | instskip(NEXT) | instid1(VALU_DEP_1)
	v_add_nc_u32_e32 v4, v3, v4
	v_lshrrev_b32_e32 v4, s27, v4
	s_delay_alu instid0(VALU_DEP_1) | instskip(NEXT) | instid1(VALU_DEP_1)
	v_mul_lo_u32 v4, v4, s30
	v_sub_nc_u32_e32 v8, v3, v4
	s_delay_alu instid0(VALU_DEP_1) | instskip(SKIP_1) | instid1(VALU_DEP_2)
	v_mad_u64_u32 v[3:4], null, v8, s34, v[0:1]
	v_mad_u64_u32 v[4:5], null, v8, s35, v[1:2]
	;; [unrolled: 1-line block ×3, first 2 shown]
	s_delay_alu instid0(VALU_DEP_2) | instskip(NEXT) | instid1(VALU_DEP_2)
	v_dual_mov_b32 v0, v3 :: v_dual_mov_b32 v1, v4
	v_mov_b32_e32 v2, v5
	s_branch .LBB70_173
.LBB70_172:
	s_mov_b32 s29, -1
                                        ; implicit-def: $vgpr0
                                        ; implicit-def: $vgpr1
                                        ; implicit-def: $vgpr2
.LBB70_173:
	s_delay_alu instid0(SALU_CYCLE_1)
	s_and_not1_b32 vcc_lo, exec_lo, s29
	s_cbranch_vccnz .LBB70_176
; %bb.174:
	s_waitcnt lgkmcnt(0)
	v_mul_hi_u32 v0, s13, v7
	s_and_not1_b32 vcc_lo, exec_lo, s26
	s_delay_alu instid0(VALU_DEP_1) | instskip(NEXT) | instid1(VALU_DEP_1)
	v_add_nc_u32_e32 v0, v7, v0
	v_lshrrev_b32_e32 v3, s14, v0
	s_delay_alu instid0(VALU_DEP_1) | instskip(NEXT) | instid1(VALU_DEP_1)
	v_mul_lo_u32 v0, v3, s12
	v_sub_nc_u32_e32 v2, v7, v0
	s_delay_alu instid0(VALU_DEP_1)
	v_mul_lo_u32 v0, v2, s8
	s_waitcnt vmcnt(0)
	v_mul_lo_u32 v1, v2, s9
	v_mul_lo_u32 v2, v2, s10
	s_cbranch_vccnz .LBB70_176
; %bb.175:
	v_mul_hi_u32 v4, s18, v3
	s_delay_alu instid0(VALU_DEP_1) | instskip(NEXT) | instid1(VALU_DEP_1)
	v_add_nc_u32_e32 v4, v3, v4
	v_lshrrev_b32_e32 v4, s19, v4
	s_delay_alu instid0(VALU_DEP_1) | instskip(NEXT) | instid1(VALU_DEP_1)
	v_mul_lo_u32 v4, v4, s15
	v_sub_nc_u32_e32 v7, v3, v4
	s_delay_alu instid0(VALU_DEP_1) | instskip(SKIP_1) | instid1(VALU_DEP_2)
	v_mad_u64_u32 v[3:4], null, v7, s11, v[0:1]
	v_mad_u64_u32 v[4:5], null, v7, s16, v[1:2]
	;; [unrolled: 1-line block ×3, first 2 shown]
	s_delay_alu instid0(VALU_DEP_2) | instskip(NEXT) | instid1(VALU_DEP_2)
	v_dual_mov_b32 v0, v3 :: v_dual_mov_b32 v1, v4
	v_mov_b32_e32 v2, v5
.LBB70_176:
	s_waitcnt lgkmcnt(0)
	global_load_u16 v2, v2, s[2:3]
	s_mov_b32 s8, exec_lo
	s_waitcnt vmcnt(0)
	v_cvt_f32_f16_e32 v3, v2
	v_cmp_class_f16_e64 vcc_lo, v2, 0x1f8
	s_delay_alu instid0(VALU_DEP_2) | instskip(NEXT) | instid1(VALU_DEP_1)
	v_cvt_i32_f32_e32 v4, v3
	v_ashrrev_i32_e32 v3, 31, v4
	v_cndmask_b32_e32 v2, -1, v4, vcc_lo
	s_delay_alu instid0(VALU_DEP_2) | instskip(NEXT) | instid1(VALU_DEP_1)
	v_dual_mov_b32 v4, 0 :: v_dual_cndmask_b32 v3, -1, v3
	v_cmpx_lt_i64_e32 -1, v[2:3]
	s_cbranch_execz .LBB70_188
; %bb.177:
	v_mov_b32_e32 v4, 1.0
	s_mov_b32 s9, exec_lo
	v_cmpx_lt_i64_e32 0, v[2:3]
	s_cbranch_execz .LBB70_187
; %bb.178:
	global_load_b32 v1, v1, s[6:7]
                                        ; implicit-def: $vgpr4
	s_mov_b32 s2, exec_lo
	v_cmpx_ne_u64_e32 1, v[2:3]
	s_xor_b32 s6, exec_lo, s2
	s_cbranch_execz .LBB70_184
; %bb.179:
	v_mov_b32_e32 v4, 0x7fc00000
	s_mov_b32 s7, exec_lo
	v_cmpx_gt_u64_e32 0x81, v[2:3]
	s_cbranch_execz .LBB70_183
; %bb.180:
	s_waitcnt vmcnt(0)
	v_add_f32_e32 v5, v1, v1
	v_lshlrev_b64 v[1:2], 1, v[2:3]
	v_mov_b32_e32 v3, 1.0
	s_mov_b64 s[2:3], 2
	s_mov_b32 s10, 0
	v_mov_b32_e32 v4, v5
	.p2align	6
.LBB70_181:                             ; =>This Inner Loop Header: Depth=1
	s_clz_i32_u32 s11, s3
	s_delay_alu instid0(SALU_CYCLE_1) | instskip(NEXT) | instid1(SALU_CYCLE_1)
	s_min_u32 s11, s11, 32
	s_lshl_b64 s[12:13], s[2:3], s11
	s_sub_i32 s11, 32, s11
	s_min_u32 s12, s12, 1
	s_delay_alu instid0(SALU_CYCLE_1) | instskip(SKIP_3) | instid1(SALU_CYCLE_1)
	s_or_b32 s12, s13, s12
	s_add_u32 s2, s2, 2
	v_cvt_f32_u32_e32 v6, s12
	s_addc_u32 s3, s3, 0
	v_cmp_ge_u64_e32 vcc_lo, s[2:3], v[1:2]
	s_delay_alu instid0(VALU_DEP_2) | instskip(SKIP_1) | instid1(VALU_DEP_1)
	v_ldexp_f32 v6, v6, s11
	s_or_b32 s10, vcc_lo, s10
	v_dual_mul_f32 v6, v3, v6 :: v_dual_mov_b32 v3, v4
	s_delay_alu instid0(VALU_DEP_1)
	v_fma_f32 v4, v5, v4, -v6
	s_and_not1_b32 exec_lo, exec_lo, s10
	s_cbranch_execnz .LBB70_181
; %bb.182:
	s_or_b32 exec_lo, exec_lo, s10
.LBB70_183:
	s_delay_alu instid0(SALU_CYCLE_1)
	s_or_b32 exec_lo, exec_lo, s7
                                        ; implicit-def: $vgpr1
.LBB70_184:
	s_and_not1_saveexec_b32 s2, s6
	s_cbranch_execz .LBB70_186
; %bb.185:
	s_waitcnt vmcnt(0)
	v_add_f32_e32 v4, v1, v1
.LBB70_186:
	s_or_b32 exec_lo, exec_lo, s2
.LBB70_187:
	s_delay_alu instid0(SALU_CYCLE_1)
	s_or_b32 exec_lo, exec_lo, s9
.LBB70_188:
	s_delay_alu instid0(SALU_CYCLE_1)
	s_or_b32 exec_lo, exec_lo, s8
	global_store_b32 v0, v4, s[4:5]
	s_or_b32 exec_lo, exec_lo, s28
                                        ; implicit-def: $vgpr12
                                        ; implicit-def: $vgpr7
	s_and_not1_saveexec_b32 s2, s25
	s_cbranch_execz .LBB70_148
	s_branch .LBB70_9
	.section	.rodata,"a",@progbits
	.p2align	6, 0x0
	.amdhsa_kernel _ZN2at6native32elementwise_kernel_manual_unrollILi128ELi4EZNS0_12_GLOBAL__N_142type_specialized_broadcast_kernel_launcherILi3EE5applyINS0_13BinaryFunctorIfffZZZNS2_32hermite_polynomial_h_kernel_cudaERNS_18TensorIteratorBaseEENKUlvE_clEvENKUlvE0_clEvEUlffE_EESt5arrayIPcLm3EESD_IN3c1010ScalarTypeELm3EE16OffsetCalculatorILi3EjLb0EEEEvlT_T0_T1_T2_EUlibE_EEviSN_
		.amdhsa_group_segment_fixed_size 0
		.amdhsa_private_segment_fixed_size 0
		.amdhsa_kernarg_size 432
		.amdhsa_user_sgpr_count 15
		.amdhsa_user_sgpr_dispatch_ptr 0
		.amdhsa_user_sgpr_queue_ptr 0
		.amdhsa_user_sgpr_kernarg_segment_ptr 1
		.amdhsa_user_sgpr_dispatch_id 0
		.amdhsa_user_sgpr_private_segment_size 0
		.amdhsa_wavefront_size32 1
		.amdhsa_uses_dynamic_stack 0
		.amdhsa_enable_private_segment 0
		.amdhsa_system_sgpr_workgroup_id_x 1
		.amdhsa_system_sgpr_workgroup_id_y 0
		.amdhsa_system_sgpr_workgroup_id_z 0
		.amdhsa_system_sgpr_workgroup_info 0
		.amdhsa_system_vgpr_workitem_id 0
		.amdhsa_next_free_vgpr 20
		.amdhsa_next_free_sgpr 44
		.amdhsa_reserve_vcc 1
		.amdhsa_float_round_mode_32 0
		.amdhsa_float_round_mode_16_64 0
		.amdhsa_float_denorm_mode_32 3
		.amdhsa_float_denorm_mode_16_64 3
		.amdhsa_dx10_clamp 1
		.amdhsa_ieee_mode 1
		.amdhsa_fp16_overflow 0
		.amdhsa_workgroup_processor_mode 1
		.amdhsa_memory_ordered 1
		.amdhsa_forward_progress 0
		.amdhsa_shared_vgpr_count 0
		.amdhsa_exception_fp_ieee_invalid_op 0
		.amdhsa_exception_fp_denorm_src 0
		.amdhsa_exception_fp_ieee_div_zero 0
		.amdhsa_exception_fp_ieee_overflow 0
		.amdhsa_exception_fp_ieee_underflow 0
		.amdhsa_exception_fp_ieee_inexact 0
		.amdhsa_exception_int_div_zero 0
	.end_amdhsa_kernel
	.section	.text._ZN2at6native32elementwise_kernel_manual_unrollILi128ELi4EZNS0_12_GLOBAL__N_142type_specialized_broadcast_kernel_launcherILi3EE5applyINS0_13BinaryFunctorIfffZZZNS2_32hermite_polynomial_h_kernel_cudaERNS_18TensorIteratorBaseEENKUlvE_clEvENKUlvE0_clEvEUlffE_EESt5arrayIPcLm3EESD_IN3c1010ScalarTypeELm3EE16OffsetCalculatorILi3EjLb0EEEEvlT_T0_T1_T2_EUlibE_EEviSN_,"axG",@progbits,_ZN2at6native32elementwise_kernel_manual_unrollILi128ELi4EZNS0_12_GLOBAL__N_142type_specialized_broadcast_kernel_launcherILi3EE5applyINS0_13BinaryFunctorIfffZZZNS2_32hermite_polynomial_h_kernel_cudaERNS_18TensorIteratorBaseEENKUlvE_clEvENKUlvE0_clEvEUlffE_EESt5arrayIPcLm3EESD_IN3c1010ScalarTypeELm3EE16OffsetCalculatorILi3EjLb0EEEEvlT_T0_T1_T2_EUlibE_EEviSN_,comdat
.Lfunc_end70:
	.size	_ZN2at6native32elementwise_kernel_manual_unrollILi128ELi4EZNS0_12_GLOBAL__N_142type_specialized_broadcast_kernel_launcherILi3EE5applyINS0_13BinaryFunctorIfffZZZNS2_32hermite_polynomial_h_kernel_cudaERNS_18TensorIteratorBaseEENKUlvE_clEvENKUlvE0_clEvEUlffE_EESt5arrayIPcLm3EESD_IN3c1010ScalarTypeELm3EE16OffsetCalculatorILi3EjLb0EEEEvlT_T0_T1_T2_EUlibE_EEviSN_, .Lfunc_end70-_ZN2at6native32elementwise_kernel_manual_unrollILi128ELi4EZNS0_12_GLOBAL__N_142type_specialized_broadcast_kernel_launcherILi3EE5applyINS0_13BinaryFunctorIfffZZZNS2_32hermite_polynomial_h_kernel_cudaERNS_18TensorIteratorBaseEENKUlvE_clEvENKUlvE0_clEvEUlffE_EESt5arrayIPcLm3EESD_IN3c1010ScalarTypeELm3EE16OffsetCalculatorILi3EjLb0EEEEvlT_T0_T1_T2_EUlibE_EEviSN_
                                        ; -- End function
	.section	.AMDGPU.csdata,"",@progbits
; Kernel info:
; codeLenInByte = 8108
; NumSgprs: 46
; NumVgprs: 20
; ScratchSize: 0
; MemoryBound: 0
; FloatMode: 240
; IeeeMode: 1
; LDSByteSize: 0 bytes/workgroup (compile time only)
; SGPRBlocks: 5
; VGPRBlocks: 2
; NumSGPRsForWavesPerEU: 46
; NumVGPRsForWavesPerEU: 20
; Occupancy: 16
; WaveLimiterHint : 1
; COMPUTE_PGM_RSRC2:SCRATCH_EN: 0
; COMPUTE_PGM_RSRC2:USER_SGPR: 15
; COMPUTE_PGM_RSRC2:TRAP_HANDLER: 0
; COMPUTE_PGM_RSRC2:TGID_X_EN: 1
; COMPUTE_PGM_RSRC2:TGID_Y_EN: 0
; COMPUTE_PGM_RSRC2:TGID_Z_EN: 0
; COMPUTE_PGM_RSRC2:TIDIG_COMP_CNT: 0
	.section	.text._ZN2at6native32elementwise_kernel_manual_unrollILi128ELi4EZNS0_12_GLOBAL__N_142type_specialized_broadcast_kernel_launcherILi4EE5applyINS0_13BinaryFunctorIfffZZZNS2_32hermite_polynomial_h_kernel_cudaERNS_18TensorIteratorBaseEENKUlvE_clEvENKUlvE0_clEvEUlffE_EESt5arrayIPcLm3EESD_IN3c1010ScalarTypeELm3EE16OffsetCalculatorILi3EjLb0EEEEvlT_T0_T1_T2_EUlibE_EEviSN_,"axG",@progbits,_ZN2at6native32elementwise_kernel_manual_unrollILi128ELi4EZNS0_12_GLOBAL__N_142type_specialized_broadcast_kernel_launcherILi4EE5applyINS0_13BinaryFunctorIfffZZZNS2_32hermite_polynomial_h_kernel_cudaERNS_18TensorIteratorBaseEENKUlvE_clEvENKUlvE0_clEvEUlffE_EESt5arrayIPcLm3EESD_IN3c1010ScalarTypeELm3EE16OffsetCalculatorILi3EjLb0EEEEvlT_T0_T1_T2_EUlibE_EEviSN_,comdat
	.globl	_ZN2at6native32elementwise_kernel_manual_unrollILi128ELi4EZNS0_12_GLOBAL__N_142type_specialized_broadcast_kernel_launcherILi4EE5applyINS0_13BinaryFunctorIfffZZZNS2_32hermite_polynomial_h_kernel_cudaERNS_18TensorIteratorBaseEENKUlvE_clEvENKUlvE0_clEvEUlffE_EESt5arrayIPcLm3EESD_IN3c1010ScalarTypeELm3EE16OffsetCalculatorILi3EjLb0EEEEvlT_T0_T1_T2_EUlibE_EEviSN_ ; -- Begin function _ZN2at6native32elementwise_kernel_manual_unrollILi128ELi4EZNS0_12_GLOBAL__N_142type_specialized_broadcast_kernel_launcherILi4EE5applyINS0_13BinaryFunctorIfffZZZNS2_32hermite_polynomial_h_kernel_cudaERNS_18TensorIteratorBaseEENKUlvE_clEvENKUlvE0_clEvEUlffE_EESt5arrayIPcLm3EESD_IN3c1010ScalarTypeELm3EE16OffsetCalculatorILi3EjLb0EEEEvlT_T0_T1_T2_EUlibE_EEviSN_
	.p2align	8
	.type	_ZN2at6native32elementwise_kernel_manual_unrollILi128ELi4EZNS0_12_GLOBAL__N_142type_specialized_broadcast_kernel_launcherILi4EE5applyINS0_13BinaryFunctorIfffZZZNS2_32hermite_polynomial_h_kernel_cudaERNS_18TensorIteratorBaseEENKUlvE_clEvENKUlvE0_clEvEUlffE_EESt5arrayIPcLm3EESD_IN3c1010ScalarTypeELm3EE16OffsetCalculatorILi3EjLb0EEEEvlT_T0_T1_T2_EUlibE_EEviSN_,@function
_ZN2at6native32elementwise_kernel_manual_unrollILi128ELi4EZNS0_12_GLOBAL__N_142type_specialized_broadcast_kernel_launcherILi4EE5applyINS0_13BinaryFunctorIfffZZZNS2_32hermite_polynomial_h_kernel_cudaERNS_18TensorIteratorBaseEENKUlvE_clEvENKUlvE0_clEvEUlffE_EESt5arrayIPcLm3EESD_IN3c1010ScalarTypeELm3EE16OffsetCalculatorILi3EjLb0EEEEvlT_T0_T1_T2_EUlibE_EEviSN_: ; @_ZN2at6native32elementwise_kernel_manual_unrollILi128ELi4EZNS0_12_GLOBAL__N_142type_specialized_broadcast_kernel_launcherILi4EE5applyINS0_13BinaryFunctorIfffZZZNS2_32hermite_polynomial_h_kernel_cudaERNS_18TensorIteratorBaseEENKUlvE_clEvENKUlvE0_clEvEUlffE_EESt5arrayIPcLm3EESD_IN3c1010ScalarTypeELm3EE16OffsetCalculatorILi3EjLb0EEEEvlT_T0_T1_T2_EUlibE_EEviSN_
; %bb.0:
	s_clause 0x1
	s_load_b32 s22, s[0:1], 0x8
	s_load_b32 s28, s[0:1], 0x0
	v_lshl_or_b32 v7, s15, 9, v0
	s_or_b32 s0, s0, 8
	s_mov_b32 s2, exec_lo
	s_delay_alu instid0(VALU_DEP_1) | instskip(SKIP_2) | instid1(SALU_CYCLE_1)
	v_or_b32_e32 v12, 0x180, v7
	s_waitcnt lgkmcnt(0)
	s_add_i32 s23, s22, -1
	s_cmp_gt_u32 s23, 1
	s_cselect_b32 s24, -1, 0
	v_cmpx_le_i32_e64 s28, v12
	s_xor_b32 s25, exec_lo, s2
	s_cbranch_execz .LBB71_8
; %bb.1:
	s_clause 0x5
	s_load_b128 s[12:15], s[0:1], 0x4
	s_load_b64 s[18:19], s[0:1], 0x14
	s_load_b128 s[8:11], s[0:1], 0xc4
	s_load_b64 s[16:17], s[0:1], 0xd4
	s_load_b64 s[2:3], s[0:1], 0x198
	s_load_b128 s[4:7], s[0:1], 0x188
	s_cmp_lg_u32 s22, 0
	s_mov_b32 s30, exec_lo
	s_cselect_b32 s29, -1, 0
	s_min_u32 s27, s23, 15
	s_cmp_gt_u32 s22, 1
	s_cselect_b32 s26, -1, 0
	v_cmpx_gt_i32_e64 s28, v7
	s_cbranch_execz .LBB71_15
; %bb.2:
	s_and_not1_b32 vcc_lo, exec_lo, s24
	s_cbranch_vccnz .LBB71_105
; %bb.3:
	v_dual_mov_b32 v0, 0 :: v_dual_mov_b32 v1, 0
	v_mov_b32_e32 v2, 0
	s_and_not1_b32 vcc_lo, exec_lo, s29
	s_mov_b32 s31, 0
	s_cbranch_vccnz .LBB71_106
; %bb.4:
	s_add_i32 s20, s27, 1
	v_dual_mov_b32 v2, 0 :: v_dual_mov_b32 v1, 0
	v_dual_mov_b32 v0, 0 :: v_dual_mov_b32 v3, v7
	s_and_b32 s33, s20, 30
	s_add_u32 s20, s0, 0xffffffec
	s_addc_u32 s21, s1, -1
	s_set_inst_prefetch_distance 0x1
	.p2align	6
.LBB71_5:                               ; =>This Inner Loop Header: Depth=1
	s_clause 0x2
	s_load_b128 s[36:39], s[20:21], 0x18
	s_load_b64 s[34:35], s[20:21], 0x28
	s_load_b128 s[40:43], s[20:21], 0xd8
	s_waitcnt lgkmcnt(0)
	v_mul_hi_u32 v4, s37, v3
	s_delay_alu instid0(VALU_DEP_1) | instskip(NEXT) | instid1(VALU_DEP_1)
	v_add_nc_u32_e32 v4, v3, v4
	v_lshrrev_b32_e32 v4, s38, v4
	s_delay_alu instid0(VALU_DEP_1)
	v_mul_hi_u32 v5, s34, v4
	v_mul_lo_u32 v6, v4, s36
	s_load_b64 s[36:37], s[20:21], 0xe8
	s_add_u32 s20, s20, 24
	s_addc_u32 s21, s21, 0
	s_add_i32 s33, s33, -2
	s_delay_alu instid0(SALU_CYCLE_1) | instskip(NEXT) | instid1(VALU_DEP_2)
	s_cmp_lg_u32 s33, 0
	v_add_nc_u32_e32 v5, v4, v5
	s_delay_alu instid0(VALU_DEP_2) | instskip(NEXT) | instid1(VALU_DEP_2)
	v_sub_nc_u32_e32 v6, v3, v6
	v_lshrrev_b32_e32 v3, s35, v5
	s_delay_alu instid0(VALU_DEP_2) | instskip(NEXT) | instid1(VALU_DEP_2)
	v_mul_lo_u32 v8, v6, s40
	v_mul_lo_u32 v5, v3, s39
	s_delay_alu instid0(VALU_DEP_1) | instskip(SKIP_2) | instid1(VALU_DEP_3)
	v_sub_nc_u32_e32 v4, v4, v5
	v_mul_lo_u32 v5, v6, s41
	v_mul_lo_u32 v6, v6, s42
	;; [unrolled: 1-line block ×3, first 2 shown]
	s_waitcnt lgkmcnt(0)
	v_mul_lo_u32 v10, v4, s36
	v_mul_lo_u32 v4, v4, s37
	s_delay_alu instid0(VALU_DEP_3) | instskip(NEXT) | instid1(VALU_DEP_3)
	v_add3_u32 v0, v8, v0, v9
	v_add3_u32 v1, v5, v1, v10
	s_delay_alu instid0(VALU_DEP_3)
	v_add3_u32 v2, v6, v2, v4
	s_cbranch_scc1 .LBB71_5
; %bb.6:
	s_set_inst_prefetch_distance 0x2
	s_bitcmp1_b32 s27, 0
	s_cselect_b32 s33, -1, 0
	s_delay_alu instid0(SALU_CYCLE_1)
	s_and_b32 vcc_lo, exec_lo, s33
	s_cbranch_vccnz .LBB71_106
; %bb.7:
	s_clause 0x3
	s_load_b64 s[34:35], s[20:21], 0x18
	s_load_b32 s33, s[20:21], 0x20
	s_load_b64 s[36:37], s[20:21], 0xd8
	s_load_b32 s20, s[20:21], 0xe0
	s_waitcnt lgkmcnt(0)
	v_mul_hi_u32 v4, s35, v3
	s_delay_alu instid0(VALU_DEP_1) | instskip(NEXT) | instid1(VALU_DEP_1)
	v_add_nc_u32_e32 v4, v3, v4
	v_lshrrev_b32_e32 v4, s33, v4
	s_delay_alu instid0(VALU_DEP_1) | instskip(NEXT) | instid1(VALU_DEP_1)
	v_mul_lo_u32 v4, v4, s34
	v_sub_nc_u32_e32 v8, v3, v4
	s_delay_alu instid0(VALU_DEP_1) | instskip(SKIP_1) | instid1(VALU_DEP_2)
	v_mad_u64_u32 v[3:4], null, v8, s36, v[0:1]
	v_mad_u64_u32 v[4:5], null, v8, s37, v[1:2]
	;; [unrolled: 1-line block ×3, first 2 shown]
	s_delay_alu instid0(VALU_DEP_2) | instskip(NEXT) | instid1(VALU_DEP_2)
	v_dual_mov_b32 v0, v3 :: v_dual_mov_b32 v1, v4
	v_mov_b32_e32 v2, v5
	s_branch .LBB71_106
.LBB71_8:
	s_and_not1_saveexec_b32 s2, s25
	s_cbranch_execz .LBB71_148
.LBB71_9:
	v_cndmask_b32_e64 v10, 0, 1, s24
	s_and_not1_b32 vcc_lo, exec_lo, s24
	s_cbranch_vccnz .LBB71_22
; %bb.10:
	v_dual_mov_b32 v0, 0 :: v_dual_mov_b32 v3, 0
	v_mov_b32_e32 v4, 0
	s_cmp_lg_u32 s22, 0
	s_mov_b32 s4, 0
	s_cbranch_scc0 .LBB71_23
; %bb.11:
	s_min_u32 s5, s23, 15
	v_dual_mov_b32 v4, 0 :: v_dual_mov_b32 v3, 0
	s_add_i32 s2, s5, 1
	v_dual_mov_b32 v0, 0 :: v_dual_mov_b32 v1, v7
	s_and_b32 s6, s2, 30
	s_add_u32 s2, s0, 0xffffffec
	s_addc_u32 s3, s1, -1
	s_set_inst_prefetch_distance 0x1
	.p2align	6
.LBB71_12:                              ; =>This Inner Loop Header: Depth=1
	s_clause 0x2
	s_load_b128 s[8:11], s[2:3], 0x18
	s_load_b64 s[16:17], s[2:3], 0x28
	s_load_b128 s[12:15], s[2:3], 0xd8
	s_waitcnt lgkmcnt(0)
	v_mul_hi_u32 v2, s9, v1
	s_delay_alu instid0(VALU_DEP_1) | instskip(NEXT) | instid1(VALU_DEP_1)
	v_add_nc_u32_e32 v2, v1, v2
	v_lshrrev_b32_e32 v2, s10, v2
	s_delay_alu instid0(VALU_DEP_1)
	v_mul_hi_u32 v5, s16, v2
	v_mul_lo_u32 v6, v2, s8
	s_load_b64 s[8:9], s[2:3], 0xe8
	s_add_u32 s2, s2, 24
	s_addc_u32 s3, s3, 0
	s_add_i32 s6, s6, -2
	s_delay_alu instid0(SALU_CYCLE_1) | instskip(NEXT) | instid1(VALU_DEP_2)
	s_cmp_lg_u32 s6, 0
	v_add_nc_u32_e32 v5, v2, v5
	s_delay_alu instid0(VALU_DEP_2) | instskip(NEXT) | instid1(VALU_DEP_2)
	v_sub_nc_u32_e32 v6, v1, v6
	v_lshrrev_b32_e32 v1, s17, v5
	s_delay_alu instid0(VALU_DEP_2) | instskip(NEXT) | instid1(VALU_DEP_2)
	v_mul_lo_u32 v8, v6, s12
	v_mul_lo_u32 v5, v1, s11
	s_delay_alu instid0(VALU_DEP_1) | instskip(SKIP_2) | instid1(VALU_DEP_3)
	v_sub_nc_u32_e32 v2, v2, v5
	v_mul_lo_u32 v5, v6, s13
	v_mul_lo_u32 v6, v6, s14
	;; [unrolled: 1-line block ×3, first 2 shown]
	s_waitcnt lgkmcnt(0)
	v_mul_lo_u32 v11, v2, s8
	v_mul_lo_u32 v2, v2, s9
	s_delay_alu instid0(VALU_DEP_3) | instskip(NEXT) | instid1(VALU_DEP_3)
	v_add3_u32 v0, v8, v0, v9
	v_add3_u32 v3, v5, v3, v11
	s_delay_alu instid0(VALU_DEP_3)
	v_add3_u32 v4, v6, v4, v2
	s_cbranch_scc1 .LBB71_12
; %bb.13:
	s_set_inst_prefetch_distance 0x2
	s_bitcmp1_b32 s5, 0
	s_cselect_b32 s5, -1, 0
	s_delay_alu instid0(SALU_CYCLE_1)
	s_and_b32 vcc_lo, exec_lo, s5
	s_cbranch_vccnz .LBB71_23
; %bb.14:
	s_clause 0x3
	s_load_b64 s[6:7], s[2:3], 0x18
	s_load_b32 s5, s[2:3], 0x20
	s_load_b64 s[8:9], s[2:3], 0xd8
	s_load_b32 s2, s[2:3], 0xe0
	s_waitcnt lgkmcnt(0)
	v_mul_hi_u32 v2, s7, v1
	s_delay_alu instid0(VALU_DEP_1) | instskip(NEXT) | instid1(VALU_DEP_1)
	v_add_nc_u32_e32 v2, v1, v2
	v_lshrrev_b32_e32 v2, s5, v2
	s_delay_alu instid0(VALU_DEP_1) | instskip(NEXT) | instid1(VALU_DEP_1)
	v_mul_lo_u32 v2, v2, s6
	v_sub_nc_u32_e32 v8, v1, v2
	s_delay_alu instid0(VALU_DEP_1) | instskip(SKIP_1) | instid1(VALU_DEP_2)
	v_mad_u64_u32 v[5:6], null, v8, s9, v[3:4]
	v_mad_u64_u32 v[1:2], null, v8, s8, v[0:1]
	;; [unrolled: 1-line block ×3, first 2 shown]
	s_delay_alu instid0(VALU_DEP_2) | instskip(NEXT) | instid1(VALU_DEP_2)
	v_mov_b32_e32 v0, v1
	v_dual_mov_b32 v3, v5 :: v_dual_mov_b32 v4, v2
	s_branch .LBB71_23
.LBB71_15:
	s_or_b32 exec_lo, exec_lo, s30
	s_delay_alu instid0(SALU_CYCLE_1)
	s_mov_b32 s30, exec_lo
	v_cmpx_gt_i32_e64 s28, v7
	s_cbranch_execz .LBB71_122
.LBB71_16:
	s_and_not1_b32 vcc_lo, exec_lo, s24
	s_cbranch_vccnz .LBB71_129
; %bb.17:
	v_dual_mov_b32 v0, 0 :: v_dual_mov_b32 v1, 0
	v_mov_b32_e32 v2, 0
	s_and_not1_b32 vcc_lo, exec_lo, s29
	s_mov_b32 s31, 0
	s_cbranch_vccnz .LBB71_130
; %bb.18:
	s_add_i32 s20, s27, 1
	v_dual_mov_b32 v2, 0 :: v_dual_mov_b32 v1, 0
	v_dual_mov_b32 v0, 0 :: v_dual_mov_b32 v3, v7
	s_and_b32 s33, s20, 30
	s_add_u32 s20, s0, 0xffffffec
	s_addc_u32 s21, s1, -1
	s_set_inst_prefetch_distance 0x1
	.p2align	6
.LBB71_19:                              ; =>This Inner Loop Header: Depth=1
	s_clause 0x2
	s_load_b128 s[36:39], s[20:21], 0x18
	s_load_b64 s[34:35], s[20:21], 0x28
	s_load_b128 s[40:43], s[20:21], 0xd8
	s_waitcnt lgkmcnt(0)
	v_mul_hi_u32 v4, s37, v3
	s_delay_alu instid0(VALU_DEP_1) | instskip(NEXT) | instid1(VALU_DEP_1)
	v_add_nc_u32_e32 v4, v3, v4
	v_lshrrev_b32_e32 v4, s38, v4
	s_delay_alu instid0(VALU_DEP_1)
	v_mul_hi_u32 v5, s34, v4
	v_mul_lo_u32 v6, v4, s36
	s_load_b64 s[36:37], s[20:21], 0xe8
	s_add_u32 s20, s20, 24
	s_addc_u32 s21, s21, 0
	s_add_i32 s33, s33, -2
	s_delay_alu instid0(SALU_CYCLE_1) | instskip(NEXT) | instid1(VALU_DEP_2)
	s_cmp_eq_u32 s33, 0
	v_add_nc_u32_e32 v5, v4, v5
	s_delay_alu instid0(VALU_DEP_2) | instskip(NEXT) | instid1(VALU_DEP_2)
	v_sub_nc_u32_e32 v6, v3, v6
	v_lshrrev_b32_e32 v3, s35, v5
	s_delay_alu instid0(VALU_DEP_2) | instskip(NEXT) | instid1(VALU_DEP_2)
	v_mul_lo_u32 v8, v6, s40
	v_mul_lo_u32 v5, v3, s39
	s_delay_alu instid0(VALU_DEP_1) | instskip(SKIP_2) | instid1(VALU_DEP_3)
	v_sub_nc_u32_e32 v4, v4, v5
	v_mul_lo_u32 v5, v6, s41
	v_mul_lo_u32 v6, v6, s42
	;; [unrolled: 1-line block ×3, first 2 shown]
	s_waitcnt lgkmcnt(0)
	v_mul_lo_u32 v10, v4, s36
	v_mul_lo_u32 v4, v4, s37
	s_delay_alu instid0(VALU_DEP_3) | instskip(NEXT) | instid1(VALU_DEP_3)
	v_add3_u32 v0, v8, v0, v9
	v_add3_u32 v1, v5, v1, v10
	s_delay_alu instid0(VALU_DEP_3)
	v_add3_u32 v2, v6, v2, v4
	s_cbranch_scc0 .LBB71_19
; %bb.20:
	s_set_inst_prefetch_distance 0x2
	s_bitcmp1_b32 s27, 0
	s_cselect_b32 s33, -1, 0
	s_delay_alu instid0(SALU_CYCLE_1)
	s_and_b32 vcc_lo, exec_lo, s33
	s_cbranch_vccnz .LBB71_130
; %bb.21:
	s_clause 0x3
	s_load_b64 s[34:35], s[20:21], 0x18
	s_load_b32 s33, s[20:21], 0x20
	s_load_b64 s[36:37], s[20:21], 0xd8
	s_load_b32 s20, s[20:21], 0xe0
	s_waitcnt lgkmcnt(0)
	v_mul_hi_u32 v4, s35, v3
	s_delay_alu instid0(VALU_DEP_1) | instskip(NEXT) | instid1(VALU_DEP_1)
	v_add_nc_u32_e32 v4, v3, v4
	v_lshrrev_b32_e32 v4, s33, v4
	s_delay_alu instid0(VALU_DEP_1) | instskip(NEXT) | instid1(VALU_DEP_1)
	v_mul_lo_u32 v4, v4, s34
	v_sub_nc_u32_e32 v8, v3, v4
	s_delay_alu instid0(VALU_DEP_1) | instskip(SKIP_1) | instid1(VALU_DEP_2)
	v_mad_u64_u32 v[3:4], null, v8, s36, v[0:1]
	v_mad_u64_u32 v[4:5], null, v8, s37, v[1:2]
	;; [unrolled: 1-line block ×3, first 2 shown]
	s_delay_alu instid0(VALU_DEP_2) | instskip(NEXT) | instid1(VALU_DEP_2)
	v_dual_mov_b32 v0, v3 :: v_dual_mov_b32 v1, v4
	v_mov_b32_e32 v2, v5
	s_branch .LBB71_130
.LBB71_22:
	s_mov_b32 s4, -1
                                        ; implicit-def: $vgpr0
                                        ; implicit-def: $vgpr3
                                        ; implicit-def: $vgpr4
.LBB71_23:
	s_delay_alu instid0(SALU_CYCLE_1)
	s_and_not1_b32 vcc_lo, exec_lo, s4
	s_cbranch_vccnz .LBB71_26
; %bb.24:
	s_clause 0x1
	s_load_b128 s[4:7], s[0:1], 0x4
	s_load_b128 s[8:11], s[0:1], 0xc4
	s_cmp_lt_u32 s22, 2
	s_waitcnt lgkmcnt(0)
	v_mul_hi_u32 v0, s5, v7
	s_delay_alu instid0(VALU_DEP_1) | instskip(NEXT) | instid1(VALU_DEP_1)
	v_add_nc_u32_e32 v0, v7, v0
	v_lshrrev_b32_e32 v1, s6, v0
	s_delay_alu instid0(VALU_DEP_1) | instskip(NEXT) | instid1(VALU_DEP_1)
	v_mul_lo_u32 v0, v1, s4
	v_sub_nc_u32_e32 v2, v7, v0
	s_delay_alu instid0(VALU_DEP_1)
	v_mul_lo_u32 v0, v2, s8
	v_mul_lo_u32 v3, v2, s9
	;; [unrolled: 1-line block ×3, first 2 shown]
	s_cbranch_scc1 .LBB71_26
; %bb.25:
	s_clause 0x1
	s_load_b128 s[4:7], s[0:1], 0x10
	s_load_b128 s[8:11], s[0:1], 0xd0
	s_waitcnt lgkmcnt(0)
	v_mul_hi_u32 v2, s5, v1
	s_delay_alu instid0(VALU_DEP_1) | instskip(NEXT) | instid1(VALU_DEP_1)
	v_add_nc_u32_e32 v2, v1, v2
	v_lshrrev_b32_e32 v2, s6, v2
	s_delay_alu instid0(VALU_DEP_1) | instskip(NEXT) | instid1(VALU_DEP_1)
	v_mul_lo_u32 v2, v2, s4
	v_sub_nc_u32_e32 v8, v1, v2
	s_delay_alu instid0(VALU_DEP_1) | instskip(SKIP_1) | instid1(VALU_DEP_2)
	v_mad_u64_u32 v[5:6], null, v8, s9, v[3:4]
	v_mad_u64_u32 v[1:2], null, v8, s8, v[0:1]
	;; [unrolled: 1-line block ×3, first 2 shown]
	s_delay_alu instid0(VALU_DEP_2) | instskip(NEXT) | instid1(VALU_DEP_2)
	v_mov_b32_e32 v0, v1
	v_dual_mov_b32 v3, v5 :: v_dual_mov_b32 v4, v2
.LBB71_26:
	v_cmp_ne_u32_e32 vcc_lo, 1, v10
	v_add_nc_u32_e32 v2, 0x80, v7
	s_cbranch_vccnz .LBB71_32
; %bb.27:
	v_dual_mov_b32 v1, 0 :: v_dual_mov_b32 v6, 0
	v_mov_b32_e32 v5, 0
	s_cmp_lg_u32 s22, 0
	s_mov_b32 s4, 0
	s_cbranch_scc0 .LBB71_33
; %bb.28:
	s_min_u32 s5, s23, 15
	v_dual_mov_b32 v6, 0 :: v_dual_mov_b32 v5, 0
	s_add_i32 s2, s5, 1
	v_dual_mov_b32 v1, 0 :: v_dual_mov_b32 v8, v2
	s_and_b32 s6, s2, 30
	s_add_u32 s2, s0, 0xffffffec
	s_addc_u32 s3, s1, -1
	s_set_inst_prefetch_distance 0x1
	.p2align	6
.LBB71_29:                              ; =>This Inner Loop Header: Depth=1
	s_clause 0x2
	s_load_b128 s[8:11], s[2:3], 0x18
	s_load_b64 s[16:17], s[2:3], 0x28
	s_load_b128 s[12:15], s[2:3], 0xd8
	s_waitcnt lgkmcnt(0)
	v_mul_hi_u32 v9, s9, v8
	s_delay_alu instid0(VALU_DEP_1) | instskip(NEXT) | instid1(VALU_DEP_1)
	v_add_nc_u32_e32 v9, v8, v9
	v_lshrrev_b32_e32 v9, s10, v9
	s_delay_alu instid0(VALU_DEP_1)
	v_mul_hi_u32 v11, s16, v9
	v_mul_lo_u32 v13, v9, s8
	s_load_b64 s[8:9], s[2:3], 0xe8
	s_add_u32 s2, s2, 24
	s_addc_u32 s3, s3, 0
	s_add_i32 s6, s6, -2
	s_delay_alu instid0(SALU_CYCLE_1) | instskip(NEXT) | instid1(VALU_DEP_2)
	s_cmp_lg_u32 s6, 0
	v_add_nc_u32_e32 v11, v9, v11
	s_delay_alu instid0(VALU_DEP_2) | instskip(NEXT) | instid1(VALU_DEP_2)
	v_sub_nc_u32_e32 v13, v8, v13
	v_lshrrev_b32_e32 v8, s17, v11
	s_delay_alu instid0(VALU_DEP_2) | instskip(NEXT) | instid1(VALU_DEP_2)
	v_mul_lo_u32 v14, v13, s12
	v_mul_lo_u32 v11, v8, s11
	s_delay_alu instid0(VALU_DEP_1) | instskip(SKIP_2) | instid1(VALU_DEP_3)
	v_sub_nc_u32_e32 v9, v9, v11
	v_mul_lo_u32 v11, v13, s13
	v_mul_lo_u32 v13, v13, s14
	;; [unrolled: 1-line block ×3, first 2 shown]
	s_waitcnt lgkmcnt(0)
	v_mul_lo_u32 v16, v9, s8
	v_mul_lo_u32 v9, v9, s9
	s_delay_alu instid0(VALU_DEP_3) | instskip(NEXT) | instid1(VALU_DEP_3)
	v_add3_u32 v1, v14, v1, v15
	v_add3_u32 v5, v11, v5, v16
	s_delay_alu instid0(VALU_DEP_3)
	v_add3_u32 v6, v13, v6, v9
	s_cbranch_scc1 .LBB71_29
; %bb.30:
	s_set_inst_prefetch_distance 0x2
	s_bitcmp1_b32 s5, 0
	s_cselect_b32 s5, -1, 0
	s_delay_alu instid0(SALU_CYCLE_1)
	s_and_b32 vcc_lo, exec_lo, s5
	s_cbranch_vccnz .LBB71_33
; %bb.31:
	s_clause 0x3
	s_load_b64 s[6:7], s[2:3], 0x18
	s_load_b32 s5, s[2:3], 0x20
	s_load_b64 s[8:9], s[2:3], 0xd8
	s_load_b32 s2, s[2:3], 0xe0
	s_waitcnt lgkmcnt(0)
	v_mul_hi_u32 v9, s7, v8
	s_delay_alu instid0(VALU_DEP_1) | instskip(NEXT) | instid1(VALU_DEP_1)
	v_add_nc_u32_e32 v9, v8, v9
	v_lshrrev_b32_e32 v9, s5, v9
	s_delay_alu instid0(VALU_DEP_1) | instskip(NEXT) | instid1(VALU_DEP_1)
	v_mul_lo_u32 v9, v9, s6
	v_sub_nc_u32_e32 v11, v8, v9
	s_delay_alu instid0(VALU_DEP_1) | instskip(SKIP_2) | instid1(VALU_DEP_3)
	v_mad_u64_u32 v[13:14], null, v11, s9, v[5:6]
	v_mad_u64_u32 v[8:9], null, v11, s8, v[1:2]
	;; [unrolled: 1-line block ×3, first 2 shown]
	v_mov_b32_e32 v5, v13
	s_delay_alu instid0(VALU_DEP_2)
	v_dual_mov_b32 v1, v8 :: v_dual_mov_b32 v6, v14
	s_branch .LBB71_33
.LBB71_32:
	s_mov_b32 s4, -1
                                        ; implicit-def: $vgpr1
                                        ; implicit-def: $vgpr5
                                        ; implicit-def: $vgpr6
.LBB71_33:
	s_delay_alu instid0(SALU_CYCLE_1)
	s_and_not1_b32 vcc_lo, exec_lo, s4
	s_cbranch_vccnz .LBB71_36
; %bb.34:
	s_clause 0x1
	s_load_b128 s[4:7], s[0:1], 0x4
	s_load_b128 s[8:11], s[0:1], 0xc4
	s_cmp_lt_u32 s22, 2
	s_waitcnt lgkmcnt(0)
	v_mul_hi_u32 v1, s5, v2
	s_delay_alu instid0(VALU_DEP_1) | instskip(NEXT) | instid1(VALU_DEP_1)
	v_add_nc_u32_e32 v1, v2, v1
	v_lshrrev_b32_e32 v8, s6, v1
	s_delay_alu instid0(VALU_DEP_1) | instskip(NEXT) | instid1(VALU_DEP_1)
	v_mul_lo_u32 v1, v8, s4
	v_sub_nc_u32_e32 v2, v2, v1
	s_delay_alu instid0(VALU_DEP_1)
	v_mul_lo_u32 v1, v2, s8
	v_mul_lo_u32 v5, v2, s9
	;; [unrolled: 1-line block ×3, first 2 shown]
	s_cbranch_scc1 .LBB71_36
; %bb.35:
	s_clause 0x1
	s_load_b128 s[4:7], s[0:1], 0x10
	s_load_b128 s[8:11], s[0:1], 0xd0
	s_waitcnt lgkmcnt(0)
	v_mul_hi_u32 v2, s5, v8
	s_delay_alu instid0(VALU_DEP_1) | instskip(NEXT) | instid1(VALU_DEP_1)
	v_add_nc_u32_e32 v2, v8, v2
	v_lshrrev_b32_e32 v2, s6, v2
	s_delay_alu instid0(VALU_DEP_1) | instskip(NEXT) | instid1(VALU_DEP_1)
	v_mul_lo_u32 v2, v2, s4
	v_sub_nc_u32_e32 v2, v8, v2
	s_delay_alu instid0(VALU_DEP_1) | instskip(SKIP_2) | instid1(VALU_DEP_3)
	v_mad_u64_u32 v[13:14], null, v2, s9, v[5:6]
	v_mad_u64_u32 v[8:9], null, v2, s8, v[1:2]
	;; [unrolled: 1-line block ×3, first 2 shown]
	v_mov_b32_e32 v5, v13
	s_delay_alu instid0(VALU_DEP_2)
	v_dual_mov_b32 v1, v8 :: v_dual_mov_b32 v6, v14
.LBB71_36:
	v_cmp_ne_u32_e32 vcc_lo, 1, v10
	v_add_nc_u32_e32 v7, 0x100, v7
	s_cbranch_vccnz .LBB71_42
; %bb.37:
	v_dual_mov_b32 v2, 0 :: v_dual_mov_b32 v9, 0
	v_mov_b32_e32 v8, 0
	s_cmp_lg_u32 s22, 0
	s_mov_b32 s4, 0
	s_cbranch_scc0 .LBB71_43
; %bb.38:
	s_min_u32 s5, s23, 15
	v_dual_mov_b32 v9, 0 :: v_dual_mov_b32 v8, 0
	s_add_i32 s2, s5, 1
	v_dual_mov_b32 v2, 0 :: v_dual_mov_b32 v11, v7
	s_and_b32 s6, s2, 30
	s_add_u32 s2, s0, 0xffffffec
	s_addc_u32 s3, s1, -1
	s_set_inst_prefetch_distance 0x1
	.p2align	6
.LBB71_39:                              ; =>This Inner Loop Header: Depth=1
	s_clause 0x2
	s_load_b128 s[8:11], s[2:3], 0x18
	s_load_b64 s[16:17], s[2:3], 0x28
	s_load_b128 s[12:15], s[2:3], 0xd8
	s_waitcnt lgkmcnt(0)
	v_mul_hi_u32 v13, s9, v11
	s_delay_alu instid0(VALU_DEP_1) | instskip(NEXT) | instid1(VALU_DEP_1)
	v_add_nc_u32_e32 v13, v11, v13
	v_lshrrev_b32_e32 v13, s10, v13
	s_delay_alu instid0(VALU_DEP_1)
	v_mul_hi_u32 v14, s16, v13
	v_mul_lo_u32 v15, v13, s8
	s_load_b64 s[8:9], s[2:3], 0xe8
	s_add_u32 s2, s2, 24
	s_addc_u32 s3, s3, 0
	s_add_i32 s6, s6, -2
	s_delay_alu instid0(SALU_CYCLE_1) | instskip(NEXT) | instid1(VALU_DEP_2)
	s_cmp_lg_u32 s6, 0
	v_add_nc_u32_e32 v14, v13, v14
	s_delay_alu instid0(VALU_DEP_2) | instskip(NEXT) | instid1(VALU_DEP_2)
	v_sub_nc_u32_e32 v15, v11, v15
	v_lshrrev_b32_e32 v11, s17, v14
	s_delay_alu instid0(VALU_DEP_2) | instskip(NEXT) | instid1(VALU_DEP_2)
	v_mul_lo_u32 v16, v15, s12
	v_mul_lo_u32 v14, v11, s11
	s_delay_alu instid0(VALU_DEP_1) | instskip(SKIP_2) | instid1(VALU_DEP_3)
	v_sub_nc_u32_e32 v13, v13, v14
	v_mul_lo_u32 v14, v15, s13
	v_mul_lo_u32 v15, v15, s14
	v_mul_lo_u32 v17, v13, s15
	s_waitcnt lgkmcnt(0)
	v_mul_lo_u32 v18, v13, s8
	v_mul_lo_u32 v13, v13, s9
	s_delay_alu instid0(VALU_DEP_3) | instskip(NEXT) | instid1(VALU_DEP_3)
	v_add3_u32 v2, v16, v2, v17
	v_add3_u32 v8, v14, v8, v18
	s_delay_alu instid0(VALU_DEP_3)
	v_add3_u32 v9, v15, v9, v13
	s_cbranch_scc1 .LBB71_39
; %bb.40:
	s_set_inst_prefetch_distance 0x2
	s_bitcmp1_b32 s5, 0
	s_cselect_b32 s5, -1, 0
	s_delay_alu instid0(SALU_CYCLE_1)
	s_and_b32 vcc_lo, exec_lo, s5
	s_cbranch_vccnz .LBB71_43
; %bb.41:
	s_clause 0x3
	s_load_b64 s[6:7], s[2:3], 0x18
	s_load_b32 s5, s[2:3], 0x20
	s_load_b64 s[8:9], s[2:3], 0xd8
	s_load_b32 s2, s[2:3], 0xe0
	s_waitcnt lgkmcnt(0)
	v_mul_hi_u32 v13, s7, v11
	s_delay_alu instid0(VALU_DEP_1) | instskip(NEXT) | instid1(VALU_DEP_1)
	v_add_nc_u32_e32 v13, v11, v13
	v_lshrrev_b32_e32 v13, s5, v13
	s_delay_alu instid0(VALU_DEP_1) | instskip(NEXT) | instid1(VALU_DEP_1)
	v_mul_lo_u32 v13, v13, s6
	v_sub_nc_u32_e32 v11, v11, v13
	s_delay_alu instid0(VALU_DEP_1) | instskip(SKIP_2) | instid1(VALU_DEP_3)
	v_mad_u64_u32 v[13:14], null, v11, s8, v[2:3]
	v_mad_u64_u32 v[14:15], null, v11, s9, v[8:9]
	;; [unrolled: 1-line block ×3, first 2 shown]
	v_mov_b32_e32 v2, v13
	s_delay_alu instid0(VALU_DEP_2)
	v_dual_mov_b32 v8, v14 :: v_dual_mov_b32 v9, v15
	s_branch .LBB71_43
.LBB71_42:
	s_mov_b32 s4, -1
                                        ; implicit-def: $vgpr2
                                        ; implicit-def: $vgpr8
                                        ; implicit-def: $vgpr9
.LBB71_43:
	s_delay_alu instid0(SALU_CYCLE_1)
	s_and_not1_b32 vcc_lo, exec_lo, s4
	s_cbranch_vccnz .LBB71_46
; %bb.44:
	s_clause 0x1
	s_load_b128 s[4:7], s[0:1], 0x4
	s_load_b128 s[8:11], s[0:1], 0xc4
	s_cmp_lt_u32 s22, 2
	s_waitcnt lgkmcnt(0)
	v_mul_hi_u32 v2, s5, v7
	s_delay_alu instid0(VALU_DEP_1) | instskip(NEXT) | instid1(VALU_DEP_1)
	v_add_nc_u32_e32 v2, v7, v2
	v_lshrrev_b32_e32 v11, s6, v2
	s_delay_alu instid0(VALU_DEP_1) | instskip(NEXT) | instid1(VALU_DEP_1)
	v_mul_lo_u32 v2, v11, s4
	v_sub_nc_u32_e32 v7, v7, v2
	s_delay_alu instid0(VALU_DEP_1)
	v_mul_lo_u32 v2, v7, s8
	v_mul_lo_u32 v8, v7, s9
	;; [unrolled: 1-line block ×3, first 2 shown]
	s_cbranch_scc1 .LBB71_46
; %bb.45:
	s_clause 0x1
	s_load_b128 s[4:7], s[0:1], 0x10
	s_load_b128 s[8:11], s[0:1], 0xd0
	s_waitcnt lgkmcnt(0)
	v_mul_hi_u32 v7, s5, v11
	s_delay_alu instid0(VALU_DEP_1) | instskip(NEXT) | instid1(VALU_DEP_1)
	v_add_nc_u32_e32 v7, v11, v7
	v_lshrrev_b32_e32 v7, s6, v7
	s_delay_alu instid0(VALU_DEP_1) | instskip(NEXT) | instid1(VALU_DEP_1)
	v_mul_lo_u32 v7, v7, s4
	v_sub_nc_u32_e32 v11, v11, v7
	s_delay_alu instid0(VALU_DEP_1) | instskip(SKIP_2) | instid1(VALU_DEP_3)
	v_mad_u64_u32 v[13:14], null, v11, s8, v[2:3]
	v_mad_u64_u32 v[14:15], null, v11, s9, v[8:9]
	;; [unrolled: 1-line block ×3, first 2 shown]
	v_mov_b32_e32 v2, v13
	s_delay_alu instid0(VALU_DEP_2)
	v_dual_mov_b32 v8, v14 :: v_dual_mov_b32 v9, v7
.LBB71_46:
	v_cmp_ne_u32_e32 vcc_lo, 1, v10
	s_cbranch_vccnz .LBB71_52
; %bb.47:
	v_dual_mov_b32 v7, 0 :: v_dual_mov_b32 v10, 0
	v_mov_b32_e32 v11, 0
	s_cmp_lg_u32 s22, 0
	s_mov_b32 s4, 0
	s_cbranch_scc0 .LBB71_53
; %bb.48:
	s_min_u32 s5, s23, 15
	v_dual_mov_b32 v11, 0 :: v_dual_mov_b32 v10, 0
	s_add_i32 s2, s5, 1
	v_mov_b32_e32 v7, 0
	v_mov_b32_e32 v13, v12
	s_and_b32 s6, s2, 30
	s_add_u32 s2, s0, 0xffffffec
	s_addc_u32 s3, s1, -1
	s_set_inst_prefetch_distance 0x1
	.p2align	6
.LBB71_49:                              ; =>This Inner Loop Header: Depth=1
	s_clause 0x2
	s_load_b128 s[8:11], s[2:3], 0x18
	s_load_b64 s[16:17], s[2:3], 0x28
	s_load_b128 s[12:15], s[2:3], 0xd8
	s_waitcnt lgkmcnt(0)
	v_mul_hi_u32 v14, s9, v13
	s_delay_alu instid0(VALU_DEP_1) | instskip(NEXT) | instid1(VALU_DEP_1)
	v_add_nc_u32_e32 v14, v13, v14
	v_lshrrev_b32_e32 v14, s10, v14
	s_delay_alu instid0(VALU_DEP_1)
	v_mul_hi_u32 v15, s16, v14
	v_mul_lo_u32 v16, v14, s8
	s_load_b64 s[8:9], s[2:3], 0xe8
	s_add_u32 s2, s2, 24
	s_addc_u32 s3, s3, 0
	s_add_i32 s6, s6, -2
	s_delay_alu instid0(SALU_CYCLE_1) | instskip(NEXT) | instid1(VALU_DEP_2)
	s_cmp_lg_u32 s6, 0
	v_add_nc_u32_e32 v15, v14, v15
	s_delay_alu instid0(VALU_DEP_2) | instskip(NEXT) | instid1(VALU_DEP_2)
	v_sub_nc_u32_e32 v16, v13, v16
	v_lshrrev_b32_e32 v13, s17, v15
	s_delay_alu instid0(VALU_DEP_2) | instskip(NEXT) | instid1(VALU_DEP_2)
	v_mul_lo_u32 v17, v16, s12
	v_mul_lo_u32 v15, v13, s11
	s_delay_alu instid0(VALU_DEP_1) | instskip(SKIP_2) | instid1(VALU_DEP_3)
	v_sub_nc_u32_e32 v14, v14, v15
	v_mul_lo_u32 v15, v16, s13
	v_mul_lo_u32 v16, v16, s14
	;; [unrolled: 1-line block ×3, first 2 shown]
	s_waitcnt lgkmcnt(0)
	v_mul_lo_u32 v19, v14, s8
	v_mul_lo_u32 v14, v14, s9
	s_delay_alu instid0(VALU_DEP_3) | instskip(NEXT) | instid1(VALU_DEP_3)
	v_add3_u32 v7, v17, v7, v18
	v_add3_u32 v10, v15, v10, v19
	s_delay_alu instid0(VALU_DEP_3)
	v_add3_u32 v11, v16, v11, v14
	s_cbranch_scc1 .LBB71_49
; %bb.50:
	s_set_inst_prefetch_distance 0x2
	s_bitcmp1_b32 s5, 0
	s_cselect_b32 s5, -1, 0
	s_delay_alu instid0(SALU_CYCLE_1)
	s_and_b32 vcc_lo, exec_lo, s5
	s_cbranch_vccnz .LBB71_53
; %bb.51:
	s_clause 0x3
	s_load_b64 s[6:7], s[2:3], 0x18
	s_load_b32 s5, s[2:3], 0x20
	s_load_b64 s[8:9], s[2:3], 0xd8
	s_load_b32 s2, s[2:3], 0xe0
	s_waitcnt lgkmcnt(0)
	v_mul_hi_u32 v14, s7, v13
	s_delay_alu instid0(VALU_DEP_1) | instskip(NEXT) | instid1(VALU_DEP_1)
	v_add_nc_u32_e32 v14, v13, v14
	v_lshrrev_b32_e32 v14, s5, v14
	s_delay_alu instid0(VALU_DEP_1) | instskip(NEXT) | instid1(VALU_DEP_1)
	v_mul_lo_u32 v14, v14, s6
	v_sub_nc_u32_e32 v17, v13, v14
	s_delay_alu instid0(VALU_DEP_1) | instskip(SKIP_2) | instid1(VALU_DEP_2)
	v_mad_u64_u32 v[13:14], null, v17, s8, v[7:8]
	v_mad_u64_u32 v[14:15], null, v17, s9, v[10:11]
	;; [unrolled: 1-line block ×3, first 2 shown]
	v_dual_mov_b32 v7, v13 :: v_dual_mov_b32 v10, v14
	s_delay_alu instid0(VALU_DEP_2)
	v_mov_b32_e32 v11, v15
	s_branch .LBB71_53
.LBB71_52:
	s_mov_b32 s4, -1
                                        ; implicit-def: $vgpr7
                                        ; implicit-def: $vgpr10
                                        ; implicit-def: $vgpr11
.LBB71_53:
	s_delay_alu instid0(SALU_CYCLE_1)
	s_and_not1_b32 vcc_lo, exec_lo, s4
	s_cbranch_vccnz .LBB71_56
; %bb.54:
	s_clause 0x1
	s_load_b128 s[4:7], s[0:1], 0x4
	s_load_b128 s[8:11], s[0:1], 0xc4
	s_cmp_lt_u32 s22, 2
	s_waitcnt lgkmcnt(0)
	v_mul_hi_u32 v7, s5, v12
	s_delay_alu instid0(VALU_DEP_1) | instskip(NEXT) | instid1(VALU_DEP_1)
	v_add_nc_u32_e32 v7, v12, v7
	v_lshrrev_b32_e32 v13, s6, v7
	s_delay_alu instid0(VALU_DEP_1) | instskip(NEXT) | instid1(VALU_DEP_1)
	v_mul_lo_u32 v7, v13, s4
	v_sub_nc_u32_e32 v11, v12, v7
	s_delay_alu instid0(VALU_DEP_1)
	v_mul_lo_u32 v7, v11, s8
	v_mul_lo_u32 v10, v11, s9
	;; [unrolled: 1-line block ×3, first 2 shown]
	s_cbranch_scc1 .LBB71_56
; %bb.55:
	s_clause 0x1
	s_load_b128 s[4:7], s[0:1], 0x10
	s_load_b128 s[8:11], s[0:1], 0xd0
	s_waitcnt lgkmcnt(0)
	v_mul_hi_u32 v12, s5, v13
	s_delay_alu instid0(VALU_DEP_1) | instskip(NEXT) | instid1(VALU_DEP_1)
	v_add_nc_u32_e32 v12, v13, v12
	v_lshrrev_b32_e32 v12, s6, v12
	s_delay_alu instid0(VALU_DEP_1) | instskip(NEXT) | instid1(VALU_DEP_1)
	v_mul_lo_u32 v12, v12, s4
	v_sub_nc_u32_e32 v16, v13, v12
	s_delay_alu instid0(VALU_DEP_1) | instskip(SKIP_1) | instid1(VALU_DEP_2)
	v_mad_u64_u32 v[12:13], null, v16, s8, v[7:8]
	v_mad_u64_u32 v[13:14], null, v16, s9, v[10:11]
	v_mad_u64_u32 v[14:15], null, v16, s10, v[11:12]
	s_delay_alu instid0(VALU_DEP_2) | instskip(NEXT) | instid1(VALU_DEP_2)
	v_dual_mov_b32 v7, v12 :: v_dual_mov_b32 v10, v13
	v_mov_b32_e32 v11, v14
.LBB71_56:
	s_clause 0x1
	s_load_b64 s[4:5], s[0:1], 0x198
	s_load_b128 s[0:3], s[0:1], 0x188
	s_mov_b32 s8, exec_lo
	s_waitcnt lgkmcnt(0)
	global_load_b32 v4, v4, s[4:5]
	s_waitcnt vmcnt(0)
	v_trunc_f32_e32 v12, v4
	s_delay_alu instid0(VALU_DEP_1) | instskip(NEXT) | instid1(VALU_DEP_1)
	v_mul_f32_e64 v13, 0x2f800000, |v12|
	v_floor_f32_e32 v13, v13
	s_delay_alu instid0(VALU_DEP_1) | instskip(SKIP_2) | instid1(VALU_DEP_3)
	v_fma_f32 v14, 0xcf800000, v13, |v12|
	v_ashrrev_i32_e32 v12, 31, v12
	v_cvt_u32_f32_e32 v13, v13
	v_cvt_u32_f32_e32 v14, v14
	s_delay_alu instid0(VALU_DEP_2) | instskip(NEXT) | instid1(VALU_DEP_2)
	v_xor_b32_e32 v13, v13, v12
	v_xor_b32_e32 v14, v14, v12
	s_delay_alu instid0(VALU_DEP_1) | instskip(NEXT) | instid1(VALU_DEP_3)
	v_sub_co_u32 v14, vcc_lo, v14, v12
	v_sub_co_ci_u32_e32 v12, vcc_lo, v13, v12, vcc_lo
	v_cmp_class_f32_e64 vcc_lo, v4, 0x1f8
	s_delay_alu instid0(VALU_DEP_2) | instskip(SKIP_1) | instid1(VALU_DEP_2)
	v_dual_cndmask_b32 v13, -1, v12 :: v_dual_cndmask_b32 v12, -1, v14
	v_mov_b32_e32 v14, 0
	v_cmpx_lt_i64_e32 -1, v[12:13]
	s_cbranch_execz .LBB71_68
; %bb.57:
	v_mov_b32_e32 v14, 1.0
	s_mov_b32 s9, exec_lo
	v_cmpx_lt_i64_e32 0, v[12:13]
	s_cbranch_execz .LBB71_67
; %bb.58:
	global_load_u16 v3, v3, s[2:3]
                                        ; implicit-def: $vgpr14
	s_mov_b32 s6, exec_lo
	s_waitcnt vmcnt(0)
	v_cvt_f32_f16_e32 v3, v3
	v_cmpx_ne_u64_e32 1, v[12:13]
	s_xor_b32 s10, exec_lo, s6
	s_cbranch_execz .LBB71_64
; %bb.59:
	v_mov_b32_e32 v14, 0x7fc00000
	s_mov_b32 s11, exec_lo
	v_cmpx_gt_u64_e32 0x81, v[12:13]
	s_cbranch_execz .LBB71_63
; %bb.60:
	v_add_f32_e32 v15, v3, v3
	v_lshlrev_b64 v[3:4], 1, v[12:13]
	v_mov_b32_e32 v12, 1.0
	s_mov_b64 s[6:7], 2
	s_mov_b32 s12, 0
	v_mov_b32_e32 v14, v15
	.p2align	6
.LBB71_61:                              ; =>This Inner Loop Header: Depth=1
	s_clz_i32_u32 s13, s7
	s_delay_alu instid0(SALU_CYCLE_1) | instskip(NEXT) | instid1(SALU_CYCLE_1)
	s_min_u32 s13, s13, 32
	s_lshl_b64 s[14:15], s[6:7], s13
	s_sub_i32 s13, 32, s13
	s_min_u32 s14, s14, 1
	s_delay_alu instid0(SALU_CYCLE_1) | instskip(SKIP_3) | instid1(SALU_CYCLE_1)
	s_or_b32 s14, s15, s14
	s_add_u32 s6, s6, 2
	v_cvt_f32_u32_e32 v13, s14
	s_addc_u32 s7, s7, 0
	v_cmp_ge_u64_e32 vcc_lo, s[6:7], v[3:4]
	s_delay_alu instid0(VALU_DEP_2) | instskip(SKIP_1) | instid1(VALU_DEP_1)
	v_ldexp_f32 v13, v13, s13
	s_or_b32 s12, vcc_lo, s12
	v_dual_mul_f32 v13, v12, v13 :: v_dual_mov_b32 v12, v14
	s_delay_alu instid0(VALU_DEP_1)
	v_fma_f32 v14, v15, v14, -v13
	s_and_not1_b32 exec_lo, exec_lo, s12
	s_cbranch_execnz .LBB71_61
; %bb.62:
	s_or_b32 exec_lo, exec_lo, s12
.LBB71_63:
	s_delay_alu instid0(SALU_CYCLE_1)
	s_or_b32 exec_lo, exec_lo, s11
                                        ; implicit-def: $vgpr3
.LBB71_64:
	s_and_not1_saveexec_b32 s6, s10
; %bb.65:
	v_add_f32_e32 v14, v3, v3
; %bb.66:
	s_or_b32 exec_lo, exec_lo, s6
.LBB71_67:
	s_delay_alu instid0(SALU_CYCLE_1)
	s_or_b32 exec_lo, exec_lo, s9
.LBB71_68:
	s_delay_alu instid0(SALU_CYCLE_1) | instskip(SKIP_4) | instid1(VALU_DEP_1)
	s_or_b32 exec_lo, exec_lo, s8
	global_load_b32 v3, v6, s[4:5]
	s_mov_b32 s8, exec_lo
	s_waitcnt vmcnt(0)
	v_trunc_f32_e32 v4, v3
	v_mul_f32_e64 v6, 0x2f800000, |v4|
	s_delay_alu instid0(VALU_DEP_1) | instskip(NEXT) | instid1(VALU_DEP_1)
	v_floor_f32_e32 v6, v6
	v_fma_f32 v12, 0xcf800000, v6, |v4|
	v_ashrrev_i32_e32 v4, 31, v4
	v_cvt_u32_f32_e32 v6, v6
	s_delay_alu instid0(VALU_DEP_3) | instskip(NEXT) | instid1(VALU_DEP_2)
	v_cvt_u32_f32_e32 v12, v12
	v_xor_b32_e32 v6, v6, v4
	s_delay_alu instid0(VALU_DEP_2) | instskip(NEXT) | instid1(VALU_DEP_1)
	v_xor_b32_e32 v12, v12, v4
	v_sub_co_u32 v12, vcc_lo, v12, v4
	s_delay_alu instid0(VALU_DEP_3) | instskip(SKIP_2) | instid1(VALU_DEP_3)
	v_sub_co_ci_u32_e32 v4, vcc_lo, v6, v4, vcc_lo
	v_cmp_class_f32_e64 vcc_lo, v3, 0x1f8
	v_mov_b32_e32 v6, 0
	v_cndmask_b32_e32 v4, -1, v4, vcc_lo
	v_cndmask_b32_e32 v3, -1, v12, vcc_lo
	s_delay_alu instid0(VALU_DEP_1)
	v_cmpx_lt_i64_e32 -1, v[3:4]
	s_cbranch_execz .LBB71_80
; %bb.69:
	v_mov_b32_e32 v6, 1.0
	s_mov_b32 s9, exec_lo
	v_cmpx_lt_i64_e32 0, v[3:4]
	s_cbranch_execz .LBB71_79
; %bb.70:
	global_load_u16 v5, v5, s[2:3]
                                        ; implicit-def: $vgpr6
	s_mov_b32 s6, exec_lo
	s_waitcnt vmcnt(0)
	v_cvt_f32_f16_e32 v5, v5
	v_cmpx_ne_u64_e32 1, v[3:4]
	s_xor_b32 s10, exec_lo, s6
	s_cbranch_execz .LBB71_76
; %bb.71:
	v_mov_b32_e32 v6, 0x7fc00000
	s_mov_b32 s11, exec_lo
	v_cmpx_gt_u64_e32 0x81, v[3:4]
	s_cbranch_execz .LBB71_75
; %bb.72:
	v_dual_add_f32 v5, v5, v5 :: v_dual_mov_b32 v12, 1.0
	v_lshlrev_b64 v[3:4], 1, v[3:4]
	s_mov_b64 s[6:7], 2
	s_mov_b32 s12, 0
	s_delay_alu instid0(VALU_DEP_2)
	v_mov_b32_e32 v6, v5
	.p2align	6
.LBB71_73:                              ; =>This Inner Loop Header: Depth=1
	s_clz_i32_u32 s13, s7
	s_delay_alu instid0(SALU_CYCLE_1) | instskip(NEXT) | instid1(SALU_CYCLE_1)
	s_min_u32 s13, s13, 32
	s_lshl_b64 s[14:15], s[6:7], s13
	s_sub_i32 s13, 32, s13
	s_min_u32 s14, s14, 1
	s_delay_alu instid0(SALU_CYCLE_1) | instskip(SKIP_3) | instid1(SALU_CYCLE_1)
	s_or_b32 s14, s15, s14
	s_add_u32 s6, s6, 2
	v_cvt_f32_u32_e32 v13, s14
	s_addc_u32 s7, s7, 0
	v_cmp_ge_u64_e32 vcc_lo, s[6:7], v[3:4]
	s_delay_alu instid0(VALU_DEP_2) | instskip(SKIP_1) | instid1(VALU_DEP_1)
	v_ldexp_f32 v13, v13, s13
	s_or_b32 s12, vcc_lo, s12
	v_dual_mul_f32 v13, v12, v13 :: v_dual_mov_b32 v12, v6
	s_delay_alu instid0(VALU_DEP_1)
	v_fma_f32 v6, v5, v6, -v13
	s_and_not1_b32 exec_lo, exec_lo, s12
	s_cbranch_execnz .LBB71_73
; %bb.74:
	s_or_b32 exec_lo, exec_lo, s12
.LBB71_75:
	s_delay_alu instid0(SALU_CYCLE_1)
	s_or_b32 exec_lo, exec_lo, s11
                                        ; implicit-def: $vgpr5
.LBB71_76:
	s_and_not1_saveexec_b32 s6, s10
; %bb.77:
	v_add_f32_e32 v6, v5, v5
; %bb.78:
	s_or_b32 exec_lo, exec_lo, s6
.LBB71_79:
	s_delay_alu instid0(SALU_CYCLE_1)
	s_or_b32 exec_lo, exec_lo, s9
.LBB71_80:
	s_delay_alu instid0(SALU_CYCLE_1) | instskip(SKIP_4) | instid1(VALU_DEP_1)
	s_or_b32 exec_lo, exec_lo, s8
	global_load_b32 v3, v9, s[4:5]
	s_mov_b32 s8, exec_lo
	s_waitcnt vmcnt(0)
	v_trunc_f32_e32 v4, v3
	v_mul_f32_e64 v5, 0x2f800000, |v4|
	s_delay_alu instid0(VALU_DEP_1) | instskip(NEXT) | instid1(VALU_DEP_1)
	v_floor_f32_e32 v5, v5
	v_fma_f32 v9, 0xcf800000, v5, |v4|
	v_ashrrev_i32_e32 v4, 31, v4
	v_cvt_u32_f32_e32 v5, v5
	s_delay_alu instid0(VALU_DEP_3) | instskip(NEXT) | instid1(VALU_DEP_2)
	v_cvt_u32_f32_e32 v9, v9
	v_xor_b32_e32 v5, v5, v4
	s_delay_alu instid0(VALU_DEP_2) | instskip(NEXT) | instid1(VALU_DEP_1)
	v_xor_b32_e32 v9, v9, v4
	v_sub_co_u32 v9, vcc_lo, v9, v4
	s_delay_alu instid0(VALU_DEP_3) | instskip(SKIP_1) | instid1(VALU_DEP_2)
	v_sub_co_ci_u32_e32 v4, vcc_lo, v5, v4, vcc_lo
	v_cmp_class_f32_e64 vcc_lo, v3, 0x1f8
	v_dual_mov_b32 v5, 0 :: v_dual_cndmask_b32 v4, -1, v4
	s_delay_alu instid0(VALU_DEP_4) | instskip(NEXT) | instid1(VALU_DEP_1)
	v_cndmask_b32_e32 v3, -1, v9, vcc_lo
	v_cmpx_lt_i64_e32 -1, v[3:4]
	s_cbranch_execz .LBB71_92
; %bb.81:
	v_mov_b32_e32 v5, 1.0
	s_mov_b32 s9, exec_lo
	v_cmpx_lt_i64_e32 0, v[3:4]
	s_cbranch_execz .LBB71_91
; %bb.82:
	global_load_u16 v5, v8, s[2:3]
	s_mov_b32 s6, exec_lo
	s_waitcnt vmcnt(0)
	v_cvt_f32_f16_e32 v8, v5
                                        ; implicit-def: $vgpr5
	v_cmpx_ne_u64_e32 1, v[3:4]
	s_xor_b32 s10, exec_lo, s6
	s_cbranch_execz .LBB71_88
; %bb.83:
	v_mov_b32_e32 v5, 0x7fc00000
	s_mov_b32 s11, exec_lo
	v_cmpx_gt_u64_e32 0x81, v[3:4]
	s_cbranch_execz .LBB71_87
; %bb.84:
	v_dual_add_f32 v8, v8, v8 :: v_dual_mov_b32 v9, 1.0
	v_lshlrev_b64 v[3:4], 1, v[3:4]
	s_mov_b64 s[6:7], 2
	s_mov_b32 s12, 0
	s_delay_alu instid0(VALU_DEP_2)
	v_mov_b32_e32 v5, v8
	.p2align	6
.LBB71_85:                              ; =>This Inner Loop Header: Depth=1
	s_clz_i32_u32 s13, s7
	s_delay_alu instid0(SALU_CYCLE_1) | instskip(NEXT) | instid1(SALU_CYCLE_1)
	s_min_u32 s13, s13, 32
	s_lshl_b64 s[14:15], s[6:7], s13
	s_sub_i32 s13, 32, s13
	s_min_u32 s14, s14, 1
	s_delay_alu instid0(SALU_CYCLE_1) | instskip(SKIP_3) | instid1(SALU_CYCLE_1)
	s_or_b32 s14, s15, s14
	s_add_u32 s6, s6, 2
	v_cvt_f32_u32_e32 v12, s14
	s_addc_u32 s7, s7, 0
	v_cmp_ge_u64_e32 vcc_lo, s[6:7], v[3:4]
	s_delay_alu instid0(VALU_DEP_2) | instskip(SKIP_1) | instid1(VALU_DEP_1)
	v_ldexp_f32 v12, v12, s13
	s_or_b32 s12, vcc_lo, s12
	v_mul_f32_e32 v12, v9, v12
	v_mov_b32_e32 v9, v5
	s_delay_alu instid0(VALU_DEP_2)
	v_fma_f32 v5, v8, v5, -v12
	s_and_not1_b32 exec_lo, exec_lo, s12
	s_cbranch_execnz .LBB71_85
; %bb.86:
	s_or_b32 exec_lo, exec_lo, s12
.LBB71_87:
	s_delay_alu instid0(SALU_CYCLE_1)
	s_or_b32 exec_lo, exec_lo, s11
                                        ; implicit-def: $vgpr8
.LBB71_88:
	s_and_not1_saveexec_b32 s6, s10
; %bb.89:
	v_add_f32_e32 v5, v8, v8
; %bb.90:
	s_or_b32 exec_lo, exec_lo, s6
.LBB71_91:
	s_delay_alu instid0(SALU_CYCLE_1)
	s_or_b32 exec_lo, exec_lo, s9
.LBB71_92:
	s_delay_alu instid0(SALU_CYCLE_1) | instskip(SKIP_4) | instid1(VALU_DEP_1)
	s_or_b32 exec_lo, exec_lo, s8
	global_load_b32 v3, v11, s[4:5]
	s_mov_b32 s4, exec_lo
	s_waitcnt vmcnt(0)
	v_trunc_f32_e32 v4, v3
	v_mul_f32_e64 v8, 0x2f800000, |v4|
	s_delay_alu instid0(VALU_DEP_1) | instskip(NEXT) | instid1(VALU_DEP_1)
	v_floor_f32_e32 v8, v8
	v_fma_f32 v9, 0xcf800000, v8, |v4|
	v_ashrrev_i32_e32 v4, 31, v4
	v_cvt_u32_f32_e32 v8, v8
	s_delay_alu instid0(VALU_DEP_3) | instskip(NEXT) | instid1(VALU_DEP_2)
	v_cvt_u32_f32_e32 v9, v9
	v_xor_b32_e32 v8, v8, v4
	s_delay_alu instid0(VALU_DEP_2) | instskip(NEXT) | instid1(VALU_DEP_1)
	v_xor_b32_e32 v9, v9, v4
	v_sub_co_u32 v9, vcc_lo, v9, v4
	s_delay_alu instid0(VALU_DEP_3) | instskip(SKIP_2) | instid1(VALU_DEP_3)
	v_sub_co_ci_u32_e32 v4, vcc_lo, v8, v4, vcc_lo
	v_cmp_class_f32_e64 vcc_lo, v3, 0x1f8
	v_mov_b32_e32 v8, 0
	v_dual_cndmask_b32 v4, -1, v4 :: v_dual_cndmask_b32 v3, -1, v9
	s_delay_alu instid0(VALU_DEP_1)
	v_cmpx_lt_i64_e32 -1, v[3:4]
	s_cbranch_execz .LBB71_104
; %bb.93:
	v_mov_b32_e32 v8, 1.0
	s_mov_b32 s5, exec_lo
	v_cmpx_lt_i64_e32 0, v[3:4]
	s_cbranch_execz .LBB71_103
; %bb.94:
	global_load_u16 v8, v10, s[2:3]
	s_mov_b32 s2, exec_lo
	s_waitcnt vmcnt(0)
	v_cvt_f32_f16_e32 v9, v8
                                        ; implicit-def: $vgpr8
	v_cmpx_ne_u64_e32 1, v[3:4]
	s_xor_b32 s6, exec_lo, s2
	s_cbranch_execz .LBB71_100
; %bb.95:
	v_mov_b32_e32 v8, 0x7fc00000
	s_mov_b32 s7, exec_lo
	v_cmpx_gt_u64_e32 0x81, v[3:4]
	s_cbranch_execz .LBB71_99
; %bb.96:
	v_dual_add_f32 v9, v9, v9 :: v_dual_mov_b32 v10, 1.0
	v_lshlrev_b64 v[3:4], 1, v[3:4]
	s_mov_b64 s[2:3], 2
	s_mov_b32 s8, 0
	s_delay_alu instid0(VALU_DEP_2)
	v_mov_b32_e32 v8, v9
	.p2align	6
.LBB71_97:                              ; =>This Inner Loop Header: Depth=1
	s_clz_i32_u32 s9, s3
	s_delay_alu instid0(SALU_CYCLE_1) | instskip(NEXT) | instid1(SALU_CYCLE_1)
	s_min_u32 s9, s9, 32
	s_lshl_b64 s[10:11], s[2:3], s9
	s_sub_i32 s9, 32, s9
	s_min_u32 s10, s10, 1
	s_delay_alu instid0(SALU_CYCLE_1) | instskip(SKIP_3) | instid1(SALU_CYCLE_1)
	s_or_b32 s10, s11, s10
	s_add_u32 s2, s2, 2
	v_cvt_f32_u32_e32 v11, s10
	s_addc_u32 s3, s3, 0
	v_cmp_ge_u64_e32 vcc_lo, s[2:3], v[3:4]
	s_delay_alu instid0(VALU_DEP_2) | instskip(SKIP_1) | instid1(VALU_DEP_1)
	v_ldexp_f32 v11, v11, s9
	s_or_b32 s8, vcc_lo, s8
	v_dual_mul_f32 v11, v10, v11 :: v_dual_mov_b32 v10, v8
	s_delay_alu instid0(VALU_DEP_1)
	v_fma_f32 v8, v9, v8, -v11
	s_and_not1_b32 exec_lo, exec_lo, s8
	s_cbranch_execnz .LBB71_97
; %bb.98:
	s_or_b32 exec_lo, exec_lo, s8
.LBB71_99:
	s_delay_alu instid0(SALU_CYCLE_1)
	s_or_b32 exec_lo, exec_lo, s7
                                        ; implicit-def: $vgpr9
.LBB71_100:
	s_and_not1_saveexec_b32 s2, s6
; %bb.101:
	v_add_f32_e32 v8, v9, v9
; %bb.102:
	s_or_b32 exec_lo, exec_lo, s2
.LBB71_103:
	s_delay_alu instid0(SALU_CYCLE_1)
	s_or_b32 exec_lo, exec_lo, s5
.LBB71_104:
	s_delay_alu instid0(SALU_CYCLE_1)
	s_or_b32 exec_lo, exec_lo, s4
	s_clause 0x3
	global_store_b32 v0, v14, s[0:1]
	global_store_b32 v1, v6, s[0:1]
	;; [unrolled: 1-line block ×4, first 2 shown]
	s_nop 0
	s_sendmsg sendmsg(MSG_DEALLOC_VGPRS)
	s_endpgm
.LBB71_105:
	s_mov_b32 s31, -1
                                        ; implicit-def: $vgpr0
                                        ; implicit-def: $vgpr1
                                        ; implicit-def: $vgpr2
.LBB71_106:
	s_delay_alu instid0(SALU_CYCLE_1)
	s_and_not1_b32 vcc_lo, exec_lo, s31
	s_cbranch_vccnz .LBB71_109
; %bb.107:
	s_waitcnt lgkmcnt(0)
	v_mul_hi_u32 v0, s13, v7
	s_and_not1_b32 vcc_lo, exec_lo, s26
	s_delay_alu instid0(VALU_DEP_1) | instskip(NEXT) | instid1(VALU_DEP_1)
	v_add_nc_u32_e32 v0, v7, v0
	v_lshrrev_b32_e32 v3, s14, v0
	s_delay_alu instid0(VALU_DEP_1) | instskip(NEXT) | instid1(VALU_DEP_1)
	v_mul_lo_u32 v0, v3, s12
	v_sub_nc_u32_e32 v2, v7, v0
	s_delay_alu instid0(VALU_DEP_1)
	v_mul_lo_u32 v0, v2, s8
	v_mul_lo_u32 v1, v2, s9
	;; [unrolled: 1-line block ×3, first 2 shown]
	s_cbranch_vccnz .LBB71_109
; %bb.108:
	v_mul_hi_u32 v4, s18, v3
	s_delay_alu instid0(VALU_DEP_1) | instskip(NEXT) | instid1(VALU_DEP_1)
	v_add_nc_u32_e32 v4, v3, v4
	v_lshrrev_b32_e32 v4, s19, v4
	s_delay_alu instid0(VALU_DEP_1) | instskip(NEXT) | instid1(VALU_DEP_1)
	v_mul_lo_u32 v4, v4, s15
	v_sub_nc_u32_e32 v8, v3, v4
	s_delay_alu instid0(VALU_DEP_1) | instskip(SKIP_1) | instid1(VALU_DEP_2)
	v_mad_u64_u32 v[3:4], null, v8, s11, v[0:1]
	v_mad_u64_u32 v[4:5], null, v8, s16, v[1:2]
	;; [unrolled: 1-line block ×3, first 2 shown]
	s_delay_alu instid0(VALU_DEP_2) | instskip(NEXT) | instid1(VALU_DEP_2)
	v_dual_mov_b32 v0, v3 :: v_dual_mov_b32 v1, v4
	v_mov_b32_e32 v2, v5
.LBB71_109:
	s_waitcnt lgkmcnt(0)
	global_load_b32 v2, v2, s[2:3]
	s_mov_b32 s31, exec_lo
	s_waitcnt vmcnt(0)
	v_trunc_f32_e32 v3, v2
	s_delay_alu instid0(VALU_DEP_1) | instskip(NEXT) | instid1(VALU_DEP_1)
	v_mul_f32_e64 v4, 0x2f800000, |v3|
	v_floor_f32_e32 v4, v4
	s_delay_alu instid0(VALU_DEP_1) | instskip(SKIP_2) | instid1(VALU_DEP_3)
	v_fma_f32 v5, 0xcf800000, v4, |v3|
	v_ashrrev_i32_e32 v3, 31, v3
	v_cvt_u32_f32_e32 v4, v4
	v_cvt_u32_f32_e32 v5, v5
	s_delay_alu instid0(VALU_DEP_2) | instskip(NEXT) | instid1(VALU_DEP_2)
	v_xor_b32_e32 v4, v4, v3
	v_xor_b32_e32 v5, v5, v3
	s_delay_alu instid0(VALU_DEP_1) | instskip(NEXT) | instid1(VALU_DEP_3)
	v_sub_co_u32 v5, vcc_lo, v5, v3
	v_sub_co_ci_u32_e32 v3, vcc_lo, v4, v3, vcc_lo
	v_cmp_class_f32_e64 vcc_lo, v2, 0x1f8
	s_delay_alu instid0(VALU_DEP_2) | instskip(NEXT) | instid1(VALU_DEP_4)
	v_dual_mov_b32 v4, 0 :: v_dual_cndmask_b32 v3, -1, v3
	v_cndmask_b32_e32 v2, -1, v5, vcc_lo
	s_delay_alu instid0(VALU_DEP_1)
	v_cmpx_lt_i64_e32 -1, v[2:3]
	s_cbranch_execz .LBB71_121
; %bb.110:
	v_mov_b32_e32 v4, 1.0
	s_mov_b32 s33, exec_lo
	v_cmpx_lt_i64_e32 0, v[2:3]
	s_cbranch_execz .LBB71_120
; %bb.111:
	global_load_u16 v1, v1, s[6:7]
                                        ; implicit-def: $vgpr4
	s_mov_b32 s20, exec_lo
	s_waitcnt vmcnt(0)
	v_cvt_f32_f16_e32 v1, v1
	v_cmpx_ne_u64_e32 1, v[2:3]
	s_xor_b32 s34, exec_lo, s20
	s_cbranch_execz .LBB71_117
; %bb.112:
	v_mov_b32_e32 v4, 0x7fc00000
	s_mov_b32 s35, exec_lo
	v_cmpx_gt_u64_e32 0x81, v[2:3]
	s_cbranch_execz .LBB71_116
; %bb.113:
	v_add_f32_e32 v5, v1, v1
	v_lshlrev_b64 v[1:2], 1, v[2:3]
	v_mov_b32_e32 v3, 1.0
	s_mov_b64 s[20:21], 2
	s_mov_b32 s36, 0
	v_mov_b32_e32 v4, v5
	.p2align	6
.LBB71_114:                             ; =>This Inner Loop Header: Depth=1
	s_clz_i32_u32 s37, s21
	s_delay_alu instid0(SALU_CYCLE_1) | instskip(NEXT) | instid1(SALU_CYCLE_1)
	s_min_u32 s37, s37, 32
	s_lshl_b64 s[38:39], s[20:21], s37
	s_sub_i32 s37, 32, s37
	s_min_u32 s38, s38, 1
	s_delay_alu instid0(SALU_CYCLE_1) | instskip(SKIP_3) | instid1(SALU_CYCLE_1)
	s_or_b32 s38, s39, s38
	s_add_u32 s20, s20, 2
	v_cvt_f32_u32_e32 v6, s38
	s_addc_u32 s21, s21, 0
	v_cmp_ge_u64_e32 vcc_lo, s[20:21], v[1:2]
	s_delay_alu instid0(VALU_DEP_2) | instskip(SKIP_1) | instid1(VALU_DEP_1)
	v_ldexp_f32 v6, v6, s37
	s_or_b32 s36, vcc_lo, s36
	v_dual_mul_f32 v6, v3, v6 :: v_dual_mov_b32 v3, v4
	s_delay_alu instid0(VALU_DEP_1)
	v_fma_f32 v4, v5, v4, -v6
	s_and_not1_b32 exec_lo, exec_lo, s36
	s_cbranch_execnz .LBB71_114
; %bb.115:
	s_or_b32 exec_lo, exec_lo, s36
.LBB71_116:
	s_delay_alu instid0(SALU_CYCLE_1)
	s_or_b32 exec_lo, exec_lo, s35
                                        ; implicit-def: $vgpr1
.LBB71_117:
	s_and_not1_saveexec_b32 s20, s34
; %bb.118:
	v_add_f32_e32 v4, v1, v1
; %bb.119:
	s_or_b32 exec_lo, exec_lo, s20
.LBB71_120:
	s_delay_alu instid0(SALU_CYCLE_1)
	s_or_b32 exec_lo, exec_lo, s33
.LBB71_121:
	s_delay_alu instid0(SALU_CYCLE_1) | instskip(SKIP_3) | instid1(SALU_CYCLE_1)
	s_or_b32 exec_lo, exec_lo, s31
	v_add_nc_u32_e32 v7, 0x80, v7
	global_store_b32 v0, v4, s[4:5]
	s_or_b32 exec_lo, exec_lo, s30
	s_mov_b32 s30, exec_lo
	v_cmpx_gt_i32_e64 s28, v7
	s_cbranch_execnz .LBB71_16
.LBB71_122:
	s_or_b32 exec_lo, exec_lo, s30
	s_delay_alu instid0(SALU_CYCLE_1)
	s_mov_b32 s30, exec_lo
	v_cmpx_gt_i32_e64 s28, v7
	s_cbranch_execz .LBB71_146
.LBB71_123:
	s_and_not1_b32 vcc_lo, exec_lo, s24
	s_cbranch_vccnz .LBB71_149
; %bb.124:
	v_dual_mov_b32 v0, 0 :: v_dual_mov_b32 v1, 0
	v_mov_b32_e32 v2, 0
	s_and_not1_b32 vcc_lo, exec_lo, s29
	s_mov_b32 s31, 0
	s_cbranch_vccnz .LBB71_150
; %bb.125:
	s_add_i32 s20, s27, 1
	v_dual_mov_b32 v2, 0 :: v_dual_mov_b32 v1, 0
	v_dual_mov_b32 v0, 0 :: v_dual_mov_b32 v3, v7
	s_and_b32 s33, s20, 30
	s_add_u32 s20, s0, 0xffffffec
	s_addc_u32 s21, s1, -1
	s_set_inst_prefetch_distance 0x1
	.p2align	6
.LBB71_126:                             ; =>This Inner Loop Header: Depth=1
	s_clause 0x2
	s_load_b128 s[36:39], s[20:21], 0x18
	s_load_b64 s[34:35], s[20:21], 0x28
	s_load_b128 s[40:43], s[20:21], 0xd8
	s_waitcnt lgkmcnt(0)
	v_mul_hi_u32 v4, s37, v3
	s_delay_alu instid0(VALU_DEP_1) | instskip(NEXT) | instid1(VALU_DEP_1)
	v_add_nc_u32_e32 v4, v3, v4
	v_lshrrev_b32_e32 v4, s38, v4
	s_delay_alu instid0(VALU_DEP_1)
	v_mul_hi_u32 v5, s34, v4
	v_mul_lo_u32 v6, v4, s36
	s_load_b64 s[36:37], s[20:21], 0xe8
	s_add_u32 s20, s20, 24
	s_addc_u32 s21, s21, 0
	s_add_i32 s33, s33, -2
	s_delay_alu instid0(SALU_CYCLE_1) | instskip(NEXT) | instid1(VALU_DEP_2)
	s_cmp_eq_u32 s33, 0
	v_add_nc_u32_e32 v5, v4, v5
	s_delay_alu instid0(VALU_DEP_2) | instskip(NEXT) | instid1(VALU_DEP_2)
	v_sub_nc_u32_e32 v6, v3, v6
	v_lshrrev_b32_e32 v3, s35, v5
	s_delay_alu instid0(VALU_DEP_2) | instskip(NEXT) | instid1(VALU_DEP_2)
	v_mul_lo_u32 v8, v6, s40
	v_mul_lo_u32 v5, v3, s39
	s_delay_alu instid0(VALU_DEP_1) | instskip(SKIP_2) | instid1(VALU_DEP_3)
	v_sub_nc_u32_e32 v4, v4, v5
	v_mul_lo_u32 v5, v6, s41
	v_mul_lo_u32 v6, v6, s42
	;; [unrolled: 1-line block ×3, first 2 shown]
	s_waitcnt lgkmcnt(0)
	v_mul_lo_u32 v10, v4, s36
	v_mul_lo_u32 v4, v4, s37
	s_delay_alu instid0(VALU_DEP_3) | instskip(NEXT) | instid1(VALU_DEP_3)
	v_add3_u32 v0, v8, v0, v9
	v_add3_u32 v1, v5, v1, v10
	s_delay_alu instid0(VALU_DEP_3)
	v_add3_u32 v2, v6, v2, v4
	s_cbranch_scc0 .LBB71_126
; %bb.127:
	s_set_inst_prefetch_distance 0x2
	s_bitcmp1_b32 s27, 0
	s_cselect_b32 s33, -1, 0
	s_delay_alu instid0(SALU_CYCLE_1)
	s_and_b32 vcc_lo, exec_lo, s33
	s_cbranch_vccnz .LBB71_150
; %bb.128:
	s_clause 0x3
	s_load_b64 s[34:35], s[20:21], 0x18
	s_load_b32 s33, s[20:21], 0x20
	s_load_b64 s[36:37], s[20:21], 0xd8
	s_load_b32 s20, s[20:21], 0xe0
	s_waitcnt lgkmcnt(0)
	v_mul_hi_u32 v4, s35, v3
	s_delay_alu instid0(VALU_DEP_1) | instskip(NEXT) | instid1(VALU_DEP_1)
	v_add_nc_u32_e32 v4, v3, v4
	v_lshrrev_b32_e32 v4, s33, v4
	s_delay_alu instid0(VALU_DEP_1) | instskip(NEXT) | instid1(VALU_DEP_1)
	v_mul_lo_u32 v4, v4, s34
	v_sub_nc_u32_e32 v8, v3, v4
	s_delay_alu instid0(VALU_DEP_1) | instskip(SKIP_1) | instid1(VALU_DEP_2)
	v_mad_u64_u32 v[3:4], null, v8, s36, v[0:1]
	v_mad_u64_u32 v[4:5], null, v8, s37, v[1:2]
	;; [unrolled: 1-line block ×3, first 2 shown]
	s_delay_alu instid0(VALU_DEP_2) | instskip(NEXT) | instid1(VALU_DEP_2)
	v_dual_mov_b32 v0, v3 :: v_dual_mov_b32 v1, v4
	v_mov_b32_e32 v2, v5
	s_branch .LBB71_150
.LBB71_129:
	s_mov_b32 s31, -1
                                        ; implicit-def: $vgpr0
                                        ; implicit-def: $vgpr1
                                        ; implicit-def: $vgpr2
.LBB71_130:
	s_delay_alu instid0(SALU_CYCLE_1)
	s_and_not1_b32 vcc_lo, exec_lo, s31
	s_cbranch_vccnz .LBB71_133
; %bb.131:
	s_waitcnt lgkmcnt(0)
	v_mul_hi_u32 v0, s13, v7
	s_and_not1_b32 vcc_lo, exec_lo, s26
	s_delay_alu instid0(VALU_DEP_1) | instskip(NEXT) | instid1(VALU_DEP_1)
	v_add_nc_u32_e32 v0, v7, v0
	v_lshrrev_b32_e32 v3, s14, v0
	s_delay_alu instid0(VALU_DEP_1) | instskip(NEXT) | instid1(VALU_DEP_1)
	v_mul_lo_u32 v0, v3, s12
	v_sub_nc_u32_e32 v2, v7, v0
	s_delay_alu instid0(VALU_DEP_1)
	v_mul_lo_u32 v0, v2, s8
	v_mul_lo_u32 v1, v2, s9
	v_mul_lo_u32 v2, v2, s10
	s_cbranch_vccnz .LBB71_133
; %bb.132:
	v_mul_hi_u32 v4, s18, v3
	s_delay_alu instid0(VALU_DEP_1) | instskip(NEXT) | instid1(VALU_DEP_1)
	v_add_nc_u32_e32 v4, v3, v4
	v_lshrrev_b32_e32 v4, s19, v4
	s_delay_alu instid0(VALU_DEP_1) | instskip(NEXT) | instid1(VALU_DEP_1)
	v_mul_lo_u32 v4, v4, s15
	v_sub_nc_u32_e32 v8, v3, v4
	s_delay_alu instid0(VALU_DEP_1) | instskip(SKIP_1) | instid1(VALU_DEP_2)
	v_mad_u64_u32 v[3:4], null, v8, s11, v[0:1]
	v_mad_u64_u32 v[4:5], null, v8, s16, v[1:2]
	;; [unrolled: 1-line block ×3, first 2 shown]
	s_delay_alu instid0(VALU_DEP_2) | instskip(NEXT) | instid1(VALU_DEP_2)
	v_dual_mov_b32 v0, v3 :: v_dual_mov_b32 v1, v4
	v_mov_b32_e32 v2, v5
.LBB71_133:
	s_waitcnt lgkmcnt(0)
	global_load_b32 v2, v2, s[2:3]
	s_mov_b32 s31, exec_lo
	s_waitcnt vmcnt(0)
	v_trunc_f32_e32 v3, v2
	s_delay_alu instid0(VALU_DEP_1) | instskip(NEXT) | instid1(VALU_DEP_1)
	v_mul_f32_e64 v4, 0x2f800000, |v3|
	v_floor_f32_e32 v4, v4
	s_delay_alu instid0(VALU_DEP_1) | instskip(SKIP_2) | instid1(VALU_DEP_3)
	v_fma_f32 v5, 0xcf800000, v4, |v3|
	v_ashrrev_i32_e32 v3, 31, v3
	v_cvt_u32_f32_e32 v4, v4
	v_cvt_u32_f32_e32 v5, v5
	s_delay_alu instid0(VALU_DEP_2) | instskip(NEXT) | instid1(VALU_DEP_2)
	v_xor_b32_e32 v4, v4, v3
	v_xor_b32_e32 v5, v5, v3
	s_delay_alu instid0(VALU_DEP_1) | instskip(NEXT) | instid1(VALU_DEP_3)
	v_sub_co_u32 v5, vcc_lo, v5, v3
	v_sub_co_ci_u32_e32 v3, vcc_lo, v4, v3, vcc_lo
	v_cmp_class_f32_e64 vcc_lo, v2, 0x1f8
	s_delay_alu instid0(VALU_DEP_2) | instskip(NEXT) | instid1(VALU_DEP_4)
	v_dual_mov_b32 v4, 0 :: v_dual_cndmask_b32 v3, -1, v3
	v_cndmask_b32_e32 v2, -1, v5, vcc_lo
	s_delay_alu instid0(VALU_DEP_1)
	v_cmpx_lt_i64_e32 -1, v[2:3]
	s_cbranch_execz .LBB71_145
; %bb.134:
	v_mov_b32_e32 v4, 1.0
	s_mov_b32 s33, exec_lo
	v_cmpx_lt_i64_e32 0, v[2:3]
	s_cbranch_execz .LBB71_144
; %bb.135:
	global_load_u16 v1, v1, s[6:7]
                                        ; implicit-def: $vgpr4
	s_mov_b32 s20, exec_lo
	s_waitcnt vmcnt(0)
	v_cvt_f32_f16_e32 v1, v1
	v_cmpx_ne_u64_e32 1, v[2:3]
	s_xor_b32 s34, exec_lo, s20
	s_cbranch_execz .LBB71_141
; %bb.136:
	v_mov_b32_e32 v4, 0x7fc00000
	s_mov_b32 s35, exec_lo
	v_cmpx_gt_u64_e32 0x81, v[2:3]
	s_cbranch_execz .LBB71_140
; %bb.137:
	v_add_f32_e32 v5, v1, v1
	v_lshlrev_b64 v[1:2], 1, v[2:3]
	v_mov_b32_e32 v3, 1.0
	s_mov_b64 s[20:21], 2
	s_mov_b32 s36, 0
	v_mov_b32_e32 v4, v5
	.p2align	6
.LBB71_138:                             ; =>This Inner Loop Header: Depth=1
	s_clz_i32_u32 s37, s21
	s_delay_alu instid0(SALU_CYCLE_1) | instskip(NEXT) | instid1(SALU_CYCLE_1)
	s_min_u32 s37, s37, 32
	s_lshl_b64 s[38:39], s[20:21], s37
	s_sub_i32 s37, 32, s37
	s_min_u32 s38, s38, 1
	s_delay_alu instid0(SALU_CYCLE_1) | instskip(SKIP_3) | instid1(SALU_CYCLE_1)
	s_or_b32 s38, s39, s38
	s_add_u32 s20, s20, 2
	v_cvt_f32_u32_e32 v6, s38
	s_addc_u32 s21, s21, 0
	v_cmp_ge_u64_e32 vcc_lo, s[20:21], v[1:2]
	s_delay_alu instid0(VALU_DEP_2) | instskip(SKIP_1) | instid1(VALU_DEP_1)
	v_ldexp_f32 v6, v6, s37
	s_or_b32 s36, vcc_lo, s36
	v_dual_mul_f32 v6, v3, v6 :: v_dual_mov_b32 v3, v4
	s_delay_alu instid0(VALU_DEP_1)
	v_fma_f32 v4, v5, v4, -v6
	s_and_not1_b32 exec_lo, exec_lo, s36
	s_cbranch_execnz .LBB71_138
; %bb.139:
	s_or_b32 exec_lo, exec_lo, s36
.LBB71_140:
	s_delay_alu instid0(SALU_CYCLE_1)
	s_or_b32 exec_lo, exec_lo, s35
                                        ; implicit-def: $vgpr1
.LBB71_141:
	s_and_not1_saveexec_b32 s20, s34
; %bb.142:
	v_add_f32_e32 v4, v1, v1
; %bb.143:
	s_or_b32 exec_lo, exec_lo, s20
.LBB71_144:
	s_delay_alu instid0(SALU_CYCLE_1)
	s_or_b32 exec_lo, exec_lo, s33
.LBB71_145:
	s_delay_alu instid0(SALU_CYCLE_1) | instskip(SKIP_3) | instid1(SALU_CYCLE_1)
	s_or_b32 exec_lo, exec_lo, s31
	v_add_nc_u32_e32 v7, 0x80, v7
	global_store_b32 v0, v4, s[4:5]
	s_or_b32 exec_lo, exec_lo, s30
	s_mov_b32 s30, exec_lo
	v_cmpx_gt_i32_e64 s28, v7
	s_cbranch_execnz .LBB71_123
.LBB71_146:
	s_or_b32 exec_lo, exec_lo, s30
	v_cmp_gt_i32_e32 vcc_lo, s28, v7
	s_and_saveexec_b32 s28, vcc_lo
	s_cbranch_execnz .LBB71_166
.LBB71_147:
	s_or_b32 exec_lo, exec_lo, s28
                                        ; implicit-def: $vgpr12
                                        ; implicit-def: $vgpr7
	s_waitcnt lgkmcnt(0)
	s_and_not1_saveexec_b32 s2, s25
	s_cbranch_execnz .LBB71_9
.LBB71_148:
	s_nop 0
	s_sendmsg sendmsg(MSG_DEALLOC_VGPRS)
	s_endpgm
.LBB71_149:
	s_mov_b32 s31, -1
                                        ; implicit-def: $vgpr0
                                        ; implicit-def: $vgpr1
                                        ; implicit-def: $vgpr2
.LBB71_150:
	s_delay_alu instid0(SALU_CYCLE_1)
	s_and_not1_b32 vcc_lo, exec_lo, s31
	s_cbranch_vccnz .LBB71_153
; %bb.151:
	s_waitcnt lgkmcnt(0)
	v_mul_hi_u32 v0, s13, v7
	s_and_not1_b32 vcc_lo, exec_lo, s26
	s_delay_alu instid0(VALU_DEP_1) | instskip(NEXT) | instid1(VALU_DEP_1)
	v_add_nc_u32_e32 v0, v7, v0
	v_lshrrev_b32_e32 v3, s14, v0
	s_delay_alu instid0(VALU_DEP_1) | instskip(NEXT) | instid1(VALU_DEP_1)
	v_mul_lo_u32 v0, v3, s12
	v_sub_nc_u32_e32 v2, v7, v0
	s_delay_alu instid0(VALU_DEP_1)
	v_mul_lo_u32 v0, v2, s8
	v_mul_lo_u32 v1, v2, s9
	;; [unrolled: 1-line block ×3, first 2 shown]
	s_cbranch_vccnz .LBB71_153
; %bb.152:
	v_mul_hi_u32 v4, s18, v3
	s_delay_alu instid0(VALU_DEP_1) | instskip(NEXT) | instid1(VALU_DEP_1)
	v_add_nc_u32_e32 v4, v3, v4
	v_lshrrev_b32_e32 v4, s19, v4
	s_delay_alu instid0(VALU_DEP_1) | instskip(NEXT) | instid1(VALU_DEP_1)
	v_mul_lo_u32 v4, v4, s15
	v_sub_nc_u32_e32 v8, v3, v4
	s_delay_alu instid0(VALU_DEP_1) | instskip(SKIP_1) | instid1(VALU_DEP_2)
	v_mad_u64_u32 v[3:4], null, v8, s11, v[0:1]
	v_mad_u64_u32 v[4:5], null, v8, s16, v[1:2]
	;; [unrolled: 1-line block ×3, first 2 shown]
	s_delay_alu instid0(VALU_DEP_2) | instskip(NEXT) | instid1(VALU_DEP_2)
	v_dual_mov_b32 v0, v3 :: v_dual_mov_b32 v1, v4
	v_mov_b32_e32 v2, v5
.LBB71_153:
	s_waitcnt lgkmcnt(0)
	global_load_b32 v2, v2, s[2:3]
	s_mov_b32 s31, exec_lo
	s_waitcnt vmcnt(0)
	v_trunc_f32_e32 v3, v2
	s_delay_alu instid0(VALU_DEP_1) | instskip(NEXT) | instid1(VALU_DEP_1)
	v_mul_f32_e64 v4, 0x2f800000, |v3|
	v_floor_f32_e32 v4, v4
	s_delay_alu instid0(VALU_DEP_1) | instskip(SKIP_2) | instid1(VALU_DEP_3)
	v_fma_f32 v5, 0xcf800000, v4, |v3|
	v_ashrrev_i32_e32 v3, 31, v3
	v_cvt_u32_f32_e32 v4, v4
	v_cvt_u32_f32_e32 v5, v5
	s_delay_alu instid0(VALU_DEP_2) | instskip(NEXT) | instid1(VALU_DEP_2)
	v_xor_b32_e32 v4, v4, v3
	v_xor_b32_e32 v5, v5, v3
	s_delay_alu instid0(VALU_DEP_1) | instskip(NEXT) | instid1(VALU_DEP_3)
	v_sub_co_u32 v5, vcc_lo, v5, v3
	v_sub_co_ci_u32_e32 v3, vcc_lo, v4, v3, vcc_lo
	v_cmp_class_f32_e64 vcc_lo, v2, 0x1f8
	s_delay_alu instid0(VALU_DEP_2) | instskip(NEXT) | instid1(VALU_DEP_4)
	v_dual_mov_b32 v4, 0 :: v_dual_cndmask_b32 v3, -1, v3
	v_cndmask_b32_e32 v2, -1, v5, vcc_lo
	s_delay_alu instid0(VALU_DEP_1)
	v_cmpx_lt_i64_e32 -1, v[2:3]
	s_cbranch_execz .LBB71_165
; %bb.154:
	v_mov_b32_e32 v4, 1.0
	s_mov_b32 s33, exec_lo
	v_cmpx_lt_i64_e32 0, v[2:3]
	s_cbranch_execz .LBB71_164
; %bb.155:
	global_load_u16 v1, v1, s[6:7]
                                        ; implicit-def: $vgpr4
	s_mov_b32 s20, exec_lo
	s_waitcnt vmcnt(0)
	v_cvt_f32_f16_e32 v1, v1
	v_cmpx_ne_u64_e32 1, v[2:3]
	s_xor_b32 s34, exec_lo, s20
	s_cbranch_execz .LBB71_161
; %bb.156:
	v_mov_b32_e32 v4, 0x7fc00000
	s_mov_b32 s35, exec_lo
	v_cmpx_gt_u64_e32 0x81, v[2:3]
	s_cbranch_execz .LBB71_160
; %bb.157:
	v_add_f32_e32 v5, v1, v1
	v_lshlrev_b64 v[1:2], 1, v[2:3]
	v_mov_b32_e32 v3, 1.0
	s_mov_b64 s[20:21], 2
	s_mov_b32 s36, 0
	v_mov_b32_e32 v4, v5
	.p2align	6
.LBB71_158:                             ; =>This Inner Loop Header: Depth=1
	s_clz_i32_u32 s37, s21
	s_delay_alu instid0(SALU_CYCLE_1) | instskip(NEXT) | instid1(SALU_CYCLE_1)
	s_min_u32 s37, s37, 32
	s_lshl_b64 s[38:39], s[20:21], s37
	s_sub_i32 s37, 32, s37
	s_min_u32 s38, s38, 1
	s_delay_alu instid0(SALU_CYCLE_1) | instskip(SKIP_3) | instid1(SALU_CYCLE_1)
	s_or_b32 s38, s39, s38
	s_add_u32 s20, s20, 2
	v_cvt_f32_u32_e32 v6, s38
	s_addc_u32 s21, s21, 0
	v_cmp_ge_u64_e32 vcc_lo, s[20:21], v[1:2]
	s_delay_alu instid0(VALU_DEP_2) | instskip(SKIP_1) | instid1(VALU_DEP_1)
	v_ldexp_f32 v6, v6, s37
	s_or_b32 s36, vcc_lo, s36
	v_dual_mul_f32 v6, v3, v6 :: v_dual_mov_b32 v3, v4
	s_delay_alu instid0(VALU_DEP_1)
	v_fma_f32 v4, v5, v4, -v6
	s_and_not1_b32 exec_lo, exec_lo, s36
	s_cbranch_execnz .LBB71_158
; %bb.159:
	s_or_b32 exec_lo, exec_lo, s36
.LBB71_160:
	s_delay_alu instid0(SALU_CYCLE_1)
	s_or_b32 exec_lo, exec_lo, s35
                                        ; implicit-def: $vgpr1
.LBB71_161:
	s_and_not1_saveexec_b32 s20, s34
; %bb.162:
	v_add_f32_e32 v4, v1, v1
; %bb.163:
	s_or_b32 exec_lo, exec_lo, s20
.LBB71_164:
	s_delay_alu instid0(SALU_CYCLE_1)
	s_or_b32 exec_lo, exec_lo, s33
.LBB71_165:
	s_delay_alu instid0(SALU_CYCLE_1)
	s_or_b32 exec_lo, exec_lo, s31
	v_add_nc_u32_e32 v7, 0x80, v7
	global_store_b32 v0, v4, s[4:5]
	s_or_b32 exec_lo, exec_lo, s30
	v_cmp_gt_i32_e32 vcc_lo, s28, v7
	s_and_saveexec_b32 s28, vcc_lo
	s_cbranch_execz .LBB71_147
.LBB71_166:
	s_and_not1_b32 vcc_lo, exec_lo, s24
	s_cbranch_vccnz .LBB71_172
; %bb.167:
	v_dual_mov_b32 v0, 0 :: v_dual_mov_b32 v1, 0
	v_mov_b32_e32 v2, 0
	s_and_not1_b32 vcc_lo, exec_lo, s29
	s_mov_b32 s29, 0
	s_cbranch_vccnz .LBB71_173
; %bb.168:
	s_add_i32 s20, s27, 1
	v_dual_mov_b32 v2, 0 :: v_dual_mov_b32 v1, 0
	v_dual_mov_b32 v0, 0 :: v_dual_mov_b32 v3, v7
	s_and_b32 s30, s20, 30
	s_add_u32 s20, s0, 0xffffffec
	s_addc_u32 s21, s1, -1
	s_set_inst_prefetch_distance 0x1
	.p2align	6
.LBB71_169:                             ; =>This Inner Loop Header: Depth=1
	s_clause 0x2
	s_load_b128 s[36:39], s[20:21], 0x18
	s_load_b64 s[34:35], s[20:21], 0x28
	s_load_b128 s[40:43], s[20:21], 0xd8
	s_waitcnt lgkmcnt(0)
	v_mul_hi_u32 v4, s37, v3
	s_delay_alu instid0(VALU_DEP_1) | instskip(NEXT) | instid1(VALU_DEP_1)
	v_add_nc_u32_e32 v4, v3, v4
	v_lshrrev_b32_e32 v4, s38, v4
	s_delay_alu instid0(VALU_DEP_1)
	v_mul_hi_u32 v5, s34, v4
	v_mul_lo_u32 v6, v4, s36
	s_load_b64 s[36:37], s[20:21], 0xe8
	s_add_u32 s20, s20, 24
	s_addc_u32 s21, s21, 0
	s_add_i32 s30, s30, -2
	s_delay_alu instid0(SALU_CYCLE_1) | instskip(NEXT) | instid1(VALU_DEP_2)
	s_cmp_eq_u32 s30, 0
	v_add_nc_u32_e32 v5, v4, v5
	s_delay_alu instid0(VALU_DEP_2) | instskip(NEXT) | instid1(VALU_DEP_2)
	v_sub_nc_u32_e32 v6, v3, v6
	v_lshrrev_b32_e32 v3, s35, v5
	s_delay_alu instid0(VALU_DEP_2) | instskip(NEXT) | instid1(VALU_DEP_2)
	v_mul_lo_u32 v8, v6, s40
	v_mul_lo_u32 v5, v3, s39
	s_delay_alu instid0(VALU_DEP_1) | instskip(SKIP_2) | instid1(VALU_DEP_3)
	v_sub_nc_u32_e32 v4, v4, v5
	v_mul_lo_u32 v5, v6, s41
	v_mul_lo_u32 v6, v6, s42
	;; [unrolled: 1-line block ×3, first 2 shown]
	s_waitcnt lgkmcnt(0)
	v_mul_lo_u32 v10, v4, s36
	v_mul_lo_u32 v4, v4, s37
	s_delay_alu instid0(VALU_DEP_3) | instskip(NEXT) | instid1(VALU_DEP_3)
	v_add3_u32 v0, v8, v0, v9
	v_add3_u32 v1, v5, v1, v10
	s_delay_alu instid0(VALU_DEP_3)
	v_add3_u32 v2, v6, v2, v4
	s_cbranch_scc0 .LBB71_169
; %bb.170:
	s_set_inst_prefetch_distance 0x2
	s_bitcmp1_b32 s27, 0
	s_cselect_b32 s27, -1, 0
	s_delay_alu instid0(SALU_CYCLE_1)
	s_and_b32 vcc_lo, exec_lo, s27
	s_cbranch_vccnz .LBB71_173
; %bb.171:
	s_clause 0x3
	s_load_b64 s[30:31], s[20:21], 0x18
	s_load_b32 s27, s[20:21], 0x20
	s_load_b64 s[34:35], s[20:21], 0xd8
	s_load_b32 s20, s[20:21], 0xe0
	s_waitcnt lgkmcnt(0)
	v_mul_hi_u32 v4, s31, v3
	s_delay_alu instid0(VALU_DEP_1) | instskip(NEXT) | instid1(VALU_DEP_1)
	v_add_nc_u32_e32 v4, v3, v4
	v_lshrrev_b32_e32 v4, s27, v4
	s_delay_alu instid0(VALU_DEP_1) | instskip(NEXT) | instid1(VALU_DEP_1)
	v_mul_lo_u32 v4, v4, s30
	v_sub_nc_u32_e32 v8, v3, v4
	s_delay_alu instid0(VALU_DEP_1) | instskip(SKIP_1) | instid1(VALU_DEP_2)
	v_mad_u64_u32 v[3:4], null, v8, s34, v[0:1]
	v_mad_u64_u32 v[4:5], null, v8, s35, v[1:2]
	;; [unrolled: 1-line block ×3, first 2 shown]
	s_delay_alu instid0(VALU_DEP_2) | instskip(NEXT) | instid1(VALU_DEP_2)
	v_dual_mov_b32 v0, v3 :: v_dual_mov_b32 v1, v4
	v_mov_b32_e32 v2, v5
	s_branch .LBB71_173
.LBB71_172:
	s_mov_b32 s29, -1
                                        ; implicit-def: $vgpr0
                                        ; implicit-def: $vgpr1
                                        ; implicit-def: $vgpr2
.LBB71_173:
	s_delay_alu instid0(SALU_CYCLE_1)
	s_and_not1_b32 vcc_lo, exec_lo, s29
	s_cbranch_vccnz .LBB71_176
; %bb.174:
	s_waitcnt lgkmcnt(0)
	v_mul_hi_u32 v0, s13, v7
	s_and_not1_b32 vcc_lo, exec_lo, s26
	s_delay_alu instid0(VALU_DEP_1) | instskip(NEXT) | instid1(VALU_DEP_1)
	v_add_nc_u32_e32 v0, v7, v0
	v_lshrrev_b32_e32 v3, s14, v0
	s_delay_alu instid0(VALU_DEP_1) | instskip(NEXT) | instid1(VALU_DEP_1)
	v_mul_lo_u32 v0, v3, s12
	v_sub_nc_u32_e32 v2, v7, v0
	s_delay_alu instid0(VALU_DEP_1)
	v_mul_lo_u32 v0, v2, s8
	v_mul_lo_u32 v1, v2, s9
	;; [unrolled: 1-line block ×3, first 2 shown]
	s_cbranch_vccnz .LBB71_176
; %bb.175:
	v_mul_hi_u32 v4, s18, v3
	s_delay_alu instid0(VALU_DEP_1) | instskip(NEXT) | instid1(VALU_DEP_1)
	v_add_nc_u32_e32 v4, v3, v4
	v_lshrrev_b32_e32 v4, s19, v4
	s_delay_alu instid0(VALU_DEP_1) | instskip(NEXT) | instid1(VALU_DEP_1)
	v_mul_lo_u32 v4, v4, s15
	v_sub_nc_u32_e32 v7, v3, v4
	s_delay_alu instid0(VALU_DEP_1) | instskip(SKIP_1) | instid1(VALU_DEP_2)
	v_mad_u64_u32 v[3:4], null, v7, s11, v[0:1]
	v_mad_u64_u32 v[4:5], null, v7, s16, v[1:2]
	;; [unrolled: 1-line block ×3, first 2 shown]
	s_delay_alu instid0(VALU_DEP_2) | instskip(NEXT) | instid1(VALU_DEP_2)
	v_dual_mov_b32 v0, v3 :: v_dual_mov_b32 v1, v4
	v_mov_b32_e32 v2, v5
.LBB71_176:
	s_waitcnt lgkmcnt(0)
	global_load_b32 v2, v2, s[2:3]
	s_mov_b32 s8, exec_lo
	s_waitcnt vmcnt(0)
	v_trunc_f32_e32 v3, v2
	s_delay_alu instid0(VALU_DEP_1) | instskip(NEXT) | instid1(VALU_DEP_1)
	v_mul_f32_e64 v4, 0x2f800000, |v3|
	v_floor_f32_e32 v4, v4
	s_delay_alu instid0(VALU_DEP_1) | instskip(SKIP_2) | instid1(VALU_DEP_3)
	v_fma_f32 v5, 0xcf800000, v4, |v3|
	v_ashrrev_i32_e32 v3, 31, v3
	v_cvt_u32_f32_e32 v4, v4
	v_cvt_u32_f32_e32 v5, v5
	s_delay_alu instid0(VALU_DEP_2) | instskip(NEXT) | instid1(VALU_DEP_2)
	v_xor_b32_e32 v4, v4, v3
	v_xor_b32_e32 v5, v5, v3
	s_delay_alu instid0(VALU_DEP_1) | instskip(NEXT) | instid1(VALU_DEP_3)
	v_sub_co_u32 v5, vcc_lo, v5, v3
	v_sub_co_ci_u32_e32 v3, vcc_lo, v4, v3, vcc_lo
	v_cmp_class_f32_e64 vcc_lo, v2, 0x1f8
	s_delay_alu instid0(VALU_DEP_2) | instskip(NEXT) | instid1(VALU_DEP_4)
	v_dual_mov_b32 v4, 0 :: v_dual_cndmask_b32 v3, -1, v3
	v_cndmask_b32_e32 v2, -1, v5, vcc_lo
	s_delay_alu instid0(VALU_DEP_1)
	v_cmpx_lt_i64_e32 -1, v[2:3]
	s_cbranch_execz .LBB71_188
; %bb.177:
	v_mov_b32_e32 v4, 1.0
	s_mov_b32 s9, exec_lo
	v_cmpx_lt_i64_e32 0, v[2:3]
	s_cbranch_execz .LBB71_187
; %bb.178:
	global_load_u16 v1, v1, s[6:7]
                                        ; implicit-def: $vgpr4
	s_mov_b32 s2, exec_lo
	s_waitcnt vmcnt(0)
	v_cvt_f32_f16_e32 v1, v1
	v_cmpx_ne_u64_e32 1, v[2:3]
	s_xor_b32 s6, exec_lo, s2
	s_cbranch_execz .LBB71_184
; %bb.179:
	v_mov_b32_e32 v4, 0x7fc00000
	s_mov_b32 s7, exec_lo
	v_cmpx_gt_u64_e32 0x81, v[2:3]
	s_cbranch_execz .LBB71_183
; %bb.180:
	v_add_f32_e32 v5, v1, v1
	v_lshlrev_b64 v[1:2], 1, v[2:3]
	v_mov_b32_e32 v3, 1.0
	s_mov_b64 s[2:3], 2
	s_mov_b32 s10, 0
	v_mov_b32_e32 v4, v5
	.p2align	6
.LBB71_181:                             ; =>This Inner Loop Header: Depth=1
	s_clz_i32_u32 s11, s3
	s_delay_alu instid0(SALU_CYCLE_1) | instskip(NEXT) | instid1(SALU_CYCLE_1)
	s_min_u32 s11, s11, 32
	s_lshl_b64 s[12:13], s[2:3], s11
	s_sub_i32 s11, 32, s11
	s_min_u32 s12, s12, 1
	s_delay_alu instid0(SALU_CYCLE_1) | instskip(SKIP_3) | instid1(SALU_CYCLE_1)
	s_or_b32 s12, s13, s12
	s_add_u32 s2, s2, 2
	v_cvt_f32_u32_e32 v6, s12
	s_addc_u32 s3, s3, 0
	v_cmp_ge_u64_e32 vcc_lo, s[2:3], v[1:2]
	s_delay_alu instid0(VALU_DEP_2) | instskip(SKIP_1) | instid1(VALU_DEP_1)
	v_ldexp_f32 v6, v6, s11
	s_or_b32 s10, vcc_lo, s10
	v_dual_mul_f32 v6, v3, v6 :: v_dual_mov_b32 v3, v4
	s_delay_alu instid0(VALU_DEP_1)
	v_fma_f32 v4, v5, v4, -v6
	s_and_not1_b32 exec_lo, exec_lo, s10
	s_cbranch_execnz .LBB71_181
; %bb.182:
	s_or_b32 exec_lo, exec_lo, s10
.LBB71_183:
	s_delay_alu instid0(SALU_CYCLE_1)
	s_or_b32 exec_lo, exec_lo, s7
                                        ; implicit-def: $vgpr1
.LBB71_184:
	s_and_not1_saveexec_b32 s2, s6
; %bb.185:
	v_add_f32_e32 v4, v1, v1
; %bb.186:
	s_or_b32 exec_lo, exec_lo, s2
.LBB71_187:
	s_delay_alu instid0(SALU_CYCLE_1)
	s_or_b32 exec_lo, exec_lo, s9
.LBB71_188:
	s_delay_alu instid0(SALU_CYCLE_1)
	s_or_b32 exec_lo, exec_lo, s8
	global_store_b32 v0, v4, s[4:5]
	s_or_b32 exec_lo, exec_lo, s28
                                        ; implicit-def: $vgpr12
                                        ; implicit-def: $vgpr7
	s_and_not1_saveexec_b32 s2, s25
	s_cbranch_execz .LBB71_148
	s_branch .LBB71_9
	.section	.rodata,"a",@progbits
	.p2align	6, 0x0
	.amdhsa_kernel _ZN2at6native32elementwise_kernel_manual_unrollILi128ELi4EZNS0_12_GLOBAL__N_142type_specialized_broadcast_kernel_launcherILi4EE5applyINS0_13BinaryFunctorIfffZZZNS2_32hermite_polynomial_h_kernel_cudaERNS_18TensorIteratorBaseEENKUlvE_clEvENKUlvE0_clEvEUlffE_EESt5arrayIPcLm3EESD_IN3c1010ScalarTypeELm3EE16OffsetCalculatorILi3EjLb0EEEEvlT_T0_T1_T2_EUlibE_EEviSN_
		.amdhsa_group_segment_fixed_size 0
		.amdhsa_private_segment_fixed_size 0
		.amdhsa_kernarg_size 432
		.amdhsa_user_sgpr_count 15
		.amdhsa_user_sgpr_dispatch_ptr 0
		.amdhsa_user_sgpr_queue_ptr 0
		.amdhsa_user_sgpr_kernarg_segment_ptr 1
		.amdhsa_user_sgpr_dispatch_id 0
		.amdhsa_user_sgpr_private_segment_size 0
		.amdhsa_wavefront_size32 1
		.amdhsa_uses_dynamic_stack 0
		.amdhsa_enable_private_segment 0
		.amdhsa_system_sgpr_workgroup_id_x 1
		.amdhsa_system_sgpr_workgroup_id_y 0
		.amdhsa_system_sgpr_workgroup_id_z 0
		.amdhsa_system_sgpr_workgroup_info 0
		.amdhsa_system_vgpr_workitem_id 0
		.amdhsa_next_free_vgpr 20
		.amdhsa_next_free_sgpr 44
		.amdhsa_reserve_vcc 1
		.amdhsa_float_round_mode_32 0
		.amdhsa_float_round_mode_16_64 0
		.amdhsa_float_denorm_mode_32 3
		.amdhsa_float_denorm_mode_16_64 3
		.amdhsa_dx10_clamp 1
		.amdhsa_ieee_mode 1
		.amdhsa_fp16_overflow 0
		.amdhsa_workgroup_processor_mode 1
		.amdhsa_memory_ordered 1
		.amdhsa_forward_progress 0
		.amdhsa_shared_vgpr_count 0
		.amdhsa_exception_fp_ieee_invalid_op 0
		.amdhsa_exception_fp_denorm_src 0
		.amdhsa_exception_fp_ieee_div_zero 0
		.amdhsa_exception_fp_ieee_overflow 0
		.amdhsa_exception_fp_ieee_underflow 0
		.amdhsa_exception_fp_ieee_inexact 0
		.amdhsa_exception_int_div_zero 0
	.end_amdhsa_kernel
	.section	.text._ZN2at6native32elementwise_kernel_manual_unrollILi128ELi4EZNS0_12_GLOBAL__N_142type_specialized_broadcast_kernel_launcherILi4EE5applyINS0_13BinaryFunctorIfffZZZNS2_32hermite_polynomial_h_kernel_cudaERNS_18TensorIteratorBaseEENKUlvE_clEvENKUlvE0_clEvEUlffE_EESt5arrayIPcLm3EESD_IN3c1010ScalarTypeELm3EE16OffsetCalculatorILi3EjLb0EEEEvlT_T0_T1_T2_EUlibE_EEviSN_,"axG",@progbits,_ZN2at6native32elementwise_kernel_manual_unrollILi128ELi4EZNS0_12_GLOBAL__N_142type_specialized_broadcast_kernel_launcherILi4EE5applyINS0_13BinaryFunctorIfffZZZNS2_32hermite_polynomial_h_kernel_cudaERNS_18TensorIteratorBaseEENKUlvE_clEvENKUlvE0_clEvEUlffE_EESt5arrayIPcLm3EESD_IN3c1010ScalarTypeELm3EE16OffsetCalculatorILi3EjLb0EEEEvlT_T0_T1_T2_EUlibE_EEviSN_,comdat
.Lfunc_end71:
	.size	_ZN2at6native32elementwise_kernel_manual_unrollILi128ELi4EZNS0_12_GLOBAL__N_142type_specialized_broadcast_kernel_launcherILi4EE5applyINS0_13BinaryFunctorIfffZZZNS2_32hermite_polynomial_h_kernel_cudaERNS_18TensorIteratorBaseEENKUlvE_clEvENKUlvE0_clEvEUlffE_EESt5arrayIPcLm3EESD_IN3c1010ScalarTypeELm3EE16OffsetCalculatorILi3EjLb0EEEEvlT_T0_T1_T2_EUlibE_EEviSN_, .Lfunc_end71-_ZN2at6native32elementwise_kernel_manual_unrollILi128ELi4EZNS0_12_GLOBAL__N_142type_specialized_broadcast_kernel_launcherILi4EE5applyINS0_13BinaryFunctorIfffZZZNS2_32hermite_polynomial_h_kernel_cudaERNS_18TensorIteratorBaseEENKUlvE_clEvENKUlvE0_clEvEUlffE_EESt5arrayIPcLm3EESD_IN3c1010ScalarTypeELm3EE16OffsetCalculatorILi3EjLb0EEEEvlT_T0_T1_T2_EUlibE_EEviSN_
                                        ; -- End function
	.section	.AMDGPU.csdata,"",@progbits
; Kernel info:
; codeLenInByte = 8568
; NumSgprs: 46
; NumVgprs: 20
; ScratchSize: 0
; MemoryBound: 0
; FloatMode: 240
; IeeeMode: 1
; LDSByteSize: 0 bytes/workgroup (compile time only)
; SGPRBlocks: 5
; VGPRBlocks: 2
; NumSGPRsForWavesPerEU: 46
; NumVGPRsForWavesPerEU: 20
; Occupancy: 16
; WaveLimiterHint : 1
; COMPUTE_PGM_RSRC2:SCRATCH_EN: 0
; COMPUTE_PGM_RSRC2:USER_SGPR: 15
; COMPUTE_PGM_RSRC2:TRAP_HANDLER: 0
; COMPUTE_PGM_RSRC2:TGID_X_EN: 1
; COMPUTE_PGM_RSRC2:TGID_Y_EN: 0
; COMPUTE_PGM_RSRC2:TGID_Z_EN: 0
; COMPUTE_PGM_RSRC2:TIDIG_COMP_CNT: 0
	.section	.text._ZN2at6native32elementwise_kernel_manual_unrollILi128ELi4EZNS0_12_GLOBAL__N_142type_specialized_broadcast_kernel_launcherILi5EE5applyINS0_13BinaryFunctorIfffZZZNS2_32hermite_polynomial_h_kernel_cudaERNS_18TensorIteratorBaseEENKUlvE_clEvENKUlvE0_clEvEUlffE_EESt5arrayIPcLm3EESD_IN3c1010ScalarTypeELm3EE16OffsetCalculatorILi3EjLb0EEEEvlT_T0_T1_T2_EUlibE_EEviSN_,"axG",@progbits,_ZN2at6native32elementwise_kernel_manual_unrollILi128ELi4EZNS0_12_GLOBAL__N_142type_specialized_broadcast_kernel_launcherILi5EE5applyINS0_13BinaryFunctorIfffZZZNS2_32hermite_polynomial_h_kernel_cudaERNS_18TensorIteratorBaseEENKUlvE_clEvENKUlvE0_clEvEUlffE_EESt5arrayIPcLm3EESD_IN3c1010ScalarTypeELm3EE16OffsetCalculatorILi3EjLb0EEEEvlT_T0_T1_T2_EUlibE_EEviSN_,comdat
	.globl	_ZN2at6native32elementwise_kernel_manual_unrollILi128ELi4EZNS0_12_GLOBAL__N_142type_specialized_broadcast_kernel_launcherILi5EE5applyINS0_13BinaryFunctorIfffZZZNS2_32hermite_polynomial_h_kernel_cudaERNS_18TensorIteratorBaseEENKUlvE_clEvENKUlvE0_clEvEUlffE_EESt5arrayIPcLm3EESD_IN3c1010ScalarTypeELm3EE16OffsetCalculatorILi3EjLb0EEEEvlT_T0_T1_T2_EUlibE_EEviSN_ ; -- Begin function _ZN2at6native32elementwise_kernel_manual_unrollILi128ELi4EZNS0_12_GLOBAL__N_142type_specialized_broadcast_kernel_launcherILi5EE5applyINS0_13BinaryFunctorIfffZZZNS2_32hermite_polynomial_h_kernel_cudaERNS_18TensorIteratorBaseEENKUlvE_clEvENKUlvE0_clEvEUlffE_EESt5arrayIPcLm3EESD_IN3c1010ScalarTypeELm3EE16OffsetCalculatorILi3EjLb0EEEEvlT_T0_T1_T2_EUlibE_EEviSN_
	.p2align	8
	.type	_ZN2at6native32elementwise_kernel_manual_unrollILi128ELi4EZNS0_12_GLOBAL__N_142type_specialized_broadcast_kernel_launcherILi5EE5applyINS0_13BinaryFunctorIfffZZZNS2_32hermite_polynomial_h_kernel_cudaERNS_18TensorIteratorBaseEENKUlvE_clEvENKUlvE0_clEvEUlffE_EESt5arrayIPcLm3EESD_IN3c1010ScalarTypeELm3EE16OffsetCalculatorILi3EjLb0EEEEvlT_T0_T1_T2_EUlibE_EEviSN_,@function
_ZN2at6native32elementwise_kernel_manual_unrollILi128ELi4EZNS0_12_GLOBAL__N_142type_specialized_broadcast_kernel_launcherILi5EE5applyINS0_13BinaryFunctorIfffZZZNS2_32hermite_polynomial_h_kernel_cudaERNS_18TensorIteratorBaseEENKUlvE_clEvENKUlvE0_clEvEUlffE_EESt5arrayIPcLm3EESD_IN3c1010ScalarTypeELm3EE16OffsetCalculatorILi3EjLb0EEEEvlT_T0_T1_T2_EUlibE_EEviSN_: ; @_ZN2at6native32elementwise_kernel_manual_unrollILi128ELi4EZNS0_12_GLOBAL__N_142type_specialized_broadcast_kernel_launcherILi5EE5applyINS0_13BinaryFunctorIfffZZZNS2_32hermite_polynomial_h_kernel_cudaERNS_18TensorIteratorBaseEENKUlvE_clEvENKUlvE0_clEvEUlffE_EESt5arrayIPcLm3EESD_IN3c1010ScalarTypeELm3EE16OffsetCalculatorILi3EjLb0EEEEvlT_T0_T1_T2_EUlibE_EEviSN_
; %bb.0:
	s_clause 0x1
	s_load_b32 s22, s[0:1], 0x8
	s_load_b32 s28, s[0:1], 0x0
	v_lshl_or_b32 v7, s15, 9, v0
	s_or_b32 s0, s0, 8
	s_mov_b32 s8, 0
                                        ; implicit-def: $vgpr3_vgpr4
                                        ; implicit-def: $vgpr8
	s_mov_b32 s2, exec_lo
	s_delay_alu instid0(VALU_DEP_1) | instskip(SKIP_2) | instid1(SALU_CYCLE_1)
	v_or_b32_e32 v12, 0x180, v7
	s_waitcnt lgkmcnt(0)
	s_add_i32 s23, s22, -1
	s_cmp_gt_u32 s23, 1
	s_cselect_b32 s24, -1, 0
	v_cmpx_le_i32_e64 s28, v12
	s_xor_b32 s25, exec_lo, s2
	s_cbranch_execnz .LBB72_4
; %bb.1:
	s_and_not1_saveexec_b32 s9, s25
	s_cbranch_execnz .LBB72_101
.LBB72_2:
	s_or_b32 exec_lo, exec_lo, s9
	s_and_saveexec_b32 s0, s8
	s_cbranch_execnz .LBB72_190
.LBB72_3:
	s_nop 0
	s_sendmsg sendmsg(MSG_DEALLOC_VGPRS)
	s_endpgm
.LBB72_4:
	s_clause 0x5
	s_load_b128 s[12:15], s[0:1], 0x4
	s_load_b64 s[18:19], s[0:1], 0x14
	s_load_b128 s[8:11], s[0:1], 0xc4
	s_load_b64 s[16:17], s[0:1], 0xd4
	s_load_b64 s[2:3], s[0:1], 0x198
	s_load_b128 s[4:7], s[0:1], 0x188
	s_cmp_lg_u32 s22, 0
	s_mov_b32 s30, exec_lo
	s_cselect_b32 s29, -1, 0
	s_min_u32 s27, s23, 15
	s_cmp_gt_u32 s22, 1
	s_cselect_b32 s26, -1, 0
	v_cmpx_gt_i32_e64 s28, v7
	s_cbranch_execnz .LBB72_7
; %bb.5:
	s_or_b32 exec_lo, exec_lo, s30
	s_delay_alu instid0(SALU_CYCLE_1)
	s_mov_b32 s30, exec_lo
	v_cmpx_gt_i32_e64 s28, v7
	s_cbranch_execnz .LBB72_30
.LBB72_6:
	s_or_b32 exec_lo, exec_lo, s30
	s_delay_alu instid0(SALU_CYCLE_1)
	s_mov_b32 s30, exec_lo
	v_cmpx_gt_i32_e64 s28, v7
	s_cbranch_execnz .LBB72_53
	s_branch .LBB72_76
.LBB72_7:
	s_and_not1_b32 vcc_lo, exec_lo, s24
	s_cbranch_vccnz .LBB72_13
; %bb.8:
	v_dual_mov_b32 v0, 0 :: v_dual_mov_b32 v1, 0
	v_mov_b32_e32 v2, 0
	s_and_not1_b32 vcc_lo, exec_lo, s29
	s_mov_b32 s31, 0
	s_cbranch_vccnz .LBB72_14
; %bb.9:
	s_add_i32 s20, s27, 1
	v_dual_mov_b32 v2, 0 :: v_dual_mov_b32 v1, 0
	v_dual_mov_b32 v0, 0 :: v_dual_mov_b32 v3, v7
	s_and_b32 s33, s20, 30
	s_add_u32 s20, s0, 0xffffffec
	s_addc_u32 s21, s1, -1
	s_set_inst_prefetch_distance 0x1
	.p2align	6
.LBB72_10:                              ; =>This Inner Loop Header: Depth=1
	s_clause 0x2
	s_load_b128 s[36:39], s[20:21], 0x18
	s_load_b64 s[34:35], s[20:21], 0x28
	s_load_b128 s[40:43], s[20:21], 0xd8
	s_waitcnt lgkmcnt(0)
	v_mul_hi_u32 v4, s37, v3
	s_delay_alu instid0(VALU_DEP_1) | instskip(NEXT) | instid1(VALU_DEP_1)
	v_add_nc_u32_e32 v4, v3, v4
	v_lshrrev_b32_e32 v4, s38, v4
	s_delay_alu instid0(VALU_DEP_1)
	v_mul_hi_u32 v5, s34, v4
	v_mul_lo_u32 v6, v4, s36
	s_load_b64 s[36:37], s[20:21], 0xe8
	s_add_u32 s20, s20, 24
	s_addc_u32 s21, s21, 0
	s_add_i32 s33, s33, -2
	s_delay_alu instid0(SALU_CYCLE_1) | instskip(NEXT) | instid1(VALU_DEP_2)
	s_cmp_lg_u32 s33, 0
	v_add_nc_u32_e32 v5, v4, v5
	s_delay_alu instid0(VALU_DEP_2) | instskip(NEXT) | instid1(VALU_DEP_2)
	v_sub_nc_u32_e32 v6, v3, v6
	v_lshrrev_b32_e32 v3, s35, v5
	s_delay_alu instid0(VALU_DEP_2) | instskip(NEXT) | instid1(VALU_DEP_2)
	v_mul_lo_u32 v8, v6, s40
	v_mul_lo_u32 v5, v3, s39
	s_delay_alu instid0(VALU_DEP_1) | instskip(SKIP_2) | instid1(VALU_DEP_3)
	v_sub_nc_u32_e32 v4, v4, v5
	v_mul_lo_u32 v5, v6, s41
	v_mul_lo_u32 v6, v6, s42
	;; [unrolled: 1-line block ×3, first 2 shown]
	s_waitcnt lgkmcnt(0)
	v_mul_lo_u32 v10, v4, s36
	v_mul_lo_u32 v4, v4, s37
	s_delay_alu instid0(VALU_DEP_3) | instskip(NEXT) | instid1(VALU_DEP_3)
	v_add3_u32 v0, v8, v0, v9
	v_add3_u32 v1, v5, v1, v10
	s_delay_alu instid0(VALU_DEP_3)
	v_add3_u32 v2, v6, v2, v4
	s_cbranch_scc1 .LBB72_10
; %bb.11:
	s_set_inst_prefetch_distance 0x2
	s_bitcmp1_b32 s27, 0
	s_cselect_b32 s33, -1, 0
	s_delay_alu instid0(SALU_CYCLE_1)
	s_and_b32 vcc_lo, exec_lo, s33
	s_cbranch_vccnz .LBB72_14
; %bb.12:
	s_clause 0x3
	s_load_b64 s[34:35], s[20:21], 0x18
	s_load_b32 s33, s[20:21], 0x20
	s_load_b64 s[36:37], s[20:21], 0xd8
	s_load_b32 s20, s[20:21], 0xe0
	s_waitcnt lgkmcnt(0)
	v_mul_hi_u32 v4, s35, v3
	s_delay_alu instid0(VALU_DEP_1) | instskip(NEXT) | instid1(VALU_DEP_1)
	v_add_nc_u32_e32 v4, v3, v4
	v_lshrrev_b32_e32 v4, s33, v4
	s_delay_alu instid0(VALU_DEP_1) | instskip(NEXT) | instid1(VALU_DEP_1)
	v_mul_lo_u32 v4, v4, s34
	v_sub_nc_u32_e32 v8, v3, v4
	s_delay_alu instid0(VALU_DEP_1) | instskip(SKIP_1) | instid1(VALU_DEP_2)
	v_mad_u64_u32 v[3:4], null, v8, s36, v[0:1]
	v_mad_u64_u32 v[4:5], null, v8, s37, v[1:2]
	;; [unrolled: 1-line block ×3, first 2 shown]
	s_delay_alu instid0(VALU_DEP_2) | instskip(NEXT) | instid1(VALU_DEP_2)
	v_dual_mov_b32 v0, v3 :: v_dual_mov_b32 v1, v4
	v_mov_b32_e32 v2, v5
	s_branch .LBB72_14
.LBB72_13:
	s_mov_b32 s31, -1
                                        ; implicit-def: $vgpr0
                                        ; implicit-def: $vgpr1
                                        ; implicit-def: $vgpr2
.LBB72_14:
	s_delay_alu instid0(SALU_CYCLE_1)
	s_and_not1_b32 vcc_lo, exec_lo, s31
	s_cbranch_vccnz .LBB72_17
; %bb.15:
	s_waitcnt lgkmcnt(0)
	v_mul_hi_u32 v0, s13, v7
	s_and_not1_b32 vcc_lo, exec_lo, s26
	s_delay_alu instid0(VALU_DEP_1) | instskip(NEXT) | instid1(VALU_DEP_1)
	v_add_nc_u32_e32 v0, v7, v0
	v_lshrrev_b32_e32 v3, s14, v0
	s_delay_alu instid0(VALU_DEP_1) | instskip(NEXT) | instid1(VALU_DEP_1)
	v_mul_lo_u32 v0, v3, s12
	v_sub_nc_u32_e32 v2, v7, v0
	s_delay_alu instid0(VALU_DEP_1)
	v_mul_lo_u32 v0, v2, s8
	v_mul_lo_u32 v1, v2, s9
	;; [unrolled: 1-line block ×3, first 2 shown]
	s_cbranch_vccnz .LBB72_17
; %bb.16:
	v_mul_hi_u32 v4, s18, v3
	s_delay_alu instid0(VALU_DEP_1) | instskip(NEXT) | instid1(VALU_DEP_1)
	v_add_nc_u32_e32 v4, v3, v4
	v_lshrrev_b32_e32 v4, s19, v4
	s_delay_alu instid0(VALU_DEP_1) | instskip(NEXT) | instid1(VALU_DEP_1)
	v_mul_lo_u32 v4, v4, s15
	v_sub_nc_u32_e32 v8, v3, v4
	s_delay_alu instid0(VALU_DEP_1) | instskip(SKIP_1) | instid1(VALU_DEP_2)
	v_mad_u64_u32 v[3:4], null, v8, s11, v[0:1]
	v_mad_u64_u32 v[4:5], null, v8, s16, v[1:2]
	;; [unrolled: 1-line block ×3, first 2 shown]
	s_delay_alu instid0(VALU_DEP_2) | instskip(NEXT) | instid1(VALU_DEP_2)
	v_dual_mov_b32 v0, v3 :: v_dual_mov_b32 v1, v4
	v_mov_b32_e32 v2, v5
.LBB72_17:
	s_waitcnt lgkmcnt(0)
	global_load_b32 v2, v2, s[2:3]
	s_mov_b32 s31, exec_lo
	s_waitcnt vmcnt(0)
	v_trunc_f32_e32 v3, v2
	s_delay_alu instid0(VALU_DEP_1) | instskip(NEXT) | instid1(VALU_DEP_1)
	v_mul_f32_e64 v4, 0x2f800000, |v3|
	v_floor_f32_e32 v4, v4
	s_delay_alu instid0(VALU_DEP_1) | instskip(SKIP_2) | instid1(VALU_DEP_3)
	v_fma_f32 v5, 0xcf800000, v4, |v3|
	v_ashrrev_i32_e32 v3, 31, v3
	v_cvt_u32_f32_e32 v4, v4
	v_cvt_u32_f32_e32 v5, v5
	s_delay_alu instid0(VALU_DEP_2) | instskip(NEXT) | instid1(VALU_DEP_2)
	v_xor_b32_e32 v4, v4, v3
	v_xor_b32_e32 v5, v5, v3
	s_delay_alu instid0(VALU_DEP_1) | instskip(NEXT) | instid1(VALU_DEP_3)
	v_sub_co_u32 v5, vcc_lo, v5, v3
	v_sub_co_ci_u32_e32 v3, vcc_lo, v4, v3, vcc_lo
	v_cmp_class_f32_e64 vcc_lo, v2, 0x1f8
	s_delay_alu instid0(VALU_DEP_2) | instskip(NEXT) | instid1(VALU_DEP_4)
	v_dual_mov_b32 v4, 0 :: v_dual_cndmask_b32 v3, -1, v3
	v_cndmask_b32_e32 v2, -1, v5, vcc_lo
	s_delay_alu instid0(VALU_DEP_1)
	v_cmpx_lt_i64_e32 -1, v[2:3]
	s_cbranch_execz .LBB72_29
; %bb.18:
	v_mov_b32_e32 v4, 1.0
	s_mov_b32 s33, exec_lo
	v_cmpx_lt_i64_e32 0, v[2:3]
	s_cbranch_execz .LBB72_28
; %bb.19:
	global_load_u16 v1, v1, s[6:7]
                                        ; implicit-def: $vgpr4
	s_mov_b32 s20, exec_lo
	s_waitcnt vmcnt(0)
	v_cvt_f32_f16_e32 v1, v1
	v_cmpx_ne_u64_e32 1, v[2:3]
	s_xor_b32 s34, exec_lo, s20
	s_cbranch_execz .LBB72_25
; %bb.20:
	v_mov_b32_e32 v4, 0x7fc00000
	s_mov_b32 s35, exec_lo
	v_cmpx_gt_u64_e32 0x81, v[2:3]
	s_cbranch_execz .LBB72_24
; %bb.21:
	v_add_f32_e32 v5, v1, v1
	v_lshlrev_b64 v[1:2], 1, v[2:3]
	v_mov_b32_e32 v3, 1.0
	s_mov_b64 s[20:21], 2
	s_mov_b32 s36, 0
	v_mov_b32_e32 v4, v5
	.p2align	6
.LBB72_22:                              ; =>This Inner Loop Header: Depth=1
	s_clz_i32_u32 s37, s21
	s_delay_alu instid0(SALU_CYCLE_1) | instskip(NEXT) | instid1(SALU_CYCLE_1)
	s_min_u32 s37, s37, 32
	s_lshl_b64 s[38:39], s[20:21], s37
	s_sub_i32 s37, 32, s37
	s_min_u32 s38, s38, 1
	s_delay_alu instid0(SALU_CYCLE_1) | instskip(SKIP_3) | instid1(SALU_CYCLE_1)
	s_or_b32 s38, s39, s38
	s_add_u32 s20, s20, 2
	v_cvt_f32_u32_e32 v6, s38
	s_addc_u32 s21, s21, 0
	v_cmp_ge_u64_e32 vcc_lo, s[20:21], v[1:2]
	s_delay_alu instid0(VALU_DEP_2) | instskip(SKIP_1) | instid1(VALU_DEP_1)
	v_ldexp_f32 v6, v6, s37
	s_or_b32 s36, vcc_lo, s36
	v_dual_mul_f32 v6, v3, v6 :: v_dual_mov_b32 v3, v4
	s_delay_alu instid0(VALU_DEP_1)
	v_fma_f32 v4, v5, v4, -v6
	s_and_not1_b32 exec_lo, exec_lo, s36
	s_cbranch_execnz .LBB72_22
; %bb.23:
	s_or_b32 exec_lo, exec_lo, s36
.LBB72_24:
	s_delay_alu instid0(SALU_CYCLE_1)
	s_or_b32 exec_lo, exec_lo, s35
                                        ; implicit-def: $vgpr1
.LBB72_25:
	s_and_not1_saveexec_b32 s20, s34
; %bb.26:
	v_add_f32_e32 v4, v1, v1
; %bb.27:
	s_or_b32 exec_lo, exec_lo, s20
.LBB72_28:
	s_delay_alu instid0(SALU_CYCLE_1)
	s_or_b32 exec_lo, exec_lo, s33
.LBB72_29:
	s_delay_alu instid0(SALU_CYCLE_1) | instskip(NEXT) | instid1(VALU_DEP_1)
	s_or_b32 exec_lo, exec_lo, s31
	v_cvt_f16_f32_e32 v1, v4
	v_add_nc_u32_e32 v7, 0x80, v7
	global_store_b16 v0, v1, s[4:5]
	s_or_b32 exec_lo, exec_lo, s30
	s_delay_alu instid0(SALU_CYCLE_1)
	s_mov_b32 s30, exec_lo
	v_cmpx_gt_i32_e64 s28, v7
	s_cbranch_execz .LBB72_6
.LBB72_30:
	s_and_not1_b32 vcc_lo, exec_lo, s24
	s_cbranch_vccnz .LBB72_36
; %bb.31:
	v_dual_mov_b32 v0, 0 :: v_dual_mov_b32 v1, 0
	v_mov_b32_e32 v2, 0
	s_and_not1_b32 vcc_lo, exec_lo, s29
	s_mov_b32 s31, 0
	s_cbranch_vccnz .LBB72_37
; %bb.32:
	s_add_i32 s20, s27, 1
	v_dual_mov_b32 v2, 0 :: v_dual_mov_b32 v1, 0
	v_dual_mov_b32 v0, 0 :: v_dual_mov_b32 v3, v7
	s_and_b32 s33, s20, 30
	s_add_u32 s20, s0, 0xffffffec
	s_addc_u32 s21, s1, -1
	s_set_inst_prefetch_distance 0x1
	.p2align	6
.LBB72_33:                              ; =>This Inner Loop Header: Depth=1
	s_clause 0x2
	s_load_b128 s[36:39], s[20:21], 0x18
	s_load_b64 s[34:35], s[20:21], 0x28
	s_load_b128 s[40:43], s[20:21], 0xd8
	s_waitcnt lgkmcnt(0)
	v_mul_hi_u32 v4, s37, v3
	s_delay_alu instid0(VALU_DEP_1) | instskip(NEXT) | instid1(VALU_DEP_1)
	v_add_nc_u32_e32 v4, v3, v4
	v_lshrrev_b32_e32 v4, s38, v4
	s_delay_alu instid0(VALU_DEP_1)
	v_mul_hi_u32 v5, s34, v4
	v_mul_lo_u32 v6, v4, s36
	s_load_b64 s[36:37], s[20:21], 0xe8
	s_add_u32 s20, s20, 24
	s_addc_u32 s21, s21, 0
	s_add_i32 s33, s33, -2
	s_delay_alu instid0(SALU_CYCLE_1) | instskip(NEXT) | instid1(VALU_DEP_2)
	s_cmp_eq_u32 s33, 0
	v_add_nc_u32_e32 v5, v4, v5
	s_delay_alu instid0(VALU_DEP_2) | instskip(NEXT) | instid1(VALU_DEP_2)
	v_sub_nc_u32_e32 v6, v3, v6
	v_lshrrev_b32_e32 v3, s35, v5
	s_delay_alu instid0(VALU_DEP_2) | instskip(NEXT) | instid1(VALU_DEP_2)
	v_mul_lo_u32 v8, v6, s40
	v_mul_lo_u32 v5, v3, s39
	s_delay_alu instid0(VALU_DEP_1) | instskip(SKIP_2) | instid1(VALU_DEP_3)
	v_sub_nc_u32_e32 v4, v4, v5
	v_mul_lo_u32 v5, v6, s41
	v_mul_lo_u32 v6, v6, s42
	;; [unrolled: 1-line block ×3, first 2 shown]
	s_waitcnt lgkmcnt(0)
	v_mul_lo_u32 v10, v4, s36
	v_mul_lo_u32 v4, v4, s37
	s_delay_alu instid0(VALU_DEP_3) | instskip(NEXT) | instid1(VALU_DEP_3)
	v_add3_u32 v0, v8, v0, v9
	v_add3_u32 v1, v5, v1, v10
	s_delay_alu instid0(VALU_DEP_3)
	v_add3_u32 v2, v6, v2, v4
	s_cbranch_scc0 .LBB72_33
; %bb.34:
	s_set_inst_prefetch_distance 0x2
	s_bitcmp1_b32 s27, 0
	s_cselect_b32 s33, -1, 0
	s_delay_alu instid0(SALU_CYCLE_1)
	s_and_b32 vcc_lo, exec_lo, s33
	s_cbranch_vccnz .LBB72_37
; %bb.35:
	s_clause 0x3
	s_load_b64 s[34:35], s[20:21], 0x18
	s_load_b32 s33, s[20:21], 0x20
	s_load_b64 s[36:37], s[20:21], 0xd8
	s_load_b32 s20, s[20:21], 0xe0
	s_waitcnt lgkmcnt(0)
	v_mul_hi_u32 v4, s35, v3
	s_delay_alu instid0(VALU_DEP_1) | instskip(NEXT) | instid1(VALU_DEP_1)
	v_add_nc_u32_e32 v4, v3, v4
	v_lshrrev_b32_e32 v4, s33, v4
	s_delay_alu instid0(VALU_DEP_1) | instskip(NEXT) | instid1(VALU_DEP_1)
	v_mul_lo_u32 v4, v4, s34
	v_sub_nc_u32_e32 v8, v3, v4
	s_delay_alu instid0(VALU_DEP_1) | instskip(SKIP_1) | instid1(VALU_DEP_2)
	v_mad_u64_u32 v[3:4], null, v8, s36, v[0:1]
	v_mad_u64_u32 v[4:5], null, v8, s37, v[1:2]
	;; [unrolled: 1-line block ×3, first 2 shown]
	s_delay_alu instid0(VALU_DEP_2) | instskip(NEXT) | instid1(VALU_DEP_2)
	v_dual_mov_b32 v0, v3 :: v_dual_mov_b32 v1, v4
	v_mov_b32_e32 v2, v5
	s_branch .LBB72_37
.LBB72_36:
	s_mov_b32 s31, -1
                                        ; implicit-def: $vgpr0
                                        ; implicit-def: $vgpr1
                                        ; implicit-def: $vgpr2
.LBB72_37:
	s_delay_alu instid0(SALU_CYCLE_1)
	s_and_not1_b32 vcc_lo, exec_lo, s31
	s_cbranch_vccnz .LBB72_40
; %bb.38:
	s_waitcnt lgkmcnt(0)
	v_mul_hi_u32 v0, s13, v7
	s_and_not1_b32 vcc_lo, exec_lo, s26
	s_delay_alu instid0(VALU_DEP_1) | instskip(NEXT) | instid1(VALU_DEP_1)
	v_add_nc_u32_e32 v0, v7, v0
	v_lshrrev_b32_e32 v3, s14, v0
	s_delay_alu instid0(VALU_DEP_1) | instskip(NEXT) | instid1(VALU_DEP_1)
	v_mul_lo_u32 v0, v3, s12
	v_sub_nc_u32_e32 v2, v7, v0
	s_delay_alu instid0(VALU_DEP_1)
	v_mul_lo_u32 v0, v2, s8
	v_mul_lo_u32 v1, v2, s9
	;; [unrolled: 1-line block ×3, first 2 shown]
	s_cbranch_vccnz .LBB72_40
; %bb.39:
	v_mul_hi_u32 v4, s18, v3
	s_delay_alu instid0(VALU_DEP_1) | instskip(NEXT) | instid1(VALU_DEP_1)
	v_add_nc_u32_e32 v4, v3, v4
	v_lshrrev_b32_e32 v4, s19, v4
	s_delay_alu instid0(VALU_DEP_1) | instskip(NEXT) | instid1(VALU_DEP_1)
	v_mul_lo_u32 v4, v4, s15
	v_sub_nc_u32_e32 v8, v3, v4
	s_delay_alu instid0(VALU_DEP_1) | instskip(SKIP_1) | instid1(VALU_DEP_2)
	v_mad_u64_u32 v[3:4], null, v8, s11, v[0:1]
	v_mad_u64_u32 v[4:5], null, v8, s16, v[1:2]
	;; [unrolled: 1-line block ×3, first 2 shown]
	s_delay_alu instid0(VALU_DEP_2) | instskip(NEXT) | instid1(VALU_DEP_2)
	v_dual_mov_b32 v0, v3 :: v_dual_mov_b32 v1, v4
	v_mov_b32_e32 v2, v5
.LBB72_40:
	s_waitcnt lgkmcnt(0)
	global_load_b32 v2, v2, s[2:3]
	s_mov_b32 s31, exec_lo
	s_waitcnt vmcnt(0)
	v_trunc_f32_e32 v3, v2
	s_delay_alu instid0(VALU_DEP_1) | instskip(NEXT) | instid1(VALU_DEP_1)
	v_mul_f32_e64 v4, 0x2f800000, |v3|
	v_floor_f32_e32 v4, v4
	s_delay_alu instid0(VALU_DEP_1) | instskip(SKIP_2) | instid1(VALU_DEP_3)
	v_fma_f32 v5, 0xcf800000, v4, |v3|
	v_ashrrev_i32_e32 v3, 31, v3
	v_cvt_u32_f32_e32 v4, v4
	v_cvt_u32_f32_e32 v5, v5
	s_delay_alu instid0(VALU_DEP_2) | instskip(NEXT) | instid1(VALU_DEP_2)
	v_xor_b32_e32 v4, v4, v3
	v_xor_b32_e32 v5, v5, v3
	s_delay_alu instid0(VALU_DEP_1) | instskip(NEXT) | instid1(VALU_DEP_3)
	v_sub_co_u32 v5, vcc_lo, v5, v3
	v_sub_co_ci_u32_e32 v3, vcc_lo, v4, v3, vcc_lo
	v_cmp_class_f32_e64 vcc_lo, v2, 0x1f8
	s_delay_alu instid0(VALU_DEP_2) | instskip(NEXT) | instid1(VALU_DEP_4)
	v_dual_mov_b32 v4, 0 :: v_dual_cndmask_b32 v3, -1, v3
	v_cndmask_b32_e32 v2, -1, v5, vcc_lo
	s_delay_alu instid0(VALU_DEP_1)
	v_cmpx_lt_i64_e32 -1, v[2:3]
	s_cbranch_execz .LBB72_52
; %bb.41:
	v_mov_b32_e32 v4, 1.0
	s_mov_b32 s33, exec_lo
	v_cmpx_lt_i64_e32 0, v[2:3]
	s_cbranch_execz .LBB72_51
; %bb.42:
	global_load_u16 v1, v1, s[6:7]
                                        ; implicit-def: $vgpr4
	s_mov_b32 s20, exec_lo
	s_waitcnt vmcnt(0)
	v_cvt_f32_f16_e32 v1, v1
	v_cmpx_ne_u64_e32 1, v[2:3]
	s_xor_b32 s34, exec_lo, s20
	s_cbranch_execz .LBB72_48
; %bb.43:
	v_mov_b32_e32 v4, 0x7fc00000
	s_mov_b32 s35, exec_lo
	v_cmpx_gt_u64_e32 0x81, v[2:3]
	s_cbranch_execz .LBB72_47
; %bb.44:
	v_add_f32_e32 v5, v1, v1
	v_lshlrev_b64 v[1:2], 1, v[2:3]
	v_mov_b32_e32 v3, 1.0
	s_mov_b64 s[20:21], 2
	s_mov_b32 s36, 0
	v_mov_b32_e32 v4, v5
	.p2align	6
.LBB72_45:                              ; =>This Inner Loop Header: Depth=1
	s_clz_i32_u32 s37, s21
	s_delay_alu instid0(SALU_CYCLE_1) | instskip(NEXT) | instid1(SALU_CYCLE_1)
	s_min_u32 s37, s37, 32
	s_lshl_b64 s[38:39], s[20:21], s37
	s_sub_i32 s37, 32, s37
	s_min_u32 s38, s38, 1
	s_delay_alu instid0(SALU_CYCLE_1) | instskip(SKIP_3) | instid1(SALU_CYCLE_1)
	s_or_b32 s38, s39, s38
	s_add_u32 s20, s20, 2
	v_cvt_f32_u32_e32 v6, s38
	s_addc_u32 s21, s21, 0
	v_cmp_ge_u64_e32 vcc_lo, s[20:21], v[1:2]
	s_delay_alu instid0(VALU_DEP_2) | instskip(SKIP_1) | instid1(VALU_DEP_1)
	v_ldexp_f32 v6, v6, s37
	s_or_b32 s36, vcc_lo, s36
	v_dual_mul_f32 v6, v3, v6 :: v_dual_mov_b32 v3, v4
	s_delay_alu instid0(VALU_DEP_1)
	v_fma_f32 v4, v5, v4, -v6
	s_and_not1_b32 exec_lo, exec_lo, s36
	s_cbranch_execnz .LBB72_45
; %bb.46:
	s_or_b32 exec_lo, exec_lo, s36
.LBB72_47:
	s_delay_alu instid0(SALU_CYCLE_1)
	s_or_b32 exec_lo, exec_lo, s35
                                        ; implicit-def: $vgpr1
.LBB72_48:
	s_and_not1_saveexec_b32 s20, s34
; %bb.49:
	v_add_f32_e32 v4, v1, v1
; %bb.50:
	s_or_b32 exec_lo, exec_lo, s20
.LBB72_51:
	s_delay_alu instid0(SALU_CYCLE_1)
	s_or_b32 exec_lo, exec_lo, s33
.LBB72_52:
	s_delay_alu instid0(SALU_CYCLE_1) | instskip(NEXT) | instid1(VALU_DEP_1)
	s_or_b32 exec_lo, exec_lo, s31
	v_cvt_f16_f32_e32 v1, v4
	v_add_nc_u32_e32 v7, 0x80, v7
	global_store_b16 v0, v1, s[4:5]
	s_or_b32 exec_lo, exec_lo, s30
	s_delay_alu instid0(SALU_CYCLE_1)
	s_mov_b32 s30, exec_lo
	v_cmpx_gt_i32_e64 s28, v7
	s_cbranch_execz .LBB72_76
.LBB72_53:
	s_and_not1_b32 vcc_lo, exec_lo, s24
	s_cbranch_vccnz .LBB72_59
; %bb.54:
	v_dual_mov_b32 v0, 0 :: v_dual_mov_b32 v1, 0
	v_mov_b32_e32 v2, 0
	s_and_not1_b32 vcc_lo, exec_lo, s29
	s_mov_b32 s31, 0
	s_cbranch_vccnz .LBB72_60
; %bb.55:
	s_add_i32 s20, s27, 1
	v_dual_mov_b32 v2, 0 :: v_dual_mov_b32 v1, 0
	v_dual_mov_b32 v0, 0 :: v_dual_mov_b32 v3, v7
	s_and_b32 s33, s20, 30
	s_add_u32 s20, s0, 0xffffffec
	s_addc_u32 s21, s1, -1
	s_set_inst_prefetch_distance 0x1
	.p2align	6
.LBB72_56:                              ; =>This Inner Loop Header: Depth=1
	s_clause 0x2
	s_load_b128 s[36:39], s[20:21], 0x18
	s_load_b64 s[34:35], s[20:21], 0x28
	s_load_b128 s[40:43], s[20:21], 0xd8
	s_waitcnt lgkmcnt(0)
	v_mul_hi_u32 v4, s37, v3
	s_delay_alu instid0(VALU_DEP_1) | instskip(NEXT) | instid1(VALU_DEP_1)
	v_add_nc_u32_e32 v4, v3, v4
	v_lshrrev_b32_e32 v4, s38, v4
	s_delay_alu instid0(VALU_DEP_1)
	v_mul_hi_u32 v5, s34, v4
	v_mul_lo_u32 v6, v4, s36
	s_load_b64 s[36:37], s[20:21], 0xe8
	s_add_u32 s20, s20, 24
	s_addc_u32 s21, s21, 0
	s_add_i32 s33, s33, -2
	s_delay_alu instid0(SALU_CYCLE_1) | instskip(NEXT) | instid1(VALU_DEP_2)
	s_cmp_eq_u32 s33, 0
	v_add_nc_u32_e32 v5, v4, v5
	s_delay_alu instid0(VALU_DEP_2) | instskip(NEXT) | instid1(VALU_DEP_2)
	v_sub_nc_u32_e32 v6, v3, v6
	v_lshrrev_b32_e32 v3, s35, v5
	s_delay_alu instid0(VALU_DEP_2) | instskip(NEXT) | instid1(VALU_DEP_2)
	v_mul_lo_u32 v8, v6, s40
	v_mul_lo_u32 v5, v3, s39
	s_delay_alu instid0(VALU_DEP_1) | instskip(SKIP_2) | instid1(VALU_DEP_3)
	v_sub_nc_u32_e32 v4, v4, v5
	v_mul_lo_u32 v5, v6, s41
	v_mul_lo_u32 v6, v6, s42
	;; [unrolled: 1-line block ×3, first 2 shown]
	s_waitcnt lgkmcnt(0)
	v_mul_lo_u32 v10, v4, s36
	v_mul_lo_u32 v4, v4, s37
	s_delay_alu instid0(VALU_DEP_3) | instskip(NEXT) | instid1(VALU_DEP_3)
	v_add3_u32 v0, v8, v0, v9
	v_add3_u32 v1, v5, v1, v10
	s_delay_alu instid0(VALU_DEP_3)
	v_add3_u32 v2, v6, v2, v4
	s_cbranch_scc0 .LBB72_56
; %bb.57:
	s_set_inst_prefetch_distance 0x2
	s_bitcmp1_b32 s27, 0
	s_cselect_b32 s33, -1, 0
	s_delay_alu instid0(SALU_CYCLE_1)
	s_and_b32 vcc_lo, exec_lo, s33
	s_cbranch_vccnz .LBB72_60
; %bb.58:
	s_clause 0x3
	s_load_b64 s[34:35], s[20:21], 0x18
	s_load_b32 s33, s[20:21], 0x20
	s_load_b64 s[36:37], s[20:21], 0xd8
	s_load_b32 s20, s[20:21], 0xe0
	s_waitcnt lgkmcnt(0)
	v_mul_hi_u32 v4, s35, v3
	s_delay_alu instid0(VALU_DEP_1) | instskip(NEXT) | instid1(VALU_DEP_1)
	v_add_nc_u32_e32 v4, v3, v4
	v_lshrrev_b32_e32 v4, s33, v4
	s_delay_alu instid0(VALU_DEP_1) | instskip(NEXT) | instid1(VALU_DEP_1)
	v_mul_lo_u32 v4, v4, s34
	v_sub_nc_u32_e32 v8, v3, v4
	s_delay_alu instid0(VALU_DEP_1) | instskip(SKIP_1) | instid1(VALU_DEP_2)
	v_mad_u64_u32 v[3:4], null, v8, s36, v[0:1]
	v_mad_u64_u32 v[4:5], null, v8, s37, v[1:2]
	;; [unrolled: 1-line block ×3, first 2 shown]
	s_delay_alu instid0(VALU_DEP_2) | instskip(NEXT) | instid1(VALU_DEP_2)
	v_dual_mov_b32 v0, v3 :: v_dual_mov_b32 v1, v4
	v_mov_b32_e32 v2, v5
	s_branch .LBB72_60
.LBB72_59:
	s_mov_b32 s31, -1
                                        ; implicit-def: $vgpr0
                                        ; implicit-def: $vgpr1
                                        ; implicit-def: $vgpr2
.LBB72_60:
	s_delay_alu instid0(SALU_CYCLE_1)
	s_and_not1_b32 vcc_lo, exec_lo, s31
	s_cbranch_vccnz .LBB72_63
; %bb.61:
	s_waitcnt lgkmcnt(0)
	v_mul_hi_u32 v0, s13, v7
	s_and_not1_b32 vcc_lo, exec_lo, s26
	s_delay_alu instid0(VALU_DEP_1) | instskip(NEXT) | instid1(VALU_DEP_1)
	v_add_nc_u32_e32 v0, v7, v0
	v_lshrrev_b32_e32 v3, s14, v0
	s_delay_alu instid0(VALU_DEP_1) | instskip(NEXT) | instid1(VALU_DEP_1)
	v_mul_lo_u32 v0, v3, s12
	v_sub_nc_u32_e32 v2, v7, v0
	s_delay_alu instid0(VALU_DEP_1)
	v_mul_lo_u32 v0, v2, s8
	v_mul_lo_u32 v1, v2, s9
	;; [unrolled: 1-line block ×3, first 2 shown]
	s_cbranch_vccnz .LBB72_63
; %bb.62:
	v_mul_hi_u32 v4, s18, v3
	s_delay_alu instid0(VALU_DEP_1) | instskip(NEXT) | instid1(VALU_DEP_1)
	v_add_nc_u32_e32 v4, v3, v4
	v_lshrrev_b32_e32 v4, s19, v4
	s_delay_alu instid0(VALU_DEP_1) | instskip(NEXT) | instid1(VALU_DEP_1)
	v_mul_lo_u32 v4, v4, s15
	v_sub_nc_u32_e32 v8, v3, v4
	s_delay_alu instid0(VALU_DEP_1) | instskip(SKIP_1) | instid1(VALU_DEP_2)
	v_mad_u64_u32 v[3:4], null, v8, s11, v[0:1]
	v_mad_u64_u32 v[4:5], null, v8, s16, v[1:2]
	;; [unrolled: 1-line block ×3, first 2 shown]
	s_delay_alu instid0(VALU_DEP_2) | instskip(NEXT) | instid1(VALU_DEP_2)
	v_dual_mov_b32 v0, v3 :: v_dual_mov_b32 v1, v4
	v_mov_b32_e32 v2, v5
.LBB72_63:
	s_waitcnt lgkmcnt(0)
	global_load_b32 v2, v2, s[2:3]
	s_mov_b32 s31, exec_lo
	s_waitcnt vmcnt(0)
	v_trunc_f32_e32 v3, v2
	s_delay_alu instid0(VALU_DEP_1) | instskip(NEXT) | instid1(VALU_DEP_1)
	v_mul_f32_e64 v4, 0x2f800000, |v3|
	v_floor_f32_e32 v4, v4
	s_delay_alu instid0(VALU_DEP_1) | instskip(SKIP_2) | instid1(VALU_DEP_3)
	v_fma_f32 v5, 0xcf800000, v4, |v3|
	v_ashrrev_i32_e32 v3, 31, v3
	v_cvt_u32_f32_e32 v4, v4
	v_cvt_u32_f32_e32 v5, v5
	s_delay_alu instid0(VALU_DEP_2) | instskip(NEXT) | instid1(VALU_DEP_2)
	v_xor_b32_e32 v4, v4, v3
	v_xor_b32_e32 v5, v5, v3
	s_delay_alu instid0(VALU_DEP_1) | instskip(NEXT) | instid1(VALU_DEP_3)
	v_sub_co_u32 v5, vcc_lo, v5, v3
	v_sub_co_ci_u32_e32 v3, vcc_lo, v4, v3, vcc_lo
	v_cmp_class_f32_e64 vcc_lo, v2, 0x1f8
	s_delay_alu instid0(VALU_DEP_2) | instskip(NEXT) | instid1(VALU_DEP_4)
	v_dual_mov_b32 v4, 0 :: v_dual_cndmask_b32 v3, -1, v3
	v_cndmask_b32_e32 v2, -1, v5, vcc_lo
	s_delay_alu instid0(VALU_DEP_1)
	v_cmpx_lt_i64_e32 -1, v[2:3]
	s_cbranch_execz .LBB72_75
; %bb.64:
	v_mov_b32_e32 v4, 1.0
	s_mov_b32 s33, exec_lo
	v_cmpx_lt_i64_e32 0, v[2:3]
	s_cbranch_execz .LBB72_74
; %bb.65:
	global_load_u16 v1, v1, s[6:7]
                                        ; implicit-def: $vgpr4
	s_mov_b32 s20, exec_lo
	s_waitcnt vmcnt(0)
	v_cvt_f32_f16_e32 v1, v1
	v_cmpx_ne_u64_e32 1, v[2:3]
	s_xor_b32 s34, exec_lo, s20
	s_cbranch_execz .LBB72_71
; %bb.66:
	v_mov_b32_e32 v4, 0x7fc00000
	s_mov_b32 s35, exec_lo
	v_cmpx_gt_u64_e32 0x81, v[2:3]
	s_cbranch_execz .LBB72_70
; %bb.67:
	v_add_f32_e32 v5, v1, v1
	v_lshlrev_b64 v[1:2], 1, v[2:3]
	v_mov_b32_e32 v3, 1.0
	s_mov_b64 s[20:21], 2
	s_mov_b32 s36, 0
	v_mov_b32_e32 v4, v5
	.p2align	6
.LBB72_68:                              ; =>This Inner Loop Header: Depth=1
	s_clz_i32_u32 s37, s21
	s_delay_alu instid0(SALU_CYCLE_1) | instskip(NEXT) | instid1(SALU_CYCLE_1)
	s_min_u32 s37, s37, 32
	s_lshl_b64 s[38:39], s[20:21], s37
	s_sub_i32 s37, 32, s37
	s_min_u32 s38, s38, 1
	s_delay_alu instid0(SALU_CYCLE_1) | instskip(SKIP_3) | instid1(SALU_CYCLE_1)
	s_or_b32 s38, s39, s38
	s_add_u32 s20, s20, 2
	v_cvt_f32_u32_e32 v6, s38
	s_addc_u32 s21, s21, 0
	v_cmp_ge_u64_e32 vcc_lo, s[20:21], v[1:2]
	s_delay_alu instid0(VALU_DEP_2) | instskip(SKIP_1) | instid1(VALU_DEP_1)
	v_ldexp_f32 v6, v6, s37
	s_or_b32 s36, vcc_lo, s36
	v_dual_mul_f32 v6, v3, v6 :: v_dual_mov_b32 v3, v4
	s_delay_alu instid0(VALU_DEP_1)
	v_fma_f32 v4, v5, v4, -v6
	s_and_not1_b32 exec_lo, exec_lo, s36
	s_cbranch_execnz .LBB72_68
; %bb.69:
	s_or_b32 exec_lo, exec_lo, s36
.LBB72_70:
	s_delay_alu instid0(SALU_CYCLE_1)
	s_or_b32 exec_lo, exec_lo, s35
                                        ; implicit-def: $vgpr1
.LBB72_71:
	s_and_not1_saveexec_b32 s20, s34
; %bb.72:
	v_add_f32_e32 v4, v1, v1
; %bb.73:
	s_or_b32 exec_lo, exec_lo, s20
.LBB72_74:
	s_delay_alu instid0(SALU_CYCLE_1)
	s_or_b32 exec_lo, exec_lo, s33
.LBB72_75:
	s_delay_alu instid0(SALU_CYCLE_1) | instskip(NEXT) | instid1(VALU_DEP_1)
	s_or_b32 exec_lo, exec_lo, s31
	v_cvt_f16_f32_e32 v1, v4
	v_add_nc_u32_e32 v7, 0x80, v7
	global_store_b16 v0, v1, s[4:5]
.LBB72_76:
	s_or_b32 exec_lo, exec_lo, s30
	v_cmp_gt_i32_e32 vcc_lo, s28, v7
	s_mov_b32 s20, 0
                                        ; implicit-def: $vgpr3_vgpr4
                                        ; implicit-def: $vgpr8
	s_and_saveexec_b32 s28, vcc_lo
	s_cbranch_execz .LBB72_100
; %bb.77:
	s_and_not1_b32 vcc_lo, exec_lo, s24
	s_cbranch_vccnz .LBB72_83
; %bb.78:
	v_dual_mov_b32 v1, 0 :: v_dual_mov_b32 v0, 0
	v_mov_b32_e32 v2, 0
	s_and_not1_b32 vcc_lo, exec_lo, s29
	s_mov_b32 s29, 0
	s_cbranch_vccnz .LBB72_84
; %bb.79:
	s_add_i32 s20, s27, 1
	v_dual_mov_b32 v2, 0 :: v_dual_mov_b32 v1, 0
	v_dual_mov_b32 v0, 0 :: v_dual_mov_b32 v3, v7
	s_and_b32 s30, s20, 30
	s_add_u32 s20, s0, 0xffffffec
	s_addc_u32 s21, s1, -1
	s_set_inst_prefetch_distance 0x1
	.p2align	6
.LBB72_80:                              ; =>This Inner Loop Header: Depth=1
	s_clause 0x2
	s_load_b128 s[36:39], s[20:21], 0x18
	s_load_b64 s[34:35], s[20:21], 0x28
	s_load_b128 s[40:43], s[20:21], 0xd8
	s_waitcnt lgkmcnt(0)
	v_mul_hi_u32 v4, s37, v3
	s_delay_alu instid0(VALU_DEP_1) | instskip(NEXT) | instid1(VALU_DEP_1)
	v_add_nc_u32_e32 v4, v3, v4
	v_lshrrev_b32_e32 v4, s38, v4
	s_delay_alu instid0(VALU_DEP_1)
	v_mul_hi_u32 v5, s34, v4
	v_mul_lo_u32 v6, v4, s36
	s_load_b64 s[36:37], s[20:21], 0xe8
	s_add_u32 s20, s20, 24
	s_addc_u32 s21, s21, 0
	s_add_i32 s30, s30, -2
	s_delay_alu instid0(SALU_CYCLE_1) | instskip(NEXT) | instid1(VALU_DEP_2)
	s_cmp_eq_u32 s30, 0
	v_add_nc_u32_e32 v5, v4, v5
	s_delay_alu instid0(VALU_DEP_2) | instskip(NEXT) | instid1(VALU_DEP_2)
	v_sub_nc_u32_e32 v6, v3, v6
	v_lshrrev_b32_e32 v3, s35, v5
	s_delay_alu instid0(VALU_DEP_2) | instskip(NEXT) | instid1(VALU_DEP_2)
	v_mul_lo_u32 v8, v6, s40
	v_mul_lo_u32 v5, v3, s39
	s_delay_alu instid0(VALU_DEP_1) | instskip(SKIP_2) | instid1(VALU_DEP_3)
	v_sub_nc_u32_e32 v4, v4, v5
	v_mul_lo_u32 v5, v6, s41
	v_mul_lo_u32 v6, v6, s42
	;; [unrolled: 1-line block ×3, first 2 shown]
	s_waitcnt lgkmcnt(0)
	v_mul_lo_u32 v10, v4, s36
	v_mul_lo_u32 v4, v4, s37
	s_delay_alu instid0(VALU_DEP_3) | instskip(NEXT) | instid1(VALU_DEP_3)
	v_add3_u32 v1, v8, v1, v9
	v_add3_u32 v0, v5, v0, v10
	s_delay_alu instid0(VALU_DEP_3)
	v_add3_u32 v2, v6, v2, v4
	s_cbranch_scc0 .LBB72_80
; %bb.81:
	s_set_inst_prefetch_distance 0x2
	s_bitcmp1_b32 s27, 0
	s_cselect_b32 s27, -1, 0
	s_delay_alu instid0(SALU_CYCLE_1)
	s_and_b32 vcc_lo, exec_lo, s27
	s_cbranch_vccnz .LBB72_84
; %bb.82:
	s_clause 0x3
	s_load_b64 s[30:31], s[20:21], 0x18
	s_load_b32 s27, s[20:21], 0x20
	s_load_b64 s[34:35], s[20:21], 0xd8
	s_load_b32 s20, s[20:21], 0xe0
	s_waitcnt lgkmcnt(0)
	v_mul_hi_u32 v4, s31, v3
	s_delay_alu instid0(VALU_DEP_1) | instskip(NEXT) | instid1(VALU_DEP_1)
	v_add_nc_u32_e32 v4, v3, v4
	v_lshrrev_b32_e32 v4, s27, v4
	s_delay_alu instid0(VALU_DEP_1) | instskip(NEXT) | instid1(VALU_DEP_1)
	v_mul_lo_u32 v4, v4, s30
	v_sub_nc_u32_e32 v8, v3, v4
	s_delay_alu instid0(VALU_DEP_1) | instskip(SKIP_1) | instid1(VALU_DEP_2)
	v_mad_u64_u32 v[3:4], null, v8, s34, v[1:2]
	v_mad_u64_u32 v[4:5], null, v8, s35, v[0:1]
	;; [unrolled: 1-line block ×3, first 2 shown]
	s_delay_alu instid0(VALU_DEP_2) | instskip(NEXT) | instid1(VALU_DEP_2)
	v_dual_mov_b32 v1, v3 :: v_dual_mov_b32 v0, v4
	v_mov_b32_e32 v2, v5
	s_branch .LBB72_84
.LBB72_83:
	s_mov_b32 s29, -1
                                        ; implicit-def: $vgpr1
                                        ; implicit-def: $vgpr0
                                        ; implicit-def: $vgpr2
.LBB72_84:
	s_delay_alu instid0(SALU_CYCLE_1)
	s_and_not1_b32 vcc_lo, exec_lo, s29
	s_cbranch_vccnz .LBB72_87
; %bb.85:
	s_waitcnt lgkmcnt(0)
	v_mul_hi_u32 v0, s13, v7
	s_and_not1_b32 vcc_lo, exec_lo, s26
	s_delay_alu instid0(VALU_DEP_1) | instskip(NEXT) | instid1(VALU_DEP_1)
	v_add_nc_u32_e32 v0, v7, v0
	v_lshrrev_b32_e32 v3, s14, v0
	s_delay_alu instid0(VALU_DEP_1) | instskip(NEXT) | instid1(VALU_DEP_1)
	v_mul_lo_u32 v0, v3, s12
	v_sub_nc_u32_e32 v2, v7, v0
	s_delay_alu instid0(VALU_DEP_1)
	v_mul_lo_u32 v1, v2, s8
	v_mul_lo_u32 v0, v2, s9
	;; [unrolled: 1-line block ×3, first 2 shown]
	s_cbranch_vccnz .LBB72_87
; %bb.86:
	v_mul_hi_u32 v4, s18, v3
	s_delay_alu instid0(VALU_DEP_1) | instskip(NEXT) | instid1(VALU_DEP_1)
	v_add_nc_u32_e32 v4, v3, v4
	v_lshrrev_b32_e32 v4, s19, v4
	s_delay_alu instid0(VALU_DEP_1) | instskip(NEXT) | instid1(VALU_DEP_1)
	v_mul_lo_u32 v4, v4, s15
	v_sub_nc_u32_e32 v7, v3, v4
	s_delay_alu instid0(VALU_DEP_1) | instskip(SKIP_1) | instid1(VALU_DEP_2)
	v_mad_u64_u32 v[3:4], null, v7, s11, v[1:2]
	v_mad_u64_u32 v[4:5], null, v7, s16, v[0:1]
	;; [unrolled: 1-line block ×3, first 2 shown]
	s_delay_alu instid0(VALU_DEP_2) | instskip(NEXT) | instid1(VALU_DEP_2)
	v_dual_mov_b32 v1, v3 :: v_dual_mov_b32 v0, v4
	v_mov_b32_e32 v2, v5
.LBB72_87:
	s_waitcnt lgkmcnt(0)
	global_load_b32 v2, v2, s[2:3]
	v_mov_b32_e32 v8, 0
	s_waitcnt vmcnt(0)
	v_trunc_f32_e32 v3, v2
	s_delay_alu instid0(VALU_DEP_1) | instskip(NEXT) | instid1(VALU_DEP_1)
	v_mul_f32_e64 v4, 0x2f800000, |v3|
	v_floor_f32_e32 v4, v4
	s_delay_alu instid0(VALU_DEP_1) | instskip(SKIP_2) | instid1(VALU_DEP_3)
	v_fma_f32 v5, 0xcf800000, v4, |v3|
	v_ashrrev_i32_e32 v3, 31, v3
	v_cvt_u32_f32_e32 v4, v4
	v_cvt_u32_f32_e32 v5, v5
	s_delay_alu instid0(VALU_DEP_2) | instskip(NEXT) | instid1(VALU_DEP_2)
	v_xor_b32_e32 v4, v4, v3
	v_xor_b32_e32 v5, v5, v3
	s_delay_alu instid0(VALU_DEP_1) | instskip(NEXT) | instid1(VALU_DEP_3)
	v_sub_co_u32 v5, vcc_lo, v5, v3
	v_sub_co_ci_u32_e32 v3, vcc_lo, v4, v3, vcc_lo
	v_cmp_class_f32_e64 vcc_lo, v2, 0x1f8
	s_delay_alu instid0(VALU_DEP_2) | instskip(SKIP_1) | instid1(VALU_DEP_1)
	v_dual_cndmask_b32 v6, -1, v3 :: v_dual_cndmask_b32 v5, -1, v5
	v_add_co_u32 v3, s2, s4, v1
	v_add_co_ci_u32_e64 v4, null, s5, 0, s2
	s_mov_b32 s4, exec_lo
	s_delay_alu instid0(VALU_DEP_3)
	v_cmpx_lt_i64_e32 -1, v[5:6]
	s_cbranch_execz .LBB72_99
; %bb.88:
	v_mov_b32_e32 v8, 1.0
	s_mov_b32 s5, exec_lo
	v_cmpx_lt_i64_e32 0, v[5:6]
	s_cbranch_execz .LBB72_98
; %bb.89:
	global_load_u16 v0, v0, s[6:7]
                                        ; implicit-def: $vgpr8
	s_mov_b32 s2, exec_lo
	s_waitcnt vmcnt(0)
	v_cvt_f32_f16_e32 v0, v0
	v_cmpx_ne_u64_e32 1, v[5:6]
	s_xor_b32 s6, exec_lo, s2
	s_cbranch_execz .LBB72_95
; %bb.90:
	v_mov_b32_e32 v8, 0x7fc00000
	s_mov_b32 s7, exec_lo
	v_cmpx_gt_u64_e32 0x81, v[5:6]
	s_cbranch_execz .LBB72_94
; %bb.91:
	v_add_f32_e32 v2, v0, v0
	v_lshlrev_b64 v[0:1], 1, v[5:6]
	v_mov_b32_e32 v5, 1.0
	s_mov_b64 s[2:3], 2
	s_mov_b32 s8, 0
	v_mov_b32_e32 v8, v2
	.p2align	6
.LBB72_92:                              ; =>This Inner Loop Header: Depth=1
	s_clz_i32_u32 s9, s3
	s_delay_alu instid0(SALU_CYCLE_1) | instskip(NEXT) | instid1(SALU_CYCLE_1)
	s_min_u32 s9, s9, 32
	s_lshl_b64 s[10:11], s[2:3], s9
	s_sub_i32 s9, 32, s9
	s_min_u32 s10, s10, 1
	s_delay_alu instid0(SALU_CYCLE_1) | instskip(SKIP_3) | instid1(SALU_CYCLE_1)
	s_or_b32 s10, s11, s10
	s_add_u32 s2, s2, 2
	v_cvt_f32_u32_e32 v6, s10
	s_addc_u32 s3, s3, 0
	v_cmp_ge_u64_e32 vcc_lo, s[2:3], v[0:1]
	s_delay_alu instid0(VALU_DEP_2) | instskip(SKIP_1) | instid1(VALU_DEP_1)
	v_ldexp_f32 v6, v6, s9
	s_or_b32 s8, vcc_lo, s8
	v_dual_mul_f32 v6, v5, v6 :: v_dual_mov_b32 v5, v8
	s_delay_alu instid0(VALU_DEP_1)
	v_fma_f32 v8, v2, v8, -v6
	s_and_not1_b32 exec_lo, exec_lo, s8
	s_cbranch_execnz .LBB72_92
; %bb.93:
	s_or_b32 exec_lo, exec_lo, s8
.LBB72_94:
	s_delay_alu instid0(SALU_CYCLE_1)
	s_or_b32 exec_lo, exec_lo, s7
                                        ; implicit-def: $vgpr0
.LBB72_95:
	s_and_not1_saveexec_b32 s2, s6
; %bb.96:
	v_add_f32_e32 v8, v0, v0
; %bb.97:
	s_or_b32 exec_lo, exec_lo, s2
.LBB72_98:
	s_delay_alu instid0(SALU_CYCLE_1)
	s_or_b32 exec_lo, exec_lo, s5
.LBB72_99:
	s_delay_alu instid0(SALU_CYCLE_1) | instskip(NEXT) | instid1(SALU_CYCLE_1)
	s_or_b32 exec_lo, exec_lo, s4
	s_mov_b32 s20, exec_lo
.LBB72_100:
	s_or_b32 exec_lo, exec_lo, s28
	s_waitcnt lgkmcnt(0)
	s_and_b32 s8, s20, exec_lo
                                        ; implicit-def: $vgpr12
                                        ; implicit-def: $vgpr7
	s_and_not1_saveexec_b32 s9, s25
	s_cbranch_execz .LBB72_2
.LBB72_101:
	v_cndmask_b32_e64 v10, 0, 1, s24
	s_and_not1_b32 vcc_lo, exec_lo, s24
	s_cbranch_vccnz .LBB72_107
; %bb.102:
	v_dual_mov_b32 v0, 0 :: v_dual_mov_b32 v3, 0
	v_mov_b32_e32 v4, 0
	s_cmp_lg_u32 s22, 0
	s_mov_b32 s4, 0
	s_cbranch_scc0 .LBB72_108
; %bb.103:
	s_min_u32 s5, s23, 15
	v_dual_mov_b32 v4, 0 :: v_dual_mov_b32 v3, 0
	s_add_i32 s2, s5, 1
	v_dual_mov_b32 v0, 0 :: v_dual_mov_b32 v1, v7
	s_and_b32 s6, s2, 30
	s_add_u32 s2, s0, 0xffffffec
	s_addc_u32 s3, s1, -1
	s_set_inst_prefetch_distance 0x1
	.p2align	6
.LBB72_104:                             ; =>This Inner Loop Header: Depth=1
	s_clause 0x2
	s_load_b128 s[12:15], s[2:3], 0x18
	s_load_b64 s[10:11], s[2:3], 0x28
	s_load_b128 s[16:19], s[2:3], 0xd8
	s_waitcnt lgkmcnt(0)
	v_mul_hi_u32 v2, s13, v1
	s_delay_alu instid0(VALU_DEP_1) | instskip(NEXT) | instid1(VALU_DEP_1)
	v_add_nc_u32_e32 v2, v1, v2
	v_lshrrev_b32_e32 v2, s14, v2
	s_delay_alu instid0(VALU_DEP_1)
	v_mul_hi_u32 v5, s10, v2
	v_mul_lo_u32 v6, v2, s12
	s_load_b64 s[12:13], s[2:3], 0xe8
	s_add_u32 s2, s2, 24
	s_addc_u32 s3, s3, 0
	s_add_i32 s6, s6, -2
	s_delay_alu instid0(SALU_CYCLE_1) | instskip(NEXT) | instid1(VALU_DEP_2)
	s_cmp_lg_u32 s6, 0
	v_add_nc_u32_e32 v5, v2, v5
	s_delay_alu instid0(VALU_DEP_2) | instskip(NEXT) | instid1(VALU_DEP_2)
	v_sub_nc_u32_e32 v6, v1, v6
	v_lshrrev_b32_e32 v1, s11, v5
	s_delay_alu instid0(VALU_DEP_2) | instskip(NEXT) | instid1(VALU_DEP_2)
	v_mul_lo_u32 v8, v6, s16
	v_mul_lo_u32 v5, v1, s15
	s_delay_alu instid0(VALU_DEP_1) | instskip(SKIP_2) | instid1(VALU_DEP_3)
	v_sub_nc_u32_e32 v2, v2, v5
	v_mul_lo_u32 v5, v6, s17
	v_mul_lo_u32 v6, v6, s18
	;; [unrolled: 1-line block ×3, first 2 shown]
	s_waitcnt lgkmcnt(0)
	v_mul_lo_u32 v11, v2, s12
	v_mul_lo_u32 v2, v2, s13
	s_delay_alu instid0(VALU_DEP_3) | instskip(NEXT) | instid1(VALU_DEP_3)
	v_add3_u32 v0, v8, v0, v9
	v_add3_u32 v3, v5, v3, v11
	s_delay_alu instid0(VALU_DEP_3)
	v_add3_u32 v4, v6, v4, v2
	s_cbranch_scc1 .LBB72_104
; %bb.105:
	s_set_inst_prefetch_distance 0x2
	s_bitcmp1_b32 s5, 0
	s_cselect_b32 s5, -1, 0
	s_delay_alu instid0(SALU_CYCLE_1)
	s_and_b32 vcc_lo, exec_lo, s5
	s_cbranch_vccnz .LBB72_108
; %bb.106:
	s_clause 0x3
	s_load_b64 s[6:7], s[2:3], 0x18
	s_load_b32 s5, s[2:3], 0x20
	s_load_b64 s[10:11], s[2:3], 0xd8
	s_load_b32 s2, s[2:3], 0xe0
	s_waitcnt lgkmcnt(0)
	v_mul_hi_u32 v2, s7, v1
	s_delay_alu instid0(VALU_DEP_1) | instskip(NEXT) | instid1(VALU_DEP_1)
	v_add_nc_u32_e32 v2, v1, v2
	v_lshrrev_b32_e32 v2, s5, v2
	s_delay_alu instid0(VALU_DEP_1) | instskip(NEXT) | instid1(VALU_DEP_1)
	v_mul_lo_u32 v2, v2, s6
	v_sub_nc_u32_e32 v8, v1, v2
	s_delay_alu instid0(VALU_DEP_1) | instskip(SKIP_1) | instid1(VALU_DEP_2)
	v_mad_u64_u32 v[5:6], null, v8, s11, v[3:4]
	v_mad_u64_u32 v[1:2], null, v8, s10, v[0:1]
	v_mad_u64_u32 v[2:3], null, v8, s2, v[4:5]
	s_delay_alu instid0(VALU_DEP_2) | instskip(NEXT) | instid1(VALU_DEP_2)
	v_mov_b32_e32 v0, v1
	v_dual_mov_b32 v3, v5 :: v_dual_mov_b32 v4, v2
	s_branch .LBB72_108
.LBB72_107:
	s_mov_b32 s4, -1
                                        ; implicit-def: $vgpr0
                                        ; implicit-def: $vgpr3
                                        ; implicit-def: $vgpr4
.LBB72_108:
	s_delay_alu instid0(SALU_CYCLE_1)
	s_and_not1_b32 vcc_lo, exec_lo, s4
	s_cbranch_vccnz .LBB72_111
; %bb.109:
	s_clause 0x1
	s_load_b128 s[4:7], s[0:1], 0x4
	s_load_b128 s[12:15], s[0:1], 0xc4
	s_cmp_lt_u32 s22, 2
	s_waitcnt lgkmcnt(0)
	v_mul_hi_u32 v0, s5, v7
	s_delay_alu instid0(VALU_DEP_1) | instskip(NEXT) | instid1(VALU_DEP_1)
	v_add_nc_u32_e32 v0, v7, v0
	v_lshrrev_b32_e32 v1, s6, v0
	s_delay_alu instid0(VALU_DEP_1) | instskip(NEXT) | instid1(VALU_DEP_1)
	v_mul_lo_u32 v0, v1, s4
	v_sub_nc_u32_e32 v2, v7, v0
	s_delay_alu instid0(VALU_DEP_1)
	v_mul_lo_u32 v0, v2, s12
	v_mul_lo_u32 v3, v2, s13
	;; [unrolled: 1-line block ×3, first 2 shown]
	s_cbranch_scc1 .LBB72_111
; %bb.110:
	s_clause 0x1
	s_load_b128 s[4:7], s[0:1], 0x10
	s_load_b128 s[12:15], s[0:1], 0xd0
	s_waitcnt lgkmcnt(0)
	v_mul_hi_u32 v2, s5, v1
	s_delay_alu instid0(VALU_DEP_1) | instskip(NEXT) | instid1(VALU_DEP_1)
	v_add_nc_u32_e32 v2, v1, v2
	v_lshrrev_b32_e32 v2, s6, v2
	s_delay_alu instid0(VALU_DEP_1) | instskip(NEXT) | instid1(VALU_DEP_1)
	v_mul_lo_u32 v2, v2, s4
	v_sub_nc_u32_e32 v8, v1, v2
	s_delay_alu instid0(VALU_DEP_1) | instskip(SKIP_1) | instid1(VALU_DEP_2)
	v_mad_u64_u32 v[5:6], null, v8, s13, v[3:4]
	v_mad_u64_u32 v[1:2], null, v8, s12, v[0:1]
	v_mad_u64_u32 v[2:3], null, v8, s14, v[4:5]
	s_delay_alu instid0(VALU_DEP_2) | instskip(NEXT) | instid1(VALU_DEP_2)
	v_mov_b32_e32 v0, v1
	v_dual_mov_b32 v3, v5 :: v_dual_mov_b32 v4, v2
.LBB72_111:
	v_cmp_ne_u32_e32 vcc_lo, 1, v10
	v_add_nc_u32_e32 v2, 0x80, v7
	s_cbranch_vccnz .LBB72_117
; %bb.112:
	v_dual_mov_b32 v1, 0 :: v_dual_mov_b32 v6, 0
	v_mov_b32_e32 v5, 0
	s_cmp_lg_u32 s22, 0
	s_mov_b32 s4, 0
	s_cbranch_scc0 .LBB72_118
; %bb.113:
	s_min_u32 s5, s23, 15
	v_dual_mov_b32 v6, 0 :: v_dual_mov_b32 v5, 0
	s_add_i32 s2, s5, 1
	v_dual_mov_b32 v1, 0 :: v_dual_mov_b32 v8, v2
	s_and_b32 s6, s2, 30
	s_add_u32 s2, s0, 0xffffffec
	s_addc_u32 s3, s1, -1
	s_set_inst_prefetch_distance 0x1
	.p2align	6
.LBB72_114:                             ; =>This Inner Loop Header: Depth=1
	s_clause 0x2
	s_load_b128 s[12:15], s[2:3], 0x18
	s_load_b64 s[10:11], s[2:3], 0x28
	s_load_b128 s[16:19], s[2:3], 0xd8
	s_waitcnt lgkmcnt(0)
	v_mul_hi_u32 v9, s13, v8
	s_delay_alu instid0(VALU_DEP_1) | instskip(NEXT) | instid1(VALU_DEP_1)
	v_add_nc_u32_e32 v9, v8, v9
	v_lshrrev_b32_e32 v9, s14, v9
	s_delay_alu instid0(VALU_DEP_1)
	v_mul_hi_u32 v11, s10, v9
	v_mul_lo_u32 v13, v9, s12
	s_load_b64 s[12:13], s[2:3], 0xe8
	s_add_u32 s2, s2, 24
	s_addc_u32 s3, s3, 0
	s_add_i32 s6, s6, -2
	s_delay_alu instid0(SALU_CYCLE_1) | instskip(NEXT) | instid1(VALU_DEP_2)
	s_cmp_lg_u32 s6, 0
	v_add_nc_u32_e32 v11, v9, v11
	s_delay_alu instid0(VALU_DEP_2) | instskip(NEXT) | instid1(VALU_DEP_2)
	v_sub_nc_u32_e32 v13, v8, v13
	v_lshrrev_b32_e32 v8, s11, v11
	s_delay_alu instid0(VALU_DEP_2) | instskip(NEXT) | instid1(VALU_DEP_2)
	v_mul_lo_u32 v14, v13, s16
	v_mul_lo_u32 v11, v8, s15
	s_delay_alu instid0(VALU_DEP_1) | instskip(SKIP_2) | instid1(VALU_DEP_3)
	v_sub_nc_u32_e32 v9, v9, v11
	v_mul_lo_u32 v11, v13, s17
	v_mul_lo_u32 v13, v13, s18
	v_mul_lo_u32 v15, v9, s19
	s_waitcnt lgkmcnt(0)
	v_mul_lo_u32 v16, v9, s12
	v_mul_lo_u32 v9, v9, s13
	s_delay_alu instid0(VALU_DEP_3) | instskip(NEXT) | instid1(VALU_DEP_3)
	v_add3_u32 v1, v14, v1, v15
	v_add3_u32 v5, v11, v5, v16
	s_delay_alu instid0(VALU_DEP_3)
	v_add3_u32 v6, v13, v6, v9
	s_cbranch_scc1 .LBB72_114
; %bb.115:
	s_set_inst_prefetch_distance 0x2
	s_bitcmp1_b32 s5, 0
	s_cselect_b32 s5, -1, 0
	s_delay_alu instid0(SALU_CYCLE_1)
	s_and_b32 vcc_lo, exec_lo, s5
	s_cbranch_vccnz .LBB72_118
; %bb.116:
	s_clause 0x3
	s_load_b64 s[6:7], s[2:3], 0x18
	s_load_b32 s5, s[2:3], 0x20
	s_load_b64 s[10:11], s[2:3], 0xd8
	s_load_b32 s2, s[2:3], 0xe0
	s_waitcnt lgkmcnt(0)
	v_mul_hi_u32 v9, s7, v8
	s_delay_alu instid0(VALU_DEP_1) | instskip(NEXT) | instid1(VALU_DEP_1)
	v_add_nc_u32_e32 v9, v8, v9
	v_lshrrev_b32_e32 v9, s5, v9
	s_delay_alu instid0(VALU_DEP_1) | instskip(NEXT) | instid1(VALU_DEP_1)
	v_mul_lo_u32 v9, v9, s6
	v_sub_nc_u32_e32 v11, v8, v9
	s_delay_alu instid0(VALU_DEP_1) | instskip(SKIP_2) | instid1(VALU_DEP_3)
	v_mad_u64_u32 v[13:14], null, v11, s11, v[5:6]
	v_mad_u64_u32 v[8:9], null, v11, s10, v[1:2]
	;; [unrolled: 1-line block ×3, first 2 shown]
	v_mov_b32_e32 v5, v13
	s_delay_alu instid0(VALU_DEP_2)
	v_dual_mov_b32 v1, v8 :: v_dual_mov_b32 v6, v14
	s_branch .LBB72_118
.LBB72_117:
	s_mov_b32 s4, -1
                                        ; implicit-def: $vgpr1
                                        ; implicit-def: $vgpr5
                                        ; implicit-def: $vgpr6
.LBB72_118:
	s_delay_alu instid0(SALU_CYCLE_1)
	s_and_not1_b32 vcc_lo, exec_lo, s4
	s_cbranch_vccnz .LBB72_121
; %bb.119:
	s_clause 0x1
	s_load_b128 s[4:7], s[0:1], 0x4
	s_load_b128 s[12:15], s[0:1], 0xc4
	s_cmp_lt_u32 s22, 2
	s_waitcnt lgkmcnt(0)
	v_mul_hi_u32 v1, s5, v2
	s_delay_alu instid0(VALU_DEP_1) | instskip(NEXT) | instid1(VALU_DEP_1)
	v_add_nc_u32_e32 v1, v2, v1
	v_lshrrev_b32_e32 v8, s6, v1
	s_delay_alu instid0(VALU_DEP_1) | instskip(NEXT) | instid1(VALU_DEP_1)
	v_mul_lo_u32 v1, v8, s4
	v_sub_nc_u32_e32 v2, v2, v1
	s_delay_alu instid0(VALU_DEP_1)
	v_mul_lo_u32 v1, v2, s12
	v_mul_lo_u32 v5, v2, s13
	;; [unrolled: 1-line block ×3, first 2 shown]
	s_cbranch_scc1 .LBB72_121
; %bb.120:
	s_clause 0x1
	s_load_b128 s[4:7], s[0:1], 0x10
	s_load_b128 s[12:15], s[0:1], 0xd0
	s_waitcnt lgkmcnt(0)
	v_mul_hi_u32 v2, s5, v8
	s_delay_alu instid0(VALU_DEP_1) | instskip(NEXT) | instid1(VALU_DEP_1)
	v_add_nc_u32_e32 v2, v8, v2
	v_lshrrev_b32_e32 v2, s6, v2
	s_delay_alu instid0(VALU_DEP_1) | instskip(NEXT) | instid1(VALU_DEP_1)
	v_mul_lo_u32 v2, v2, s4
	v_sub_nc_u32_e32 v2, v8, v2
	s_delay_alu instid0(VALU_DEP_1) | instskip(SKIP_2) | instid1(VALU_DEP_3)
	v_mad_u64_u32 v[13:14], null, v2, s13, v[5:6]
	v_mad_u64_u32 v[8:9], null, v2, s12, v[1:2]
	;; [unrolled: 1-line block ×3, first 2 shown]
	v_mov_b32_e32 v5, v13
	s_delay_alu instid0(VALU_DEP_2)
	v_dual_mov_b32 v1, v8 :: v_dual_mov_b32 v6, v14
.LBB72_121:
	v_cmp_ne_u32_e32 vcc_lo, 1, v10
	v_add_nc_u32_e32 v7, 0x100, v7
	s_cbranch_vccnz .LBB72_127
; %bb.122:
	v_dual_mov_b32 v2, 0 :: v_dual_mov_b32 v9, 0
	v_mov_b32_e32 v8, 0
	s_cmp_lg_u32 s22, 0
	s_mov_b32 s4, 0
	s_cbranch_scc0 .LBB72_128
; %bb.123:
	s_min_u32 s5, s23, 15
	v_dual_mov_b32 v9, 0 :: v_dual_mov_b32 v8, 0
	s_add_i32 s2, s5, 1
	v_dual_mov_b32 v2, 0 :: v_dual_mov_b32 v11, v7
	s_and_b32 s6, s2, 30
	s_add_u32 s2, s0, 0xffffffec
	s_addc_u32 s3, s1, -1
	s_set_inst_prefetch_distance 0x1
	.p2align	6
.LBB72_124:                             ; =>This Inner Loop Header: Depth=1
	s_clause 0x2
	s_load_b128 s[12:15], s[2:3], 0x18
	s_load_b64 s[10:11], s[2:3], 0x28
	s_load_b128 s[16:19], s[2:3], 0xd8
	s_waitcnt lgkmcnt(0)
	v_mul_hi_u32 v13, s13, v11
	s_delay_alu instid0(VALU_DEP_1) | instskip(NEXT) | instid1(VALU_DEP_1)
	v_add_nc_u32_e32 v13, v11, v13
	v_lshrrev_b32_e32 v13, s14, v13
	s_delay_alu instid0(VALU_DEP_1)
	v_mul_hi_u32 v14, s10, v13
	v_mul_lo_u32 v15, v13, s12
	s_load_b64 s[12:13], s[2:3], 0xe8
	s_add_u32 s2, s2, 24
	s_addc_u32 s3, s3, 0
	s_add_i32 s6, s6, -2
	s_delay_alu instid0(SALU_CYCLE_1) | instskip(NEXT) | instid1(VALU_DEP_2)
	s_cmp_lg_u32 s6, 0
	v_add_nc_u32_e32 v14, v13, v14
	s_delay_alu instid0(VALU_DEP_2) | instskip(NEXT) | instid1(VALU_DEP_2)
	v_sub_nc_u32_e32 v15, v11, v15
	v_lshrrev_b32_e32 v11, s11, v14
	s_delay_alu instid0(VALU_DEP_2) | instskip(NEXT) | instid1(VALU_DEP_2)
	v_mul_lo_u32 v16, v15, s16
	v_mul_lo_u32 v14, v11, s15
	s_delay_alu instid0(VALU_DEP_1) | instskip(SKIP_2) | instid1(VALU_DEP_3)
	v_sub_nc_u32_e32 v13, v13, v14
	v_mul_lo_u32 v14, v15, s17
	v_mul_lo_u32 v15, v15, s18
	;; [unrolled: 1-line block ×3, first 2 shown]
	s_waitcnt lgkmcnt(0)
	v_mul_lo_u32 v18, v13, s12
	v_mul_lo_u32 v13, v13, s13
	s_delay_alu instid0(VALU_DEP_3) | instskip(NEXT) | instid1(VALU_DEP_3)
	v_add3_u32 v2, v16, v2, v17
	v_add3_u32 v8, v14, v8, v18
	s_delay_alu instid0(VALU_DEP_3)
	v_add3_u32 v9, v15, v9, v13
	s_cbranch_scc1 .LBB72_124
; %bb.125:
	s_set_inst_prefetch_distance 0x2
	s_bitcmp1_b32 s5, 0
	s_cselect_b32 s5, -1, 0
	s_delay_alu instid0(SALU_CYCLE_1)
	s_and_b32 vcc_lo, exec_lo, s5
	s_cbranch_vccnz .LBB72_128
; %bb.126:
	s_clause 0x3
	s_load_b64 s[6:7], s[2:3], 0x18
	s_load_b32 s5, s[2:3], 0x20
	s_load_b64 s[10:11], s[2:3], 0xd8
	s_load_b32 s2, s[2:3], 0xe0
	s_waitcnt lgkmcnt(0)
	v_mul_hi_u32 v13, s7, v11
	s_delay_alu instid0(VALU_DEP_1) | instskip(NEXT) | instid1(VALU_DEP_1)
	v_add_nc_u32_e32 v13, v11, v13
	v_lshrrev_b32_e32 v13, s5, v13
	s_delay_alu instid0(VALU_DEP_1) | instskip(NEXT) | instid1(VALU_DEP_1)
	v_mul_lo_u32 v13, v13, s6
	v_sub_nc_u32_e32 v11, v11, v13
	s_delay_alu instid0(VALU_DEP_1) | instskip(SKIP_2) | instid1(VALU_DEP_3)
	v_mad_u64_u32 v[13:14], null, v11, s10, v[2:3]
	v_mad_u64_u32 v[14:15], null, v11, s11, v[8:9]
	;; [unrolled: 1-line block ×3, first 2 shown]
	v_mov_b32_e32 v2, v13
	s_delay_alu instid0(VALU_DEP_2)
	v_dual_mov_b32 v8, v14 :: v_dual_mov_b32 v9, v15
	s_branch .LBB72_128
.LBB72_127:
	s_mov_b32 s4, -1
                                        ; implicit-def: $vgpr2
                                        ; implicit-def: $vgpr8
                                        ; implicit-def: $vgpr9
.LBB72_128:
	s_delay_alu instid0(SALU_CYCLE_1)
	s_and_not1_b32 vcc_lo, exec_lo, s4
	s_cbranch_vccnz .LBB72_131
; %bb.129:
	s_clause 0x1
	s_load_b128 s[4:7], s[0:1], 0x4
	s_load_b128 s[12:15], s[0:1], 0xc4
	s_cmp_lt_u32 s22, 2
	s_waitcnt lgkmcnt(0)
	v_mul_hi_u32 v2, s5, v7
	s_delay_alu instid0(VALU_DEP_1) | instskip(NEXT) | instid1(VALU_DEP_1)
	v_add_nc_u32_e32 v2, v7, v2
	v_lshrrev_b32_e32 v11, s6, v2
	s_delay_alu instid0(VALU_DEP_1) | instskip(NEXT) | instid1(VALU_DEP_1)
	v_mul_lo_u32 v2, v11, s4
	v_sub_nc_u32_e32 v7, v7, v2
	s_delay_alu instid0(VALU_DEP_1)
	v_mul_lo_u32 v2, v7, s12
	v_mul_lo_u32 v8, v7, s13
	;; [unrolled: 1-line block ×3, first 2 shown]
	s_cbranch_scc1 .LBB72_131
; %bb.130:
	s_clause 0x1
	s_load_b128 s[4:7], s[0:1], 0x10
	s_load_b128 s[12:15], s[0:1], 0xd0
	s_waitcnt lgkmcnt(0)
	v_mul_hi_u32 v7, s5, v11
	s_delay_alu instid0(VALU_DEP_1) | instskip(NEXT) | instid1(VALU_DEP_1)
	v_add_nc_u32_e32 v7, v11, v7
	v_lshrrev_b32_e32 v7, s6, v7
	s_delay_alu instid0(VALU_DEP_1) | instskip(NEXT) | instid1(VALU_DEP_1)
	v_mul_lo_u32 v7, v7, s4
	v_sub_nc_u32_e32 v11, v11, v7
	s_delay_alu instid0(VALU_DEP_1) | instskip(SKIP_2) | instid1(VALU_DEP_3)
	v_mad_u64_u32 v[13:14], null, v11, s12, v[2:3]
	v_mad_u64_u32 v[14:15], null, v11, s13, v[8:9]
	;; [unrolled: 1-line block ×3, first 2 shown]
	v_mov_b32_e32 v2, v13
	s_delay_alu instid0(VALU_DEP_2)
	v_dual_mov_b32 v8, v14 :: v_dual_mov_b32 v9, v7
.LBB72_131:
	v_cmp_ne_u32_e32 vcc_lo, 1, v10
	s_cbranch_vccnz .LBB72_137
; %bb.132:
	v_dual_mov_b32 v7, 0 :: v_dual_mov_b32 v10, 0
	v_mov_b32_e32 v11, 0
	s_cmp_lg_u32 s22, 0
	s_mov_b32 s4, 0
	s_cbranch_scc0 .LBB72_138
; %bb.133:
	s_min_u32 s5, s23, 15
	v_dual_mov_b32 v11, 0 :: v_dual_mov_b32 v10, 0
	s_add_i32 s2, s5, 1
	v_mov_b32_e32 v7, 0
	v_mov_b32_e32 v13, v12
	s_and_b32 s6, s2, 30
	s_add_u32 s2, s0, 0xffffffec
	s_addc_u32 s3, s1, -1
	s_set_inst_prefetch_distance 0x1
	.p2align	6
.LBB72_134:                             ; =>This Inner Loop Header: Depth=1
	s_clause 0x2
	s_load_b128 s[12:15], s[2:3], 0x18
	s_load_b64 s[10:11], s[2:3], 0x28
	s_load_b128 s[16:19], s[2:3], 0xd8
	s_waitcnt lgkmcnt(0)
	v_mul_hi_u32 v14, s13, v13
	s_delay_alu instid0(VALU_DEP_1) | instskip(NEXT) | instid1(VALU_DEP_1)
	v_add_nc_u32_e32 v14, v13, v14
	v_lshrrev_b32_e32 v14, s14, v14
	s_delay_alu instid0(VALU_DEP_1)
	v_mul_hi_u32 v15, s10, v14
	v_mul_lo_u32 v16, v14, s12
	s_load_b64 s[12:13], s[2:3], 0xe8
	s_add_u32 s2, s2, 24
	s_addc_u32 s3, s3, 0
	s_add_i32 s6, s6, -2
	s_delay_alu instid0(SALU_CYCLE_1) | instskip(NEXT) | instid1(VALU_DEP_2)
	s_cmp_lg_u32 s6, 0
	v_add_nc_u32_e32 v15, v14, v15
	s_delay_alu instid0(VALU_DEP_2) | instskip(NEXT) | instid1(VALU_DEP_2)
	v_sub_nc_u32_e32 v16, v13, v16
	v_lshrrev_b32_e32 v13, s11, v15
	s_delay_alu instid0(VALU_DEP_2) | instskip(NEXT) | instid1(VALU_DEP_2)
	v_mul_lo_u32 v17, v16, s16
	v_mul_lo_u32 v15, v13, s15
	s_delay_alu instid0(VALU_DEP_1) | instskip(SKIP_2) | instid1(VALU_DEP_3)
	v_sub_nc_u32_e32 v14, v14, v15
	v_mul_lo_u32 v15, v16, s17
	v_mul_lo_u32 v16, v16, s18
	;; [unrolled: 1-line block ×3, first 2 shown]
	s_waitcnt lgkmcnt(0)
	v_mul_lo_u32 v19, v14, s12
	v_mul_lo_u32 v14, v14, s13
	s_delay_alu instid0(VALU_DEP_3) | instskip(NEXT) | instid1(VALU_DEP_3)
	v_add3_u32 v7, v17, v7, v18
	v_add3_u32 v10, v15, v10, v19
	s_delay_alu instid0(VALU_DEP_3)
	v_add3_u32 v11, v16, v11, v14
	s_cbranch_scc1 .LBB72_134
; %bb.135:
	s_set_inst_prefetch_distance 0x2
	s_bitcmp1_b32 s5, 0
	s_cselect_b32 s5, -1, 0
	s_delay_alu instid0(SALU_CYCLE_1)
	s_and_b32 vcc_lo, exec_lo, s5
	s_cbranch_vccnz .LBB72_138
; %bb.136:
	s_clause 0x3
	s_load_b64 s[6:7], s[2:3], 0x18
	s_load_b32 s5, s[2:3], 0x20
	s_load_b64 s[10:11], s[2:3], 0xd8
	s_load_b32 s2, s[2:3], 0xe0
	s_waitcnt lgkmcnt(0)
	v_mul_hi_u32 v14, s7, v13
	s_delay_alu instid0(VALU_DEP_1) | instskip(NEXT) | instid1(VALU_DEP_1)
	v_add_nc_u32_e32 v14, v13, v14
	v_lshrrev_b32_e32 v14, s5, v14
	s_delay_alu instid0(VALU_DEP_1) | instskip(NEXT) | instid1(VALU_DEP_1)
	v_mul_lo_u32 v14, v14, s6
	v_sub_nc_u32_e32 v17, v13, v14
	s_delay_alu instid0(VALU_DEP_1) | instskip(SKIP_2) | instid1(VALU_DEP_2)
	v_mad_u64_u32 v[13:14], null, v17, s10, v[7:8]
	v_mad_u64_u32 v[14:15], null, v17, s11, v[10:11]
	;; [unrolled: 1-line block ×3, first 2 shown]
	v_dual_mov_b32 v7, v13 :: v_dual_mov_b32 v10, v14
	s_delay_alu instid0(VALU_DEP_2)
	v_mov_b32_e32 v11, v15
	s_branch .LBB72_138
.LBB72_137:
	s_mov_b32 s4, -1
                                        ; implicit-def: $vgpr7
                                        ; implicit-def: $vgpr10
                                        ; implicit-def: $vgpr11
.LBB72_138:
	s_delay_alu instid0(SALU_CYCLE_1)
	s_and_not1_b32 vcc_lo, exec_lo, s4
	s_cbranch_vccnz .LBB72_141
; %bb.139:
	s_clause 0x1
	s_load_b128 s[4:7], s[0:1], 0x4
	s_load_b128 s[12:15], s[0:1], 0xc4
	s_cmp_lt_u32 s22, 2
	s_waitcnt lgkmcnt(0)
	v_mul_hi_u32 v7, s5, v12
	s_delay_alu instid0(VALU_DEP_1) | instskip(NEXT) | instid1(VALU_DEP_1)
	v_add_nc_u32_e32 v7, v12, v7
	v_lshrrev_b32_e32 v13, s6, v7
	s_delay_alu instid0(VALU_DEP_1) | instskip(NEXT) | instid1(VALU_DEP_1)
	v_mul_lo_u32 v7, v13, s4
	v_sub_nc_u32_e32 v11, v12, v7
	s_delay_alu instid0(VALU_DEP_1)
	v_mul_lo_u32 v7, v11, s12
	v_mul_lo_u32 v10, v11, s13
	;; [unrolled: 1-line block ×3, first 2 shown]
	s_cbranch_scc1 .LBB72_141
; %bb.140:
	s_clause 0x1
	s_load_b128 s[4:7], s[0:1], 0x10
	s_load_b128 s[12:15], s[0:1], 0xd0
	s_waitcnt lgkmcnt(0)
	v_mul_hi_u32 v12, s5, v13
	s_delay_alu instid0(VALU_DEP_1) | instskip(NEXT) | instid1(VALU_DEP_1)
	v_add_nc_u32_e32 v12, v13, v12
	v_lshrrev_b32_e32 v12, s6, v12
	s_delay_alu instid0(VALU_DEP_1) | instskip(NEXT) | instid1(VALU_DEP_1)
	v_mul_lo_u32 v12, v12, s4
	v_sub_nc_u32_e32 v16, v13, v12
	s_delay_alu instid0(VALU_DEP_1) | instskip(SKIP_1) | instid1(VALU_DEP_2)
	v_mad_u64_u32 v[12:13], null, v16, s12, v[7:8]
	v_mad_u64_u32 v[13:14], null, v16, s13, v[10:11]
	;; [unrolled: 1-line block ×3, first 2 shown]
	s_delay_alu instid0(VALU_DEP_2) | instskip(NEXT) | instid1(VALU_DEP_2)
	v_dual_mov_b32 v7, v12 :: v_dual_mov_b32 v10, v13
	v_mov_b32_e32 v11, v14
.LBB72_141:
	s_clause 0x1
	s_load_b64 s[4:5], s[0:1], 0x198
	s_load_b128 s[0:3], s[0:1], 0x188
	s_mov_b32 s10, exec_lo
	s_waitcnt lgkmcnt(0)
	global_load_b32 v4, v4, s[4:5]
	s_waitcnt vmcnt(0)
	v_trunc_f32_e32 v12, v4
	s_delay_alu instid0(VALU_DEP_1) | instskip(NEXT) | instid1(VALU_DEP_1)
	v_mul_f32_e64 v13, 0x2f800000, |v12|
	v_floor_f32_e32 v13, v13
	s_delay_alu instid0(VALU_DEP_1) | instskip(SKIP_2) | instid1(VALU_DEP_3)
	v_fma_f32 v14, 0xcf800000, v13, |v12|
	v_ashrrev_i32_e32 v12, 31, v12
	v_cvt_u32_f32_e32 v13, v13
	v_cvt_u32_f32_e32 v14, v14
	s_delay_alu instid0(VALU_DEP_2) | instskip(NEXT) | instid1(VALU_DEP_2)
	v_xor_b32_e32 v13, v13, v12
	v_xor_b32_e32 v14, v14, v12
	s_delay_alu instid0(VALU_DEP_1) | instskip(NEXT) | instid1(VALU_DEP_3)
	v_sub_co_u32 v14, vcc_lo, v14, v12
	v_sub_co_ci_u32_e32 v12, vcc_lo, v13, v12, vcc_lo
	v_cmp_class_f32_e64 vcc_lo, v4, 0x1f8
	s_delay_alu instid0(VALU_DEP_2) | instskip(SKIP_1) | instid1(VALU_DEP_2)
	v_dual_cndmask_b32 v13, -1, v12 :: v_dual_cndmask_b32 v12, -1, v14
	v_mov_b32_e32 v14, 0
	v_cmpx_lt_i64_e32 -1, v[12:13]
	s_cbranch_execz .LBB72_153
; %bb.142:
	v_mov_b32_e32 v14, 1.0
	s_mov_b32 s11, exec_lo
	v_cmpx_lt_i64_e32 0, v[12:13]
	s_cbranch_execz .LBB72_152
; %bb.143:
	global_load_u16 v3, v3, s[2:3]
                                        ; implicit-def: $vgpr14
	s_mov_b32 s6, exec_lo
	s_waitcnt vmcnt(0)
	v_cvt_f32_f16_e32 v3, v3
	v_cmpx_ne_u64_e32 1, v[12:13]
	s_xor_b32 s12, exec_lo, s6
	s_cbranch_execz .LBB72_149
; %bb.144:
	v_mov_b32_e32 v14, 0x7fc00000
	s_mov_b32 s13, exec_lo
	v_cmpx_gt_u64_e32 0x81, v[12:13]
	s_cbranch_execz .LBB72_148
; %bb.145:
	v_add_f32_e32 v15, v3, v3
	v_lshlrev_b64 v[3:4], 1, v[12:13]
	v_mov_b32_e32 v12, 1.0
	s_mov_b64 s[6:7], 2
	s_mov_b32 s14, 0
	v_mov_b32_e32 v14, v15
	.p2align	6
.LBB72_146:                             ; =>This Inner Loop Header: Depth=1
	s_clz_i32_u32 s15, s7
	s_delay_alu instid0(SALU_CYCLE_1) | instskip(NEXT) | instid1(SALU_CYCLE_1)
	s_min_u32 s15, s15, 32
	s_lshl_b64 s[16:17], s[6:7], s15
	s_sub_i32 s15, 32, s15
	s_min_u32 s16, s16, 1
	s_delay_alu instid0(SALU_CYCLE_1) | instskip(SKIP_3) | instid1(SALU_CYCLE_1)
	s_or_b32 s16, s17, s16
	s_add_u32 s6, s6, 2
	v_cvt_f32_u32_e32 v13, s16
	s_addc_u32 s7, s7, 0
	v_cmp_ge_u64_e32 vcc_lo, s[6:7], v[3:4]
	s_delay_alu instid0(VALU_DEP_2) | instskip(SKIP_1) | instid1(VALU_DEP_1)
	v_ldexp_f32 v13, v13, s15
	s_or_b32 s14, vcc_lo, s14
	v_dual_mul_f32 v13, v12, v13 :: v_dual_mov_b32 v12, v14
	s_delay_alu instid0(VALU_DEP_1)
	v_fma_f32 v14, v15, v14, -v13
	s_and_not1_b32 exec_lo, exec_lo, s14
	s_cbranch_execnz .LBB72_146
; %bb.147:
	s_or_b32 exec_lo, exec_lo, s14
.LBB72_148:
	s_delay_alu instid0(SALU_CYCLE_1)
	s_or_b32 exec_lo, exec_lo, s13
                                        ; implicit-def: $vgpr3
.LBB72_149:
	s_and_not1_saveexec_b32 s6, s12
; %bb.150:
	v_add_f32_e32 v14, v3, v3
; %bb.151:
	s_or_b32 exec_lo, exec_lo, s6
.LBB72_152:
	s_delay_alu instid0(SALU_CYCLE_1)
	s_or_b32 exec_lo, exec_lo, s11
.LBB72_153:
	s_delay_alu instid0(SALU_CYCLE_1) | instskip(SKIP_4) | instid1(VALU_DEP_1)
	s_or_b32 exec_lo, exec_lo, s10
	global_load_b32 v3, v6, s[4:5]
	s_mov_b32 s10, exec_lo
	s_waitcnt vmcnt(0)
	v_trunc_f32_e32 v4, v3
	v_mul_f32_e64 v6, 0x2f800000, |v4|
	s_delay_alu instid0(VALU_DEP_1) | instskip(NEXT) | instid1(VALU_DEP_1)
	v_floor_f32_e32 v6, v6
	v_fma_f32 v12, 0xcf800000, v6, |v4|
	v_ashrrev_i32_e32 v4, 31, v4
	v_cvt_u32_f32_e32 v6, v6
	s_delay_alu instid0(VALU_DEP_3) | instskip(NEXT) | instid1(VALU_DEP_2)
	v_cvt_u32_f32_e32 v12, v12
	v_xor_b32_e32 v6, v6, v4
	s_delay_alu instid0(VALU_DEP_2) | instskip(NEXT) | instid1(VALU_DEP_1)
	v_xor_b32_e32 v12, v12, v4
	v_sub_co_u32 v12, vcc_lo, v12, v4
	s_delay_alu instid0(VALU_DEP_3) | instskip(SKIP_2) | instid1(VALU_DEP_3)
	v_sub_co_ci_u32_e32 v4, vcc_lo, v6, v4, vcc_lo
	v_cmp_class_f32_e64 vcc_lo, v3, 0x1f8
	v_mov_b32_e32 v6, 0
	v_cndmask_b32_e32 v4, -1, v4, vcc_lo
	v_cndmask_b32_e32 v3, -1, v12, vcc_lo
	s_delay_alu instid0(VALU_DEP_1)
	v_cmpx_lt_i64_e32 -1, v[3:4]
	s_cbranch_execz .LBB72_165
; %bb.154:
	v_mov_b32_e32 v6, 1.0
	s_mov_b32 s11, exec_lo
	v_cmpx_lt_i64_e32 0, v[3:4]
	s_cbranch_execz .LBB72_164
; %bb.155:
	global_load_u16 v5, v5, s[2:3]
                                        ; implicit-def: $vgpr6
	s_mov_b32 s6, exec_lo
	s_waitcnt vmcnt(0)
	v_cvt_f32_f16_e32 v5, v5
	v_cmpx_ne_u64_e32 1, v[3:4]
	s_xor_b32 s12, exec_lo, s6
	s_cbranch_execz .LBB72_161
; %bb.156:
	v_mov_b32_e32 v6, 0x7fc00000
	s_mov_b32 s13, exec_lo
	v_cmpx_gt_u64_e32 0x81, v[3:4]
	s_cbranch_execz .LBB72_160
; %bb.157:
	v_dual_add_f32 v5, v5, v5 :: v_dual_mov_b32 v12, 1.0
	v_lshlrev_b64 v[3:4], 1, v[3:4]
	s_mov_b64 s[6:7], 2
	s_mov_b32 s14, 0
	s_delay_alu instid0(VALU_DEP_2)
	v_mov_b32_e32 v6, v5
	.p2align	6
.LBB72_158:                             ; =>This Inner Loop Header: Depth=1
	s_clz_i32_u32 s15, s7
	s_delay_alu instid0(SALU_CYCLE_1) | instskip(NEXT) | instid1(SALU_CYCLE_1)
	s_min_u32 s15, s15, 32
	s_lshl_b64 s[16:17], s[6:7], s15
	s_sub_i32 s15, 32, s15
	s_min_u32 s16, s16, 1
	s_delay_alu instid0(SALU_CYCLE_1) | instskip(SKIP_3) | instid1(SALU_CYCLE_1)
	s_or_b32 s16, s17, s16
	s_add_u32 s6, s6, 2
	v_cvt_f32_u32_e32 v13, s16
	s_addc_u32 s7, s7, 0
	v_cmp_ge_u64_e32 vcc_lo, s[6:7], v[3:4]
	s_delay_alu instid0(VALU_DEP_2) | instskip(SKIP_1) | instid1(VALU_DEP_1)
	v_ldexp_f32 v13, v13, s15
	s_or_b32 s14, vcc_lo, s14
	v_dual_mul_f32 v13, v12, v13 :: v_dual_mov_b32 v12, v6
	s_delay_alu instid0(VALU_DEP_1)
	v_fma_f32 v6, v5, v6, -v13
	s_and_not1_b32 exec_lo, exec_lo, s14
	s_cbranch_execnz .LBB72_158
; %bb.159:
	s_or_b32 exec_lo, exec_lo, s14
.LBB72_160:
	s_delay_alu instid0(SALU_CYCLE_1)
	s_or_b32 exec_lo, exec_lo, s13
                                        ; implicit-def: $vgpr5
.LBB72_161:
	s_and_not1_saveexec_b32 s6, s12
; %bb.162:
	v_add_f32_e32 v6, v5, v5
; %bb.163:
	s_or_b32 exec_lo, exec_lo, s6
.LBB72_164:
	s_delay_alu instid0(SALU_CYCLE_1)
	s_or_b32 exec_lo, exec_lo, s11
.LBB72_165:
	s_delay_alu instid0(SALU_CYCLE_1) | instskip(SKIP_4) | instid1(VALU_DEP_1)
	s_or_b32 exec_lo, exec_lo, s10
	global_load_b32 v3, v9, s[4:5]
	s_mov_b32 s10, exec_lo
	s_waitcnt vmcnt(0)
	v_trunc_f32_e32 v4, v3
	v_mul_f32_e64 v5, 0x2f800000, |v4|
	s_delay_alu instid0(VALU_DEP_1) | instskip(NEXT) | instid1(VALU_DEP_1)
	v_floor_f32_e32 v5, v5
	v_fma_f32 v9, 0xcf800000, v5, |v4|
	v_ashrrev_i32_e32 v4, 31, v4
	v_cvt_u32_f32_e32 v5, v5
	s_delay_alu instid0(VALU_DEP_3) | instskip(NEXT) | instid1(VALU_DEP_2)
	v_cvt_u32_f32_e32 v9, v9
	v_xor_b32_e32 v5, v5, v4
	s_delay_alu instid0(VALU_DEP_2) | instskip(NEXT) | instid1(VALU_DEP_1)
	v_xor_b32_e32 v9, v9, v4
	v_sub_co_u32 v9, vcc_lo, v9, v4
	s_delay_alu instid0(VALU_DEP_3) | instskip(SKIP_1) | instid1(VALU_DEP_2)
	v_sub_co_ci_u32_e32 v4, vcc_lo, v5, v4, vcc_lo
	v_cmp_class_f32_e64 vcc_lo, v3, 0x1f8
	v_dual_mov_b32 v5, 0 :: v_dual_cndmask_b32 v4, -1, v4
	s_delay_alu instid0(VALU_DEP_4) | instskip(NEXT) | instid1(VALU_DEP_1)
	v_cndmask_b32_e32 v3, -1, v9, vcc_lo
	v_cmpx_lt_i64_e32 -1, v[3:4]
	s_cbranch_execz .LBB72_177
; %bb.166:
	v_mov_b32_e32 v5, 1.0
	s_mov_b32 s11, exec_lo
	v_cmpx_lt_i64_e32 0, v[3:4]
	s_cbranch_execz .LBB72_176
; %bb.167:
	global_load_u16 v5, v8, s[2:3]
	s_mov_b32 s6, exec_lo
	s_waitcnt vmcnt(0)
	v_cvt_f32_f16_e32 v8, v5
                                        ; implicit-def: $vgpr5
	v_cmpx_ne_u64_e32 1, v[3:4]
	s_xor_b32 s12, exec_lo, s6
	s_cbranch_execz .LBB72_173
; %bb.168:
	v_mov_b32_e32 v5, 0x7fc00000
	s_mov_b32 s13, exec_lo
	v_cmpx_gt_u64_e32 0x81, v[3:4]
	s_cbranch_execz .LBB72_172
; %bb.169:
	v_dual_add_f32 v8, v8, v8 :: v_dual_mov_b32 v9, 1.0
	v_lshlrev_b64 v[3:4], 1, v[3:4]
	s_mov_b64 s[6:7], 2
	s_mov_b32 s14, 0
	s_delay_alu instid0(VALU_DEP_2)
	v_mov_b32_e32 v5, v8
	.p2align	6
.LBB72_170:                             ; =>This Inner Loop Header: Depth=1
	s_clz_i32_u32 s15, s7
	s_delay_alu instid0(SALU_CYCLE_1) | instskip(NEXT) | instid1(SALU_CYCLE_1)
	s_min_u32 s15, s15, 32
	s_lshl_b64 s[16:17], s[6:7], s15
	s_sub_i32 s15, 32, s15
	s_min_u32 s16, s16, 1
	s_delay_alu instid0(SALU_CYCLE_1) | instskip(SKIP_3) | instid1(SALU_CYCLE_1)
	s_or_b32 s16, s17, s16
	s_add_u32 s6, s6, 2
	v_cvt_f32_u32_e32 v12, s16
	s_addc_u32 s7, s7, 0
	v_cmp_ge_u64_e32 vcc_lo, s[6:7], v[3:4]
	s_delay_alu instid0(VALU_DEP_2) | instskip(SKIP_1) | instid1(VALU_DEP_1)
	v_ldexp_f32 v12, v12, s15
	s_or_b32 s14, vcc_lo, s14
	v_mul_f32_e32 v12, v9, v12
	v_mov_b32_e32 v9, v5
	s_delay_alu instid0(VALU_DEP_2)
	v_fma_f32 v5, v8, v5, -v12
	s_and_not1_b32 exec_lo, exec_lo, s14
	s_cbranch_execnz .LBB72_170
; %bb.171:
	s_or_b32 exec_lo, exec_lo, s14
.LBB72_172:
	s_delay_alu instid0(SALU_CYCLE_1)
	s_or_b32 exec_lo, exec_lo, s13
                                        ; implicit-def: $vgpr8
.LBB72_173:
	s_and_not1_saveexec_b32 s6, s12
; %bb.174:
	v_add_f32_e32 v5, v8, v8
; %bb.175:
	s_or_b32 exec_lo, exec_lo, s6
.LBB72_176:
	s_delay_alu instid0(SALU_CYCLE_1)
	s_or_b32 exec_lo, exec_lo, s11
.LBB72_177:
	s_delay_alu instid0(SALU_CYCLE_1) | instskip(SKIP_4) | instid1(VALU_DEP_1)
	s_or_b32 exec_lo, exec_lo, s10
	global_load_b32 v3, v11, s[4:5]
	s_mov_b32 s4, exec_lo
	s_waitcnt vmcnt(0)
	v_trunc_f32_e32 v4, v3
	v_mul_f32_e64 v8, 0x2f800000, |v4|
	s_delay_alu instid0(VALU_DEP_1) | instskip(NEXT) | instid1(VALU_DEP_1)
	v_floor_f32_e32 v8, v8
	v_fma_f32 v9, 0xcf800000, v8, |v4|
	v_ashrrev_i32_e32 v4, 31, v4
	v_cvt_u32_f32_e32 v8, v8
	s_delay_alu instid0(VALU_DEP_3) | instskip(NEXT) | instid1(VALU_DEP_2)
	v_cvt_u32_f32_e32 v9, v9
	v_xor_b32_e32 v8, v8, v4
	s_delay_alu instid0(VALU_DEP_2) | instskip(NEXT) | instid1(VALU_DEP_1)
	v_xor_b32_e32 v9, v9, v4
	v_sub_co_u32 v9, vcc_lo, v9, v4
	s_delay_alu instid0(VALU_DEP_3) | instskip(SKIP_2) | instid1(VALU_DEP_3)
	v_sub_co_ci_u32_e32 v4, vcc_lo, v8, v4, vcc_lo
	v_cmp_class_f32_e64 vcc_lo, v3, 0x1f8
	v_mov_b32_e32 v8, 0
	v_dual_cndmask_b32 v4, -1, v4 :: v_dual_cndmask_b32 v3, -1, v9
	s_delay_alu instid0(VALU_DEP_1)
	v_cmpx_lt_i64_e32 -1, v[3:4]
	s_cbranch_execz .LBB72_189
; %bb.178:
	v_mov_b32_e32 v8, 1.0
	s_mov_b32 s5, exec_lo
	v_cmpx_lt_i64_e32 0, v[3:4]
	s_cbranch_execz .LBB72_188
; %bb.179:
	global_load_u16 v8, v10, s[2:3]
	s_mov_b32 s2, exec_lo
	s_waitcnt vmcnt(0)
	v_cvt_f32_f16_e32 v9, v8
                                        ; implicit-def: $vgpr8
	v_cmpx_ne_u64_e32 1, v[3:4]
	s_xor_b32 s6, exec_lo, s2
	s_cbranch_execz .LBB72_185
; %bb.180:
	v_mov_b32_e32 v8, 0x7fc00000
	s_mov_b32 s7, exec_lo
	v_cmpx_gt_u64_e32 0x81, v[3:4]
	s_cbranch_execz .LBB72_184
; %bb.181:
	v_dual_add_f32 v9, v9, v9 :: v_dual_mov_b32 v10, 1.0
	v_lshlrev_b64 v[3:4], 1, v[3:4]
	s_mov_b64 s[2:3], 2
	s_mov_b32 s10, 0
	s_delay_alu instid0(VALU_DEP_2)
	v_mov_b32_e32 v8, v9
	.p2align	6
.LBB72_182:                             ; =>This Inner Loop Header: Depth=1
	s_clz_i32_u32 s11, s3
	s_delay_alu instid0(SALU_CYCLE_1) | instskip(NEXT) | instid1(SALU_CYCLE_1)
	s_min_u32 s11, s11, 32
	s_lshl_b64 s[12:13], s[2:3], s11
	s_sub_i32 s11, 32, s11
	s_min_u32 s12, s12, 1
	s_delay_alu instid0(SALU_CYCLE_1) | instskip(SKIP_3) | instid1(SALU_CYCLE_1)
	s_or_b32 s12, s13, s12
	s_add_u32 s2, s2, 2
	v_cvt_f32_u32_e32 v11, s12
	s_addc_u32 s3, s3, 0
	v_cmp_ge_u64_e32 vcc_lo, s[2:3], v[3:4]
	s_delay_alu instid0(VALU_DEP_2) | instskip(SKIP_1) | instid1(VALU_DEP_1)
	v_ldexp_f32 v11, v11, s11
	s_or_b32 s10, vcc_lo, s10
	v_dual_mul_f32 v11, v10, v11 :: v_dual_mov_b32 v10, v8
	s_delay_alu instid0(VALU_DEP_1)
	v_fma_f32 v8, v9, v8, -v11
	s_and_not1_b32 exec_lo, exec_lo, s10
	s_cbranch_execnz .LBB72_182
; %bb.183:
	s_or_b32 exec_lo, exec_lo, s10
.LBB72_184:
	s_delay_alu instid0(SALU_CYCLE_1)
	s_or_b32 exec_lo, exec_lo, s7
                                        ; implicit-def: $vgpr9
.LBB72_185:
	s_and_not1_saveexec_b32 s2, s6
; %bb.186:
	v_add_f32_e32 v8, v9, v9
; %bb.187:
	s_or_b32 exec_lo, exec_lo, s2
.LBB72_188:
	s_delay_alu instid0(SALU_CYCLE_1)
	s_or_b32 exec_lo, exec_lo, s5
.LBB72_189:
	s_delay_alu instid0(SALU_CYCLE_1)
	s_or_b32 exec_lo, exec_lo, s4
	v_add_co_u32 v3, s2, s0, v7
	v_cvt_f16_f32_e32 v9, v14
	v_cvt_f16_f32_e32 v5, v5
	v_add_co_ci_u32_e64 v4, null, s1, 0, s2
	v_cvt_f16_f32_e32 v6, v6
	s_or_b32 s8, s8, exec_lo
	s_clause 0x2
	global_store_b16 v0, v9, s[0:1]
	global_store_b16 v1, v6, s[0:1]
	global_store_b16 v2, v5, s[0:1]
	s_or_b32 exec_lo, exec_lo, s9
	s_and_saveexec_b32 s0, s8
	s_cbranch_execz .LBB72_3
.LBB72_190:
	v_cvt_f16_f32_e32 v0, v8
	global_store_b16 v[3:4], v0, off
	s_nop 0
	s_sendmsg sendmsg(MSG_DEALLOC_VGPRS)
	s_endpgm
	.section	.rodata,"a",@progbits
	.p2align	6, 0x0
	.amdhsa_kernel _ZN2at6native32elementwise_kernel_manual_unrollILi128ELi4EZNS0_12_GLOBAL__N_142type_specialized_broadcast_kernel_launcherILi5EE5applyINS0_13BinaryFunctorIfffZZZNS2_32hermite_polynomial_h_kernel_cudaERNS_18TensorIteratorBaseEENKUlvE_clEvENKUlvE0_clEvEUlffE_EESt5arrayIPcLm3EESD_IN3c1010ScalarTypeELm3EE16OffsetCalculatorILi3EjLb0EEEEvlT_T0_T1_T2_EUlibE_EEviSN_
		.amdhsa_group_segment_fixed_size 0
		.amdhsa_private_segment_fixed_size 0
		.amdhsa_kernarg_size 432
		.amdhsa_user_sgpr_count 15
		.amdhsa_user_sgpr_dispatch_ptr 0
		.amdhsa_user_sgpr_queue_ptr 0
		.amdhsa_user_sgpr_kernarg_segment_ptr 1
		.amdhsa_user_sgpr_dispatch_id 0
		.amdhsa_user_sgpr_private_segment_size 0
		.amdhsa_wavefront_size32 1
		.amdhsa_uses_dynamic_stack 0
		.amdhsa_enable_private_segment 0
		.amdhsa_system_sgpr_workgroup_id_x 1
		.amdhsa_system_sgpr_workgroup_id_y 0
		.amdhsa_system_sgpr_workgroup_id_z 0
		.amdhsa_system_sgpr_workgroup_info 0
		.amdhsa_system_vgpr_workitem_id 0
		.amdhsa_next_free_vgpr 20
		.amdhsa_next_free_sgpr 44
		.amdhsa_reserve_vcc 1
		.amdhsa_float_round_mode_32 0
		.amdhsa_float_round_mode_16_64 0
		.amdhsa_float_denorm_mode_32 3
		.amdhsa_float_denorm_mode_16_64 3
		.amdhsa_dx10_clamp 1
		.amdhsa_ieee_mode 1
		.amdhsa_fp16_overflow 0
		.amdhsa_workgroup_processor_mode 1
		.amdhsa_memory_ordered 1
		.amdhsa_forward_progress 0
		.amdhsa_shared_vgpr_count 0
		.amdhsa_exception_fp_ieee_invalid_op 0
		.amdhsa_exception_fp_denorm_src 0
		.amdhsa_exception_fp_ieee_div_zero 0
		.amdhsa_exception_fp_ieee_overflow 0
		.amdhsa_exception_fp_ieee_underflow 0
		.amdhsa_exception_fp_ieee_inexact 0
		.amdhsa_exception_int_div_zero 0
	.end_amdhsa_kernel
	.section	.text._ZN2at6native32elementwise_kernel_manual_unrollILi128ELi4EZNS0_12_GLOBAL__N_142type_specialized_broadcast_kernel_launcherILi5EE5applyINS0_13BinaryFunctorIfffZZZNS2_32hermite_polynomial_h_kernel_cudaERNS_18TensorIteratorBaseEENKUlvE_clEvENKUlvE0_clEvEUlffE_EESt5arrayIPcLm3EESD_IN3c1010ScalarTypeELm3EE16OffsetCalculatorILi3EjLb0EEEEvlT_T0_T1_T2_EUlibE_EEviSN_,"axG",@progbits,_ZN2at6native32elementwise_kernel_manual_unrollILi128ELi4EZNS0_12_GLOBAL__N_142type_specialized_broadcast_kernel_launcherILi5EE5applyINS0_13BinaryFunctorIfffZZZNS2_32hermite_polynomial_h_kernel_cudaERNS_18TensorIteratorBaseEENKUlvE_clEvENKUlvE0_clEvEUlffE_EESt5arrayIPcLm3EESD_IN3c1010ScalarTypeELm3EE16OffsetCalculatorILi3EjLb0EEEEvlT_T0_T1_T2_EUlibE_EEviSN_,comdat
.Lfunc_end72:
	.size	_ZN2at6native32elementwise_kernel_manual_unrollILi128ELi4EZNS0_12_GLOBAL__N_142type_specialized_broadcast_kernel_launcherILi5EE5applyINS0_13BinaryFunctorIfffZZZNS2_32hermite_polynomial_h_kernel_cudaERNS_18TensorIteratorBaseEENKUlvE_clEvENKUlvE0_clEvEUlffE_EESt5arrayIPcLm3EESD_IN3c1010ScalarTypeELm3EE16OffsetCalculatorILi3EjLb0EEEEvlT_T0_T1_T2_EUlibE_EEviSN_, .Lfunc_end72-_ZN2at6native32elementwise_kernel_manual_unrollILi128ELi4EZNS0_12_GLOBAL__N_142type_specialized_broadcast_kernel_launcherILi5EE5applyINS0_13BinaryFunctorIfffZZZNS2_32hermite_polynomial_h_kernel_cudaERNS_18TensorIteratorBaseEENKUlvE_clEvENKUlvE0_clEvEUlffE_EESt5arrayIPcLm3EESD_IN3c1010ScalarTypeELm3EE16OffsetCalculatorILi3EjLb0EEEEvlT_T0_T1_T2_EUlibE_EEviSN_
                                        ; -- End function
	.section	.AMDGPU.csdata,"",@progbits
; Kernel info:
; codeLenInByte = 8644
; NumSgprs: 46
; NumVgprs: 20
; ScratchSize: 0
; MemoryBound: 0
; FloatMode: 240
; IeeeMode: 1
; LDSByteSize: 0 bytes/workgroup (compile time only)
; SGPRBlocks: 5
; VGPRBlocks: 2
; NumSGPRsForWavesPerEU: 46
; NumVGPRsForWavesPerEU: 20
; Occupancy: 16
; WaveLimiterHint : 1
; COMPUTE_PGM_RSRC2:SCRATCH_EN: 0
; COMPUTE_PGM_RSRC2:USER_SGPR: 15
; COMPUTE_PGM_RSRC2:TRAP_HANDLER: 0
; COMPUTE_PGM_RSRC2:TGID_X_EN: 1
; COMPUTE_PGM_RSRC2:TGID_Y_EN: 0
; COMPUTE_PGM_RSRC2:TGID_Z_EN: 0
; COMPUTE_PGM_RSRC2:TIDIG_COMP_CNT: 0
	.section	.text._ZN2at6native32elementwise_kernel_manual_unrollILi128ELi4EZNS0_15gpu_kernel_implINS0_13BinaryFunctorIfffZZZNS0_12_GLOBAL__N_132hermite_polynomial_h_kernel_cudaERNS_18TensorIteratorBaseEENKUlvE_clEvENKUlvE0_clEvEUlffE_EEEEvS6_RKT_EUlibE0_EEviT1_,"axG",@progbits,_ZN2at6native32elementwise_kernel_manual_unrollILi128ELi4EZNS0_15gpu_kernel_implINS0_13BinaryFunctorIfffZZZNS0_12_GLOBAL__N_132hermite_polynomial_h_kernel_cudaERNS_18TensorIteratorBaseEENKUlvE_clEvENKUlvE0_clEvEUlffE_EEEEvS6_RKT_EUlibE0_EEviT1_,comdat
	.globl	_ZN2at6native32elementwise_kernel_manual_unrollILi128ELi4EZNS0_15gpu_kernel_implINS0_13BinaryFunctorIfffZZZNS0_12_GLOBAL__N_132hermite_polynomial_h_kernel_cudaERNS_18TensorIteratorBaseEENKUlvE_clEvENKUlvE0_clEvEUlffE_EEEEvS6_RKT_EUlibE0_EEviT1_ ; -- Begin function _ZN2at6native32elementwise_kernel_manual_unrollILi128ELi4EZNS0_15gpu_kernel_implINS0_13BinaryFunctorIfffZZZNS0_12_GLOBAL__N_132hermite_polynomial_h_kernel_cudaERNS_18TensorIteratorBaseEENKUlvE_clEvENKUlvE0_clEvEUlffE_EEEEvS6_RKT_EUlibE0_EEviT1_
	.p2align	8
	.type	_ZN2at6native32elementwise_kernel_manual_unrollILi128ELi4EZNS0_15gpu_kernel_implINS0_13BinaryFunctorIfffZZZNS0_12_GLOBAL__N_132hermite_polynomial_h_kernel_cudaERNS_18TensorIteratorBaseEENKUlvE_clEvENKUlvE0_clEvEUlffE_EEEEvS6_RKT_EUlibE0_EEviT1_,@function
_ZN2at6native32elementwise_kernel_manual_unrollILi128ELi4EZNS0_15gpu_kernel_implINS0_13BinaryFunctorIfffZZZNS0_12_GLOBAL__N_132hermite_polynomial_h_kernel_cudaERNS_18TensorIteratorBaseEENKUlvE_clEvENKUlvE0_clEvEUlffE_EEEEvS6_RKT_EUlibE0_EEviT1_: ; @_ZN2at6native32elementwise_kernel_manual_unrollILi128ELi4EZNS0_15gpu_kernel_implINS0_13BinaryFunctorIfffZZZNS0_12_GLOBAL__N_132hermite_polynomial_h_kernel_cudaERNS_18TensorIteratorBaseEENKUlvE_clEvENKUlvE0_clEvEUlffE_EEEEvS6_RKT_EUlibE0_EEviT1_
; %bb.0:
	s_clause 0x1
	s_load_b32 s24, s[0:1], 0x8
	s_load_b32 s31, s[0:1], 0x0
	v_lshl_or_b32 v8, s15, 9, v0
	s_or_b32 s16, s0, 8
	s_mov_b32 s2, -1
	s_mov_b32 s26, 0
	s_mov_b32 s17, s1
	v_or_b32_e32 v13, 0x180, v8
	s_mov_b32 s8, 0
	s_mov_b32 s3, exec_lo
	s_waitcnt lgkmcnt(0)
	s_add_i32 s25, s24, -1
	s_delay_alu instid0(SALU_CYCLE_1)
	s_cmp_gt_u32 s25, 1
	s_cselect_b32 s27, -1, 0
	v_cmpx_le_i32_e64 s31, v13
	s_xor_b32 s28, exec_lo, s3
	s_cbranch_execz .LBB73_1630
; %bb.1:
	v_mov_b32_e32 v0, 0
	s_cmp_lg_u32 s24, 0
	s_mov_b32 s38, 0
	s_cselect_b32 s33, -1, 0
	s_min_u32 s30, s25, 15
	s_clause 0x1
	global_load_u16 v5, v0, s[16:17] offset:417
	global_load_i8 v6, v0, s[16:17] offset:419
	s_clause 0x5
	s_load_b128 s[12:15], s[16:17], 0x4
	s_load_b64 s[22:23], s[16:17], 0x14
	s_load_b128 s[8:11], s[16:17], 0xc4
	s_load_b64 s[20:21], s[16:17], 0xd4
	s_load_b64 s[18:19], s[16:17], 0x198
	s_load_b128 s[4:7], s[16:17], 0x188
	s_cmp_gt_u32 s24, 1
	s_mov_b32 s36, 0
	s_cselect_b32 s29, -1, 0
	s_mov_b32 s35, 0
	s_mov_b32 s34, 0
	s_mov_b32 s37, exec_lo
	s_waitcnt vmcnt(1)
	v_lshrrev_b32_e32 v7, 8, v5
	v_cmpx_gt_i32_e64 s31, v8
	s_cbranch_execz .LBB73_401
; %bb.2:
	s_and_not1_b32 vcc_lo, exec_lo, s27
	s_cbranch_vccnz .LBB73_8
; %bb.3:
	v_dual_mov_b32 v0, 0 :: v_dual_mov_b32 v1, 0
	v_mov_b32_e32 v2, 0
	s_and_not1_b32 vcc_lo, exec_lo, s33
	s_cbranch_vccnz .LBB73_9
; %bb.4:
	s_add_i32 s2, s30, 1
	v_dual_mov_b32 v1, 0 :: v_dual_mov_b32 v2, 0
	v_dual_mov_b32 v0, 0 :: v_dual_mov_b32 v3, v8
	s_and_b32 s35, s2, 30
	s_add_u32 s2, s16, 0xffffffec
	s_addc_u32 s3, s17, -1
	s_set_inst_prefetch_distance 0x1
	.p2align	6
.LBB73_5:                               ; =>This Inner Loop Header: Depth=1
	s_clause 0x2
	s_load_b128 s[40:43], s[2:3], 0x18
	s_load_b64 s[48:49], s[2:3], 0x28
	s_load_b128 s[44:47], s[2:3], 0xd8
	s_waitcnt lgkmcnt(0)
	v_mul_hi_u32 v4, s41, v3
	s_delay_alu instid0(VALU_DEP_1) | instskip(NEXT) | instid1(VALU_DEP_1)
	v_add_nc_u32_e32 v4, v3, v4
	v_lshrrev_b32_e32 v4, s42, v4
	s_delay_alu instid0(VALU_DEP_1)
	v_mul_hi_u32 v9, s48, v4
	v_mul_lo_u32 v10, v4, s40
	s_load_b64 s[40:41], s[2:3], 0xe8
	s_add_u32 s2, s2, 24
	s_addc_u32 s3, s3, 0
	s_add_i32 s35, s35, -2
	s_delay_alu instid0(SALU_CYCLE_1) | instskip(NEXT) | instid1(VALU_DEP_2)
	s_cmp_lg_u32 s35, 0
	v_add_nc_u32_e32 v9, v4, v9
	s_delay_alu instid0(VALU_DEP_2) | instskip(NEXT) | instid1(VALU_DEP_2)
	v_sub_nc_u32_e32 v10, v3, v10
	v_lshrrev_b32_e32 v3, s49, v9
	s_delay_alu instid0(VALU_DEP_2) | instskip(NEXT) | instid1(VALU_DEP_2)
	v_mul_lo_u32 v11, v10, s44
	v_mul_lo_u32 v9, v3, s43
	s_delay_alu instid0(VALU_DEP_1) | instskip(SKIP_2) | instid1(VALU_DEP_3)
	v_sub_nc_u32_e32 v4, v4, v9
	v_mul_lo_u32 v9, v10, s45
	v_mul_lo_u32 v10, v10, s46
	;; [unrolled: 1-line block ×3, first 2 shown]
	s_waitcnt lgkmcnt(0)
	v_mul_lo_u32 v13, v4, s40
	v_mul_lo_u32 v4, v4, s41
	s_delay_alu instid0(VALU_DEP_3) | instskip(NEXT) | instid1(VALU_DEP_3)
	v_add3_u32 v0, v11, v0, v12
	v_add3_u32 v2, v9, v2, v13
	s_delay_alu instid0(VALU_DEP_3)
	v_add3_u32 v1, v10, v1, v4
	s_cbranch_scc1 .LBB73_5
; %bb.6:
	s_set_inst_prefetch_distance 0x2
	s_bitcmp1_b32 s30, 0
	s_cselect_b32 s35, -1, 0
	s_delay_alu instid0(SALU_CYCLE_1)
	s_and_b32 vcc_lo, exec_lo, s35
	s_cbranch_vccnz .LBB73_9
; %bb.7:
	s_clause 0x3
	s_load_b64 s[40:41], s[2:3], 0x18
	s_load_b32 s35, s[2:3], 0x20
	s_load_b64 s[42:43], s[2:3], 0xd8
	s_load_b32 s2, s[2:3], 0xe0
	s_waitcnt lgkmcnt(0)
	v_mul_hi_u32 v4, s41, v3
	s_delay_alu instid0(VALU_DEP_1) | instskip(NEXT) | instid1(VALU_DEP_1)
	v_add_nc_u32_e32 v4, v3, v4
	v_lshrrev_b32_e32 v4, s35, v4
	s_delay_alu instid0(VALU_DEP_1) | instskip(NEXT) | instid1(VALU_DEP_1)
	v_mul_lo_u32 v4, v4, s40
	v_sub_nc_u32_e32 v12, v3, v4
	s_delay_alu instid0(VALU_DEP_1) | instskip(NEXT) | instid1(VALU_DEP_1)
	v_mad_u64_u32 v[3:4], null, v12, s42, v[0:1]
	v_mad_u64_u32 v[9:10], null, v12, s43, v[2:3]
	v_mad_u64_u32 v[10:11], null, v12, s2, v[1:2]
	v_mov_b32_e32 v0, v3
	s_delay_alu instid0(VALU_DEP_2)
	v_dual_mov_b32 v2, v9 :: v_dual_mov_b32 v1, v10
	s_branch .LBB73_9
.LBB73_8:
	s_mov_b32 s34, -1
                                        ; implicit-def: $vgpr0
                                        ; implicit-def: $vgpr2
                                        ; implicit-def: $vgpr1
.LBB73_9:
	s_delay_alu instid0(SALU_CYCLE_1)
	s_and_not1_b32 vcc_lo, exec_lo, s34
	s_cbranch_vccnz .LBB73_12
; %bb.10:
	s_waitcnt lgkmcnt(0)
	v_mul_hi_u32 v0, s13, v8
	s_and_not1_b32 vcc_lo, exec_lo, s29
	s_delay_alu instid0(VALU_DEP_1) | instskip(NEXT) | instid1(VALU_DEP_1)
	v_add_nc_u32_e32 v0, v8, v0
	v_lshrrev_b32_e32 v3, s14, v0
	s_delay_alu instid0(VALU_DEP_1) | instskip(NEXT) | instid1(VALU_DEP_1)
	v_mul_lo_u32 v0, v3, s12
	v_sub_nc_u32_e32 v1, v8, v0
	s_delay_alu instid0(VALU_DEP_1)
	v_mul_lo_u32 v0, v1, s8
	v_mul_lo_u32 v2, v1, s9
	;; [unrolled: 1-line block ×3, first 2 shown]
	s_cbranch_vccnz .LBB73_12
; %bb.11:
	v_mul_hi_u32 v4, s22, v3
	s_delay_alu instid0(VALU_DEP_1) | instskip(NEXT) | instid1(VALU_DEP_1)
	v_add_nc_u32_e32 v4, v3, v4
	v_lshrrev_b32_e32 v4, s23, v4
	s_delay_alu instid0(VALU_DEP_1) | instskip(NEXT) | instid1(VALU_DEP_1)
	v_mul_lo_u32 v4, v4, s15
	v_sub_nc_u32_e32 v12, v3, v4
	s_delay_alu instid0(VALU_DEP_1) | instskip(NEXT) | instid1(VALU_DEP_1)
	v_mad_u64_u32 v[3:4], null, v12, s11, v[0:1]
	v_mad_u64_u32 v[9:10], null, v12, s20, v[2:3]
	;; [unrolled: 1-line block ×3, first 2 shown]
	v_mov_b32_e32 v0, v3
	s_delay_alu instid0(VALU_DEP_2)
	v_dual_mov_b32 v2, v9 :: v_dual_mov_b32 v1, v10
.LBB73_12:
	v_and_b32_e32 v9, 0xff, v7
	s_waitcnt lgkmcnt(0)
	s_delay_alu instid0(VALU_DEP_2) | instskip(NEXT) | instid1(VALU_DEP_1)
	v_add_co_u32 v2, s2, s6, v2
	v_add_co_ci_u32_e64 v3, null, s7, 0, s2
	s_delay_alu instid0(VALU_DEP_3)
	v_cmp_gt_i16_e32 vcc_lo, 11, v9
	s_mov_b32 s36, 0
	s_cbranch_vccnz .LBB73_19
; %bb.13:
	v_cmp_lt_i16_e32 vcc_lo, 25, v9
	s_cbranch_vccz .LBB73_28
; %bb.14:
	v_cmp_lt_i16_e32 vcc_lo, 28, v9
	s_cbranch_vccz .LBB73_160
	;; [unrolled: 3-line block ×4, first 2 shown]
; %bb.17:
	v_cmp_eq_u16_e32 vcc_lo, 46, v9
	s_mov_b32 s3, 0
	s_cbranch_vccz .LBB73_166
; %bb.18:
	global_load_b32 v4, v[2:3], off
	s_mov_b32 s2, -1
	s_waitcnt vmcnt(0)
	v_lshlrev_b32_e32 v4, 16, v4
	s_branch .LBB73_168
.LBB73_19:
	s_mov_b32 s2, 0
                                        ; implicit-def: $vgpr4
	s_cbranch_execnz .LBB73_233
.LBB73_20:
	s_and_not1_b32 vcc_lo, exec_lo, s2
	s_cbranch_vccnz .LBB73_280
.LBB73_21:
	s_waitcnt vmcnt(0)
	v_and_b32_e32 v3, 0xff, v6
	v_add_co_u32 v1, s2, s18, v1
	s_delay_alu instid0(VALU_DEP_1) | instskip(NEXT) | instid1(VALU_DEP_3)
	v_add_co_ci_u32_e64 v2, null, s19, 0, s2
	v_cmp_gt_i16_e32 vcc_lo, 11, v3
	s_mov_b32 s35, 0
	s_cbranch_vccnz .LBB73_29
; %bb.22:
	v_cmp_lt_i16_e32 vcc_lo, 25, v3
	s_cbranch_vccz .LBB73_161
; %bb.23:
	v_cmp_lt_i16_e32 vcc_lo, 28, v3
	s_cbranch_vccz .LBB73_163
	;; [unrolled: 3-line block ×4, first 2 shown]
; %bb.26:
	v_cmp_eq_u16_e32 vcc_lo, 46, v3
	s_mov_b32 s3, 0
	s_cbranch_vccz .LBB73_281
; %bb.27:
	global_load_b32 v9, v[1:2], off
	s_mov_b32 s2, -1
	s_waitcnt vmcnt(0)
	v_lshlrev_b32_e32 v9, 16, v9
	s_branch .LBB73_283
.LBB73_28:
	s_mov_b32 s2, 0
                                        ; implicit-def: $vgpr4
	s_cbranch_execnz .LBB73_198
	s_branch .LBB73_232
.LBB73_29:
	s_mov_b32 s2, 0
                                        ; implicit-def: $vgpr9
	s_cbranch_execnz .LBB73_350
.LBB73_30:
	s_and_not1_b32 vcc_lo, exec_lo, s2
	s_cbranch_vccnz .LBB73_398
.LBB73_31:
	s_waitcnt vmcnt(0)
	s_delay_alu instid0(VALU_DEP_1) | instskip(SKIP_1) | instid1(VALU_DEP_1)
	v_trunc_f32_e32 v1, v9
	s_mov_b32 s34, exec_lo
	v_mul_f32_e64 v2, 0x2f800000, |v1|
	s_delay_alu instid0(VALU_DEP_1) | instskip(NEXT) | instid1(VALU_DEP_1)
	v_floor_f32_e32 v2, v2
	v_fma_f32 v3, 0xcf800000, v2, |v1|
	v_ashrrev_i32_e32 v1, 31, v1
	v_cvt_u32_f32_e32 v2, v2
	s_delay_alu instid0(VALU_DEP_3) | instskip(NEXT) | instid1(VALU_DEP_2)
	v_cvt_u32_f32_e32 v3, v3
	v_xor_b32_e32 v2, v2, v1
	s_delay_alu instid0(VALU_DEP_2) | instskip(NEXT) | instid1(VALU_DEP_1)
	v_xor_b32_e32 v3, v3, v1
	v_sub_co_u32 v10, vcc_lo, v3, v1
	s_delay_alu instid0(VALU_DEP_3) | instskip(SKIP_1) | instid1(VALU_DEP_2)
	v_sub_co_ci_u32_e32 v1, vcc_lo, v2, v1, vcc_lo
	v_cmp_class_f32_e64 vcc_lo, v9, 0x1f8
	v_dual_cndmask_b32 v3, -1, v1 :: v_dual_cndmask_b32 v2, -1, v10
	v_mov_b32_e32 v1, 0
	s_delay_alu instid0(VALU_DEP_2)
	v_cmpx_lt_i64_e32 -1, v[2:3]
	s_cbranch_execz .LBB73_43
; %bb.32:
	v_mov_b32_e32 v1, 1.0
	s_mov_b32 s39, exec_lo
	v_cmpx_lt_i64_e32 0, v[2:3]
	s_cbranch_execz .LBB73_42
; %bb.33:
                                        ; implicit-def: $vgpr1
	s_mov_b32 s2, exec_lo
	v_cmpx_ne_u64_e32 1, v[2:3]
	s_xor_b32 s40, exec_lo, s2
	s_cbranch_execz .LBB73_39
; %bb.34:
	v_mov_b32_e32 v1, 0x7fc00000
	s_mov_b32 s41, exec_lo
	v_cmpx_gt_u64_e32 0x81, v[2:3]
	s_cbranch_execz .LBB73_38
; %bb.35:
	v_dual_add_f32 v4, v4, v4 :: v_dual_mov_b32 v9, 1.0
	v_lshlrev_b64 v[2:3], 1, v[2:3]
	s_mov_b64 s[2:3], 2
	s_mov_b32 s42, 0
	s_delay_alu instid0(VALU_DEP_2)
	v_mov_b32_e32 v1, v4
.LBB73_36:                              ; =>This Inner Loop Header: Depth=1
	s_clz_i32_u32 s43, s3
	s_delay_alu instid0(SALU_CYCLE_1) | instskip(NEXT) | instid1(SALU_CYCLE_1)
	s_min_u32 s43, s43, 32
	s_lshl_b64 s[44:45], s[2:3], s43
	s_sub_i32 s43, 32, s43
	s_min_u32 s44, s44, 1
	s_delay_alu instid0(SALU_CYCLE_1) | instskip(SKIP_3) | instid1(SALU_CYCLE_1)
	s_or_b32 s44, s45, s44
	s_add_u32 s2, s2, 2
	v_cvt_f32_u32_e32 v10, s44
	s_addc_u32 s3, s3, 0
	v_cmp_ge_u64_e32 vcc_lo, s[2:3], v[2:3]
	s_delay_alu instid0(VALU_DEP_2) | instskip(SKIP_1) | instid1(VALU_DEP_1)
	v_ldexp_f32 v10, v10, s43
	s_or_b32 s42, vcc_lo, s42
	v_mul_f32_e32 v10, v9, v10
	v_mov_b32_e32 v9, v1
	s_delay_alu instid0(VALU_DEP_2)
	v_fma_f32 v1, v4, v1, -v10
	s_and_not1_b32 exec_lo, exec_lo, s42
	s_cbranch_execnz .LBB73_36
; %bb.37:
	s_or_b32 exec_lo, exec_lo, s42
.LBB73_38:
	s_delay_alu instid0(SALU_CYCLE_1)
	s_or_b32 exec_lo, exec_lo, s41
                                        ; implicit-def: $vgpr4
.LBB73_39:
	s_and_not1_saveexec_b32 s2, s40
; %bb.40:
	v_add_f32_e32 v1, v4, v4
; %bb.41:
	s_or_b32 exec_lo, exec_lo, s2
.LBB73_42:
	s_delay_alu instid0(SALU_CYCLE_1)
	s_or_b32 exec_lo, exec_lo, s39
.LBB73_43:
	s_delay_alu instid0(SALU_CYCLE_1) | instskip(SKIP_2) | instid1(VALU_DEP_1)
	s_or_b32 exec_lo, exec_lo, s34
	v_and_b32_e32 v9, 0xff, v5
	v_add_co_u32 v3, s3, s4, v0
	v_add_co_ci_u32_e64 v4, null, s5, 0, s3
	s_delay_alu instid0(VALU_DEP_3)
	v_cmp_gt_i16_e32 vcc_lo, 11, v9
	s_mov_b32 s2, 0
	s_mov_b32 s34, -1
	s_mov_b32 s3, 0
	s_cbranch_vccnz .LBB73_120
; %bb.44:
	v_cmp_lt_i16_e32 vcc_lo, 25, v9
	s_cbranch_vccz .LBB73_77
; %bb.45:
	v_cmp_lt_i16_e32 vcc_lo, 28, v9
	s_cbranch_vccz .LBB73_60
	;; [unrolled: 3-line block ×4, first 2 shown]
; %bb.48:
	v_cmp_eq_u16_e32 vcc_lo, 46, v9
	s_mov_b32 s34, 0
	s_mov_b32 s2, -1
	s_cbranch_vccz .LBB73_50
; %bb.49:
	v_bfe_u32 v0, v1, 16, 1
	v_cmp_o_f32_e32 vcc_lo, v1, v1
	s_mov_b32 s3, -1
	s_mov_b32 s2, 0
	s_delay_alu instid0(VALU_DEP_2) | instskip(NEXT) | instid1(VALU_DEP_1)
	v_add3_u32 v0, v1, v0, 0x7fff
	v_lshrrev_b32_e32 v0, 16, v0
	s_delay_alu instid0(VALU_DEP_1)
	v_cndmask_b32_e32 v0, 0x7fc0, v0, vcc_lo
	global_store_b32 v[3:4], v0, off
.LBB73_50:
	s_and_b32 vcc_lo, exec_lo, s34
	s_cbranch_vccz .LBB73_55
; %bb.51:
	v_cmp_eq_u16_e32 vcc_lo, 44, v9
	s_mov_b32 s2, -1
	s_cbranch_vccz .LBB73_55
; %bb.52:
	v_bfe_u32 v2, v1, 23, 8
	v_mov_b32_e32 v0, 0xff
	s_mov_b32 s3, exec_lo
	s_delay_alu instid0(VALU_DEP_2)
	v_cmpx_ne_u32_e32 0xff, v2
; %bb.53:
	v_and_b32_e32 v0, 0x400000, v1
	v_and_or_b32 v2, 0x3fffff, v1, v2
	s_delay_alu instid0(VALU_DEP_2) | instskip(NEXT) | instid1(VALU_DEP_2)
	v_cmp_ne_u32_e32 vcc_lo, 0, v0
	v_cmp_ne_u32_e64 s2, 0, v2
	v_lshrrev_b32_e32 v0, 23, v1
	s_delay_alu instid0(VALU_DEP_2) | instskip(NEXT) | instid1(SALU_CYCLE_1)
	s_and_b32 s2, vcc_lo, s2
	v_cndmask_b32_e64 v2, 0, 1, s2
	s_delay_alu instid0(VALU_DEP_1)
	v_add_nc_u32_e32 v0, v0, v2
; %bb.54:
	s_or_b32 exec_lo, exec_lo, s3
	s_mov_b32 s3, -1
	s_mov_b32 s2, 0
	global_store_b8 v[3:4], v0, off
.LBB73_55:
	s_mov_b32 s34, 0
.LBB73_56:
	s_delay_alu instid0(SALU_CYCLE_1)
	s_and_b32 vcc_lo, exec_lo, s34
	s_cbranch_vccz .LBB73_59
; %bb.57:
	v_cmp_eq_u16_e32 vcc_lo, 29, v9
	s_mov_b32 s2, -1
	s_cbranch_vccz .LBB73_59
; %bb.58:
	v_trunc_f32_e32 v0, v1
	s_mov_b32 s3, -1
	s_mov_b32 s2, 0
	s_delay_alu instid0(VALU_DEP_1) | instskip(NEXT) | instid1(VALU_DEP_1)
	v_mul_f32_e32 v2, 0x2f800000, v0
	v_floor_f32_e32 v2, v2
	s_delay_alu instid0(VALU_DEP_1) | instskip(SKIP_1) | instid1(VALU_DEP_2)
	v_fmamk_f32 v0, v2, 0xcf800000, v0
	v_cvt_u32_f32_e32 v11, v2
	v_cvt_u32_f32_e32 v10, v0
	global_store_b64 v[3:4], v[10:11], off
.LBB73_59:
	s_mov_b32 s34, 0
.LBB73_60:
	s_delay_alu instid0(SALU_CYCLE_1)
	s_and_b32 vcc_lo, exec_lo, s34
	s_cbranch_vccz .LBB73_76
; %bb.61:
	v_cmp_gt_i16_e32 vcc_lo, 27, v9
	s_mov_b32 s3, -1
	s_cbranch_vccnz .LBB73_67
; %bb.62:
	v_cmp_lt_i16_e32 vcc_lo, 27, v9
	s_cbranch_vccz .LBB73_64
; %bb.63:
	v_cvt_u32_f32_e32 v0, v1
	s_mov_b32 s3, 0
	global_store_b32 v[3:4], v0, off
.LBB73_64:
	s_and_not1_b32 vcc_lo, exec_lo, s3
	s_cbranch_vccnz .LBB73_66
; %bb.65:
	v_cvt_u32_f32_e32 v0, v1
	global_store_b16 v[3:4], v0, off
.LBB73_66:
	s_mov_b32 s3, 0
.LBB73_67:
	s_delay_alu instid0(SALU_CYCLE_1)
	s_and_not1_b32 vcc_lo, exec_lo, s3
	s_cbranch_vccnz .LBB73_75
; %bb.68:
	v_and_b32_e32 v0, 0x7fffffff, v1
	v_mov_b32_e32 v2, 0x80
	s_mov_b32 s3, exec_lo
	s_delay_alu instid0(VALU_DEP_2)
	v_cmpx_gt_u32_e32 0x43800000, v0
	s_cbranch_execz .LBB73_74
; %bb.69:
	v_cmp_lt_u32_e32 vcc_lo, 0x3bffffff, v0
	s_mov_b32 s34, 0
                                        ; implicit-def: $vgpr0
	s_and_saveexec_b32 s39, vcc_lo
	s_delay_alu instid0(SALU_CYCLE_1)
	s_xor_b32 s39, exec_lo, s39
	s_cbranch_execz .LBB73_286
; %bb.70:
	v_bfe_u32 v0, v1, 20, 1
	s_mov_b32 s34, exec_lo
	s_delay_alu instid0(VALU_DEP_1) | instskip(NEXT) | instid1(VALU_DEP_1)
	v_add3_u32 v0, v1, v0, 0x487ffff
	v_lshrrev_b32_e32 v0, 20, v0
	s_or_saveexec_b32 s39, s39
                                        ; implicit-def: $sgpr40
	s_delay_alu instid0(SALU_CYCLE_1)
	s_xor_b32 exec_lo, exec_lo, s39
	s_cbranch_execnz .LBB73_287
.LBB73_71:
	s_or_b32 exec_lo, exec_lo, s39
	v_mov_b32_e32 v2, s40
	s_and_saveexec_b32 s39, s34
.LBB73_72:
	v_lshrrev_b32_e32 v2, 24, v1
	s_delay_alu instid0(VALU_DEP_1)
	v_and_or_b32 v2, 0x80, v2, v0
.LBB73_73:
	s_or_b32 exec_lo, exec_lo, s39
.LBB73_74:
	s_delay_alu instid0(SALU_CYCLE_1)
	s_or_b32 exec_lo, exec_lo, s3
	global_store_b8 v[3:4], v2, off
.LBB73_75:
	s_mov_b32 s3, -1
.LBB73_76:
	s_mov_b32 s34, 0
.LBB73_77:
	s_delay_alu instid0(SALU_CYCLE_1)
	s_and_b32 vcc_lo, exec_lo, s34
	s_cbranch_vccz .LBB73_118
; %bb.78:
	v_cmp_lt_i16_e32 vcc_lo, 22, v9
	s_mov_b32 s34, -1
	s_cbranch_vccz .LBB73_110
; %bb.79:
	v_cmp_gt_i16_e32 vcc_lo, 24, v9
	s_mov_b32 s3, -1
	s_cbranch_vccnz .LBB73_99
; %bb.80:
	v_cmp_lt_i16_e32 vcc_lo, 24, v9
	s_cbranch_vccz .LBB73_88
; %bb.81:
	v_and_b32_e32 v0, 0x7fffffff, v1
	v_mov_b32_e32 v2, 0x80
	s_mov_b32 s3, exec_lo
	s_delay_alu instid0(VALU_DEP_2)
	v_cmpx_gt_u32_e32 0x47800000, v0
	s_cbranch_execz .LBB73_87
; %bb.82:
	v_cmp_lt_u32_e32 vcc_lo, 0x37ffffff, v0
	s_mov_b32 s34, 0
                                        ; implicit-def: $vgpr0
	s_and_saveexec_b32 s39, vcc_lo
	s_delay_alu instid0(SALU_CYCLE_1)
	s_xor_b32 s39, exec_lo, s39
	s_cbranch_execz .LBB73_554
; %bb.83:
	v_bfe_u32 v0, v1, 21, 1
	s_mov_b32 s34, exec_lo
	s_delay_alu instid0(VALU_DEP_1) | instskip(NEXT) | instid1(VALU_DEP_1)
	v_add3_u32 v0, v1, v0, 0x88fffff
	v_lshrrev_b32_e32 v0, 21, v0
	s_or_saveexec_b32 s39, s39
                                        ; implicit-def: $sgpr40
	s_delay_alu instid0(SALU_CYCLE_1)
	s_xor_b32 exec_lo, exec_lo, s39
	s_cbranch_execnz .LBB73_555
.LBB73_84:
	s_or_b32 exec_lo, exec_lo, s39
	v_mov_b32_e32 v2, s40
	s_and_saveexec_b32 s39, s34
.LBB73_85:
	v_lshrrev_b32_e32 v2, 24, v1
	s_delay_alu instid0(VALU_DEP_1)
	v_and_or_b32 v2, 0x80, v2, v0
.LBB73_86:
	s_or_b32 exec_lo, exec_lo, s39
.LBB73_87:
	s_delay_alu instid0(SALU_CYCLE_1)
	s_or_b32 exec_lo, exec_lo, s3
	s_mov_b32 s3, 0
	global_store_b8 v[3:4], v2, off
.LBB73_88:
	s_and_b32 vcc_lo, exec_lo, s3
	s_cbranch_vccz .LBB73_98
; %bb.89:
	v_and_b32_e32 v2, 0x7fffffff, v1
	s_mov_b32 s3, exec_lo
                                        ; implicit-def: $vgpr0
	s_delay_alu instid0(VALU_DEP_1)
	v_cmpx_gt_u32_e32 0x43f00000, v2
	s_xor_b32 s3, exec_lo, s3
	s_cbranch_execz .LBB73_95
; %bb.90:
	s_mov_b32 s34, exec_lo
                                        ; implicit-def: $vgpr0
	v_cmpx_lt_u32_e32 0x3c7fffff, v2
	s_xor_b32 s34, exec_lo, s34
; %bb.91:
	v_bfe_u32 v0, v1, 20, 1
	s_delay_alu instid0(VALU_DEP_1) | instskip(NEXT) | instid1(VALU_DEP_1)
	v_add3_u32 v0, v1, v0, 0x407ffff
	v_and_b32_e32 v2, 0xff00000, v0
	v_lshrrev_b32_e32 v0, 20, v0
	s_delay_alu instid0(VALU_DEP_2) | instskip(NEXT) | instid1(VALU_DEP_2)
	v_cmp_ne_u32_e32 vcc_lo, 0x7f00000, v2
	v_cndmask_b32_e32 v0, 0x7e, v0, vcc_lo
; %bb.92:
	s_and_not1_saveexec_b32 s34, s34
; %bb.93:
	v_add_f32_e64 v0, 0x46800000, |v1|
; %bb.94:
	s_or_b32 exec_lo, exec_lo, s34
                                        ; implicit-def: $vgpr2
.LBB73_95:
	s_and_not1_saveexec_b32 s3, s3
; %bb.96:
	v_mov_b32_e32 v0, 0x7f
	v_cmp_lt_u32_e32 vcc_lo, 0x7f800000, v2
	s_delay_alu instid0(VALU_DEP_2)
	v_cndmask_b32_e32 v0, 0x7e, v0, vcc_lo
; %bb.97:
	s_or_b32 exec_lo, exec_lo, s3
	v_lshrrev_b32_e32 v2, 24, v1
	s_delay_alu instid0(VALU_DEP_1)
	v_and_or_b32 v0, 0x80, v2, v0
	global_store_b8 v[3:4], v0, off
.LBB73_98:
	s_mov_b32 s3, 0
.LBB73_99:
	s_delay_alu instid0(SALU_CYCLE_1)
	s_and_not1_b32 vcc_lo, exec_lo, s3
	s_cbranch_vccnz .LBB73_109
; %bb.100:
	v_and_b32_e32 v2, 0x7fffffff, v1
	s_mov_b32 s3, exec_lo
                                        ; implicit-def: $vgpr0
	s_delay_alu instid0(VALU_DEP_1)
	v_cmpx_gt_u32_e32 0x47800000, v2
	s_xor_b32 s3, exec_lo, s3
	s_cbranch_execz .LBB73_106
; %bb.101:
	s_mov_b32 s34, exec_lo
                                        ; implicit-def: $vgpr0
	v_cmpx_lt_u32_e32 0x387fffff, v2
	s_xor_b32 s34, exec_lo, s34
; %bb.102:
	v_bfe_u32 v0, v1, 21, 1
	s_delay_alu instid0(VALU_DEP_1) | instskip(NEXT) | instid1(VALU_DEP_1)
	v_add3_u32 v0, v1, v0, 0x80fffff
	v_lshrrev_b32_e32 v0, 21, v0
; %bb.103:
	s_and_not1_saveexec_b32 s34, s34
; %bb.104:
	v_add_f32_e64 v0, 0x43000000, |v1|
; %bb.105:
	s_or_b32 exec_lo, exec_lo, s34
                                        ; implicit-def: $vgpr2
.LBB73_106:
	s_and_not1_saveexec_b32 s3, s3
; %bb.107:
	v_mov_b32_e32 v0, 0x7f
	v_cmp_lt_u32_e32 vcc_lo, 0x7f800000, v2
	s_delay_alu instid0(VALU_DEP_2)
	v_cndmask_b32_e32 v0, 0x7c, v0, vcc_lo
; %bb.108:
	s_or_b32 exec_lo, exec_lo, s3
	v_lshrrev_b32_e32 v2, 24, v1
	s_delay_alu instid0(VALU_DEP_1)
	v_and_or_b32 v0, 0x80, v2, v0
	global_store_b8 v[3:4], v0, off
.LBB73_109:
	s_mov_b32 s34, 0
	s_mov_b32 s3, -1
.LBB73_110:
	s_and_not1_b32 vcc_lo, exec_lo, s34
	s_cbranch_vccnz .LBB73_118
; %bb.111:
	v_cmp_lt_i16_e32 vcc_lo, 14, v9
	s_mov_b32 s34, -1
	s_cbranch_vccz .LBB73_115
; %bb.112:
	v_cmp_eq_u16_e32 vcc_lo, 15, v9
	s_mov_b32 s2, -1
	s_cbranch_vccz .LBB73_114
; %bb.113:
	v_bfe_u32 v0, v1, 16, 1
	v_cmp_o_f32_e32 vcc_lo, v1, v1
	s_mov_b32 s3, -1
	s_mov_b32 s2, 0
	s_delay_alu instid0(VALU_DEP_2) | instskip(NEXT) | instid1(VALU_DEP_1)
	v_add3_u32 v0, v1, v0, 0x7fff
	v_lshrrev_b32_e32 v0, 16, v0
	s_delay_alu instid0(VALU_DEP_1)
	v_cndmask_b32_e32 v0, 0x7fc0, v0, vcc_lo
	global_store_b16 v[3:4], v0, off
.LBB73_114:
	s_mov_b32 s34, 0
.LBB73_115:
	s_delay_alu instid0(SALU_CYCLE_1)
	s_and_b32 vcc_lo, exec_lo, s34
	s_cbranch_vccz .LBB73_118
; %bb.116:
	v_cmp_eq_u16_e32 vcc_lo, 11, v9
	s_mov_b32 s2, -1
	s_cbranch_vccz .LBB73_118
; %bb.117:
	v_cmp_neq_f32_e32 vcc_lo, 0, v1
	s_mov_b32 s2, 0
	s_mov_b32 s3, -1
	v_cndmask_b32_e64 v0, 0, 1, vcc_lo
	global_store_b8 v[3:4], v0, off
.LBB73_118:
.LBB73_119:
	s_and_not1_b32 vcc_lo, exec_lo, s3
	s_cbranch_vccz .LBB73_159
	s_branch .LBB73_399
.LBB73_120:
	s_and_b32 vcc_lo, exec_lo, s34
	s_cbranch_vccz .LBB73_119
; %bb.121:
	v_cmp_gt_i16_e32 vcc_lo, 5, v9
	s_mov_b32 s3, -1
	s_cbranch_vccnz .LBB73_142
; %bb.122:
	v_cmp_gt_i16_e32 vcc_lo, 8, v9
	s_cbranch_vccnz .LBB73_132
; %bb.123:
	v_cmp_gt_i16_e32 vcc_lo, 9, v9
	s_cbranch_vccnz .LBB73_129
; %bb.124:
	v_cmp_lt_i16_e32 vcc_lo, 9, v9
	s_cbranch_vccz .LBB73_126
; %bb.125:
	v_cvt_f64_f32_e32 v[10:11], v1
	v_mov_b32_e32 v12, 0
	s_mov_b32 s3, 0
	s_delay_alu instid0(VALU_DEP_1)
	v_mov_b32_e32 v13, v12
	global_store_b128 v[3:4], v[10:13], off
.LBB73_126:
	s_and_not1_b32 vcc_lo, exec_lo, s3
	s_cbranch_vccnz .LBB73_128
; %bb.127:
	v_mov_b32_e32 v2, 0
	global_store_b64 v[3:4], v[1:2], off
.LBB73_128:
	s_mov_b32 s3, 0
.LBB73_129:
	s_delay_alu instid0(SALU_CYCLE_1)
	s_and_not1_b32 vcc_lo, exec_lo, s3
	s_cbranch_vccnz .LBB73_131
; %bb.130:
	v_cvt_f16_f32_e32 v0, v1
	s_delay_alu instid0(VALU_DEP_1)
	v_and_b32_e32 v0, 0xffff, v0
	global_store_b32 v[3:4], v0, off
.LBB73_131:
	s_mov_b32 s3, 0
.LBB73_132:
	s_delay_alu instid0(SALU_CYCLE_1)
	s_and_not1_b32 vcc_lo, exec_lo, s3
	s_cbranch_vccnz .LBB73_141
; %bb.133:
	v_cmp_gt_i16_e32 vcc_lo, 6, v9
	s_mov_b32 s3, -1
	s_cbranch_vccnz .LBB73_139
; %bb.134:
	v_cmp_lt_i16_e32 vcc_lo, 6, v9
	s_cbranch_vccz .LBB73_136
; %bb.135:
	v_cvt_f64_f32_e32 v[10:11], v1
	s_mov_b32 s3, 0
	global_store_b64 v[3:4], v[10:11], off
.LBB73_136:
	s_and_not1_b32 vcc_lo, exec_lo, s3
	s_cbranch_vccnz .LBB73_138
; %bb.137:
	global_store_b32 v[3:4], v1, off
.LBB73_138:
	s_mov_b32 s3, 0
.LBB73_139:
	s_delay_alu instid0(SALU_CYCLE_1)
	s_and_not1_b32 vcc_lo, exec_lo, s3
	s_cbranch_vccnz .LBB73_141
; %bb.140:
	v_cvt_f16_f32_e32 v0, v1
	global_store_b16 v[3:4], v0, off
.LBB73_141:
	s_mov_b32 s3, 0
.LBB73_142:
	s_delay_alu instid0(SALU_CYCLE_1)
	s_and_not1_b32 vcc_lo, exec_lo, s3
	s_cbranch_vccnz .LBB73_158
; %bb.143:
	v_cmp_gt_i16_e32 vcc_lo, 2, v9
	s_mov_b32 s3, -1
	s_cbranch_vccnz .LBB73_153
; %bb.144:
	v_cmp_gt_i16_e32 vcc_lo, 3, v9
	s_cbranch_vccnz .LBB73_150
; %bb.145:
	v_cmp_lt_i16_e32 vcc_lo, 3, v9
	s_cbranch_vccz .LBB73_147
; %bb.146:
	v_trunc_f32_e32 v0, v1
	s_mov_b32 s3, 0
	s_delay_alu instid0(VALU_DEP_1) | instskip(NEXT) | instid1(VALU_DEP_1)
	v_mul_f32_e64 v2, 0x2f800000, |v0|
	v_floor_f32_e32 v2, v2
	s_delay_alu instid0(VALU_DEP_1) | instskip(SKIP_2) | instid1(VALU_DEP_3)
	v_fma_f32 v10, 0xcf800000, v2, |v0|
	v_ashrrev_i32_e32 v0, 31, v0
	v_cvt_u32_f32_e32 v2, v2
	v_cvt_u32_f32_e32 v10, v10
	s_delay_alu instid0(VALU_DEP_2) | instskip(NEXT) | instid1(VALU_DEP_2)
	v_xor_b32_e32 v2, v2, v0
	v_xor_b32_e32 v10, v10, v0
	s_delay_alu instid0(VALU_DEP_1) | instskip(NEXT) | instid1(VALU_DEP_3)
	v_sub_co_u32 v10, vcc_lo, v10, v0
	v_sub_co_ci_u32_e32 v11, vcc_lo, v2, v0, vcc_lo
	global_store_b64 v[3:4], v[10:11], off
.LBB73_147:
	s_and_not1_b32 vcc_lo, exec_lo, s3
	s_cbranch_vccnz .LBB73_149
; %bb.148:
	v_cvt_i32_f32_e32 v0, v1
	global_store_b32 v[3:4], v0, off
.LBB73_149:
	s_mov_b32 s3, 0
.LBB73_150:
	s_delay_alu instid0(SALU_CYCLE_1)
	s_and_not1_b32 vcc_lo, exec_lo, s3
	s_cbranch_vccnz .LBB73_152
; %bb.151:
	v_cvt_i32_f32_e32 v0, v1
	global_store_b16 v[3:4], v0, off
.LBB73_152:
	s_mov_b32 s3, 0
.LBB73_153:
	s_delay_alu instid0(SALU_CYCLE_1)
	s_and_not1_b32 vcc_lo, exec_lo, s3
	s_cbranch_vccnz .LBB73_158
; %bb.154:
	v_cmp_lt_i16_e32 vcc_lo, 0, v9
	s_mov_b32 s3, -1
	s_cbranch_vccz .LBB73_156
; %bb.155:
	v_cvt_i32_f32_e32 v0, v1
	s_mov_b32 s3, 0
	global_store_b8 v[3:4], v0, off
.LBB73_156:
	s_and_not1_b32 vcc_lo, exec_lo, s3
	s_cbranch_vccnz .LBB73_158
; %bb.157:
	v_trunc_f32_e32 v0, v1
	s_delay_alu instid0(VALU_DEP_1) | instskip(NEXT) | instid1(VALU_DEP_1)
	v_mul_f32_e64 v1, 0x2f800000, |v0|
	v_floor_f32_e32 v1, v1
	s_delay_alu instid0(VALU_DEP_1) | instskip(SKIP_1) | instid1(VALU_DEP_2)
	v_fma_f32 v1, 0xcf800000, v1, |v0|
	v_ashrrev_i32_e32 v0, 31, v0
	v_cvt_u32_f32_e32 v1, v1
	s_delay_alu instid0(VALU_DEP_1) | instskip(NEXT) | instid1(VALU_DEP_1)
	v_xor_b32_e32 v1, v1, v0
	v_sub_nc_u32_e32 v0, v1, v0
	global_store_b8 v[3:4], v0, off
.LBB73_158:
.LBB73_159:
	v_add_nc_u32_e32 v8, 0x80, v8
	s_mov_b32 s3, -1
	s_branch .LBB73_400
.LBB73_160:
	s_mov_b32 s3, -1
	s_mov_b32 s2, 0
                                        ; implicit-def: $vgpr4
	s_branch .LBB73_179
.LBB73_161:
	s_mov_b32 s3, -1
	s_mov_b32 s2, 0
                                        ; implicit-def: $vgpr9
	s_branch .LBB73_314
.LBB73_162:
	s_mov_b32 s3, -1
	s_mov_b32 s2, 0
                                        ; implicit-def: $vgpr4
	s_branch .LBB73_174
.LBB73_163:
	s_mov_b32 s3, -1
	s_mov_b32 s2, 0
                                        ; implicit-def: $vgpr9
	s_branch .LBB73_295
.LBB73_164:
	s_mov_b32 s3, -1
	s_branch .LBB73_167
.LBB73_165:
	s_mov_b32 s3, -1
	s_mov_b32 s2, 0
                                        ; implicit-def: $vgpr9
	s_branch .LBB73_290
.LBB73_166:
	s_mov_b32 s36, -1
.LBB73_167:
	s_mov_b32 s2, 0
                                        ; implicit-def: $vgpr4
.LBB73_168:
	s_and_b32 vcc_lo, exec_lo, s3
	s_cbranch_vccz .LBB73_173
; %bb.169:
	v_cmp_eq_u16_e32 vcc_lo, 44, v9
	s_cbranch_vccz .LBB73_172
; %bb.170:
	global_load_u8 v4, v[2:3], off
	s_mov_b32 s36, 0
	s_mov_b32 s2, -1
	s_waitcnt vmcnt(0)
	v_lshlrev_b32_e32 v10, 23, v4
	v_cmp_ne_u32_e32 vcc_lo, 0xff, v4
	s_delay_alu instid0(VALU_DEP_2) | instskip(SKIP_1) | instid1(VALU_DEP_2)
	v_cndmask_b32_e32 v10, 0x7f800001, v10, vcc_lo
	v_cmp_ne_u32_e32 vcc_lo, 0, v4
	v_cndmask_b32_e32 v4, 0x400000, v10, vcc_lo
	s_branch .LBB73_173
.LBB73_171:
	s_mov_b32 s3, -1
	s_branch .LBB73_282
.LBB73_172:
	s_mov_b32 s36, -1
                                        ; implicit-def: $vgpr4
.LBB73_173:
	s_mov_b32 s3, 0
.LBB73_174:
	s_delay_alu instid0(SALU_CYCLE_1)
	s_and_b32 vcc_lo, exec_lo, s3
	s_cbranch_vccz .LBB73_178
; %bb.175:
	v_cmp_eq_u16_e32 vcc_lo, 29, v9
	s_cbranch_vccz .LBB73_177
; %bb.176:
	global_load_b64 v[10:11], v[2:3], off
	s_mov_b32 s2, -1
	s_mov_b32 s36, 0
	s_mov_b32 s3, 0
	s_waitcnt vmcnt(0)
	v_clz_i32_u32_e32 v4, v11
	s_delay_alu instid0(VALU_DEP_1) | instskip(NEXT) | instid1(VALU_DEP_1)
	v_min_u32_e32 v4, 32, v4
	v_lshlrev_b64 v[10:11], v4, v[10:11]
	v_sub_nc_u32_e32 v4, 32, v4
	s_delay_alu instid0(VALU_DEP_2) | instskip(NEXT) | instid1(VALU_DEP_1)
	v_min_u32_e32 v10, 1, v10
	v_or_b32_e32 v10, v11, v10
	s_delay_alu instid0(VALU_DEP_1) | instskip(NEXT) | instid1(VALU_DEP_1)
	v_cvt_f32_u32_e32 v10, v10
	v_ldexp_f32 v4, v10, v4
	s_branch .LBB73_179
.LBB73_177:
	s_mov_b32 s36, -1
                                        ; implicit-def: $vgpr4
.LBB73_178:
	s_mov_b32 s3, 0
.LBB73_179:
	s_delay_alu instid0(SALU_CYCLE_1)
	s_and_b32 vcc_lo, exec_lo, s3
	s_cbranch_vccz .LBB73_197
; %bb.180:
	v_cmp_gt_i16_e32 vcc_lo, 27, v9
	s_cbranch_vccnz .LBB73_183
; %bb.181:
	v_cmp_lt_i16_e32 vcc_lo, 27, v9
	s_cbranch_vccz .LBB73_184
; %bb.182:
	global_load_b32 v4, v[2:3], off
	s_mov_b32 s2, 0
	s_waitcnt vmcnt(0)
	v_cvt_f32_u32_e32 v4, v4
	s_branch .LBB73_185
.LBB73_183:
	s_mov_b32 s2, -1
                                        ; implicit-def: $vgpr4
	s_branch .LBB73_188
.LBB73_184:
	s_mov_b32 s2, -1
                                        ; implicit-def: $vgpr4
.LBB73_185:
	s_delay_alu instid0(SALU_CYCLE_1)
	s_and_not1_b32 vcc_lo, exec_lo, s2
	s_cbranch_vccnz .LBB73_187
; %bb.186:
	global_load_u16 v4, v[2:3], off
	s_waitcnt vmcnt(0)
	v_cvt_f32_u32_e32 v4, v4
.LBB73_187:
	s_mov_b32 s2, 0
.LBB73_188:
	s_delay_alu instid0(SALU_CYCLE_1)
	s_and_not1_b32 vcc_lo, exec_lo, s2
	s_cbranch_vccnz .LBB73_196
; %bb.189:
	global_load_u8 v10, v[2:3], off
	s_mov_b32 s2, 0
	s_mov_b32 s34, exec_lo
                                        ; implicit-def: $sgpr3
	s_waitcnt vmcnt(0)
	v_cmpx_lt_i16_e32 0x7f, v10
	s_xor_b32 s34, exec_lo, s34
	s_cbranch_execz .LBB73_209
; %bb.190:
	s_mov_b32 s2, -1
	s_mov_b32 s35, exec_lo
                                        ; implicit-def: $sgpr3
	v_cmpx_eq_u16_e32 0x80, v10
; %bb.191:
	s_mov_b32 s3, 0x7f800001
	s_xor_b32 s2, exec_lo, -1
; %bb.192:
	s_or_b32 exec_lo, exec_lo, s35
	s_delay_alu instid0(SALU_CYCLE_1)
	s_and_b32 s2, s2, exec_lo
	s_or_saveexec_b32 s34, s34
	v_mov_b32_e32 v4, s3
	s_xor_b32 exec_lo, exec_lo, s34
	s_cbranch_execnz .LBB73_210
.LBB73_193:
	s_or_b32 exec_lo, exec_lo, s34
	s_and_saveexec_b32 s3, s2
	s_cbranch_execz .LBB73_195
.LBB73_194:
	v_and_b32_e32 v4, 0xffff, v10
	v_lshlrev_b32_e32 v10, 24, v10
	s_delay_alu instid0(VALU_DEP_2) | instskip(NEXT) | instid1(VALU_DEP_2)
	v_and_b32_e32 v11, 7, v4
	v_and_b32_e32 v10, 0x80000000, v10
	s_delay_alu instid0(VALU_DEP_2) | instskip(NEXT) | instid1(VALU_DEP_1)
	v_clz_i32_u32_e32 v12, v11
	v_min_u32_e32 v12, 32, v12
	s_delay_alu instid0(VALU_DEP_1) | instskip(SKIP_1) | instid1(VALU_DEP_2)
	v_subrev_nc_u32_e32 v13, 28, v12
	v_sub_nc_u32_e32 v12, 29, v12
	v_lshlrev_b32_e32 v13, v13, v4
	v_bfe_u32 v4, v4, 3, 4
	s_delay_alu instid0(VALU_DEP_1) | instskip(NEXT) | instid1(VALU_DEP_3)
	v_cmp_eq_u32_e32 vcc_lo, 0, v4
	v_dual_cndmask_b32 v4, v4, v12 :: v_dual_and_b32 v13, 7, v13
	s_delay_alu instid0(VALU_DEP_1) | instskip(NEXT) | instid1(VALU_DEP_2)
	v_cndmask_b32_e32 v11, v11, v13, vcc_lo
	v_lshl_add_u32 v4, v4, 23, 0x3b800000
	s_delay_alu instid0(VALU_DEP_2) | instskip(NEXT) | instid1(VALU_DEP_1)
	v_lshlrev_b32_e32 v11, 20, v11
	v_or3_b32 v4, v10, v4, v11
.LBB73_195:
	s_or_b32 exec_lo, exec_lo, s3
.LBB73_196:
	s_mov_b32 s2, -1
.LBB73_197:
	s_branch .LBB73_232
.LBB73_198:
	v_cmp_lt_i16_e32 vcc_lo, 22, v9
	s_cbranch_vccz .LBB73_208
; %bb.199:
	v_cmp_gt_i16_e32 vcc_lo, 24, v9
	s_cbranch_vccnz .LBB73_211
; %bb.200:
	v_cmp_lt_i16_e32 vcc_lo, 24, v9
	s_cbranch_vccz .LBB73_212
; %bb.201:
	global_load_u8 v10, v[2:3], off
	s_mov_b32 s2, 0
	s_mov_b32 s34, exec_lo
                                        ; implicit-def: $sgpr3
	s_waitcnt vmcnt(0)
	v_cmpx_lt_i16_e32 0x7f, v10
	s_xor_b32 s34, exec_lo, s34
	s_cbranch_execz .LBB73_224
; %bb.202:
	s_mov_b32 s2, -1
	s_mov_b32 s35, exec_lo
                                        ; implicit-def: $sgpr3
	v_cmpx_eq_u16_e32 0x80, v10
; %bb.203:
	s_mov_b32 s3, 0x7f800001
	s_xor_b32 s2, exec_lo, -1
; %bb.204:
	s_or_b32 exec_lo, exec_lo, s35
	s_delay_alu instid0(SALU_CYCLE_1)
	s_and_b32 s2, s2, exec_lo
	s_or_saveexec_b32 s34, s34
	v_mov_b32_e32 v4, s3
	s_xor_b32 exec_lo, exec_lo, s34
	s_cbranch_execnz .LBB73_225
.LBB73_205:
	s_or_b32 exec_lo, exec_lo, s34
	s_and_saveexec_b32 s3, s2
	s_cbranch_execz .LBB73_207
.LBB73_206:
	v_and_b32_e32 v4, 0xffff, v10
	v_lshlrev_b32_e32 v10, 24, v10
	s_delay_alu instid0(VALU_DEP_2) | instskip(NEXT) | instid1(VALU_DEP_2)
	v_and_b32_e32 v11, 3, v4
	v_and_b32_e32 v10, 0x80000000, v10
	s_delay_alu instid0(VALU_DEP_2) | instskip(NEXT) | instid1(VALU_DEP_1)
	v_clz_i32_u32_e32 v12, v11
	v_min_u32_e32 v12, 32, v12
	s_delay_alu instid0(VALU_DEP_1) | instskip(SKIP_1) | instid1(VALU_DEP_2)
	v_subrev_nc_u32_e32 v13, 29, v12
	v_sub_nc_u32_e32 v12, 30, v12
	v_lshlrev_b32_e32 v13, v13, v4
	v_bfe_u32 v4, v4, 2, 5
	s_delay_alu instid0(VALU_DEP_1) | instskip(NEXT) | instid1(VALU_DEP_3)
	v_cmp_eq_u32_e32 vcc_lo, 0, v4
	v_dual_cndmask_b32 v4, v4, v12 :: v_dual_and_b32 v13, 3, v13
	s_delay_alu instid0(VALU_DEP_1) | instskip(NEXT) | instid1(VALU_DEP_2)
	v_cndmask_b32_e32 v11, v11, v13, vcc_lo
	v_lshl_add_u32 v4, v4, 23, 0x37800000
	s_delay_alu instid0(VALU_DEP_2) | instskip(NEXT) | instid1(VALU_DEP_1)
	v_lshlrev_b32_e32 v11, 21, v11
	v_or3_b32 v4, v10, v4, v11
.LBB73_207:
	s_or_b32 exec_lo, exec_lo, s3
	s_mov_b32 s2, 0
	s_branch .LBB73_213
.LBB73_208:
	s_mov_b32 s3, -1
                                        ; implicit-def: $vgpr4
	s_branch .LBB73_219
.LBB73_209:
	s_or_saveexec_b32 s34, s34
	v_mov_b32_e32 v4, s3
	s_xor_b32 exec_lo, exec_lo, s34
	s_cbranch_execz .LBB73_193
.LBB73_210:
	v_cmp_ne_u16_e32 vcc_lo, 0, v10
	v_mov_b32_e32 v4, 0
	s_and_not1_b32 s2, s2, exec_lo
	s_and_b32 s3, vcc_lo, exec_lo
	s_delay_alu instid0(SALU_CYCLE_1)
	s_or_b32 s2, s2, s3
	s_or_b32 exec_lo, exec_lo, s34
	s_and_saveexec_b32 s3, s2
	s_cbranch_execnz .LBB73_194
	s_branch .LBB73_195
.LBB73_211:
	s_mov_b32 s2, -1
                                        ; implicit-def: $vgpr4
	s_branch .LBB73_216
.LBB73_212:
	s_mov_b32 s2, -1
                                        ; implicit-def: $vgpr4
.LBB73_213:
	s_delay_alu instid0(SALU_CYCLE_1)
	s_and_b32 vcc_lo, exec_lo, s2
	s_cbranch_vccz .LBB73_215
; %bb.214:
	global_load_u8 v4, v[2:3], off
	s_waitcnt vmcnt(0)
	v_lshlrev_b32_e32 v4, 24, v4
	s_delay_alu instid0(VALU_DEP_1) | instskip(NEXT) | instid1(VALU_DEP_1)
	v_and_b32_e32 v10, 0x7f000000, v4
	v_clz_i32_u32_e32 v11, v10
	v_cmp_ne_u32_e32 vcc_lo, 0, v10
	v_add_nc_u32_e32 v13, 0x1000000, v10
	s_delay_alu instid0(VALU_DEP_3) | instskip(NEXT) | instid1(VALU_DEP_1)
	v_min_u32_e32 v11, 32, v11
	v_sub_nc_u32_e64 v11, v11, 4 clamp
	s_delay_alu instid0(VALU_DEP_1) | instskip(SKIP_1) | instid1(VALU_DEP_2)
	v_lshlrev_b32_e32 v12, v11, v10
	v_lshlrev_b32_e32 v11, 23, v11
	v_lshrrev_b32_e32 v12, 4, v12
	s_delay_alu instid0(VALU_DEP_1) | instskip(SKIP_1) | instid1(VALU_DEP_2)
	v_sub_nc_u32_e32 v11, v12, v11
	v_ashrrev_i32_e32 v12, 8, v13
	v_add_nc_u32_e32 v11, 0x3c000000, v11
	s_delay_alu instid0(VALU_DEP_1) | instskip(NEXT) | instid1(VALU_DEP_1)
	v_and_or_b32 v11, 0x7f800000, v12, v11
	v_cndmask_b32_e32 v10, 0, v11, vcc_lo
	s_delay_alu instid0(VALU_DEP_1)
	v_and_or_b32 v4, 0x80000000, v4, v10
.LBB73_215:
	s_mov_b32 s2, 0
.LBB73_216:
	s_delay_alu instid0(SALU_CYCLE_1)
	s_and_not1_b32 vcc_lo, exec_lo, s2
	s_cbranch_vccnz .LBB73_218
; %bb.217:
	global_load_u8 v4, v[2:3], off
	s_waitcnt vmcnt(0)
	v_lshlrev_b32_e32 v10, 25, v4
	v_lshlrev_b16 v4, 8, v4
	s_delay_alu instid0(VALU_DEP_2) | instskip(NEXT) | instid1(VALU_DEP_2)
	v_lshrrev_b32_e32 v11, 4, v10
	v_and_or_b32 v12, 0x7f00, v4, 0.5
	v_bfe_i32 v4, v4, 0, 16
	s_delay_alu instid0(VALU_DEP_3) | instskip(NEXT) | instid1(VALU_DEP_1)
	v_or_b32_e32 v11, 0x70000000, v11
	v_dual_add_f32 v12, -0.5, v12 :: v_dual_mul_f32 v11, 0x7800000, v11
	v_cmp_gt_u32_e32 vcc_lo, 0x8000000, v10
	s_delay_alu instid0(VALU_DEP_2) | instskip(NEXT) | instid1(VALU_DEP_1)
	v_cndmask_b32_e32 v10, v11, v12, vcc_lo
	v_and_or_b32 v4, 0x80000000, v4, v10
.LBB73_218:
	s_mov_b32 s3, 0
	s_mov_b32 s2, -1
.LBB73_219:
	s_and_not1_b32 vcc_lo, exec_lo, s3
	s_cbranch_vccnz .LBB73_232
; %bb.220:
	v_cmp_lt_i16_e32 vcc_lo, 14, v9
	s_cbranch_vccz .LBB73_223
; %bb.221:
	v_cmp_eq_u16_e32 vcc_lo, 15, v9
	s_cbranch_vccz .LBB73_226
; %bb.222:
	global_load_u16 v4, v[2:3], off
	s_mov_b32 s2, -1
	s_mov_b32 s36, 0
	s_waitcnt vmcnt(0)
	v_lshlrev_b32_e32 v4, 16, v4
	s_branch .LBB73_227
.LBB73_223:
	s_mov_b32 s3, -1
                                        ; implicit-def: $vgpr4
	s_branch .LBB73_228
.LBB73_224:
	s_or_saveexec_b32 s34, s34
	v_mov_b32_e32 v4, s3
	s_xor_b32 exec_lo, exec_lo, s34
	s_cbranch_execz .LBB73_205
.LBB73_225:
	v_cmp_ne_u16_e32 vcc_lo, 0, v10
	v_mov_b32_e32 v4, 0
	s_and_not1_b32 s2, s2, exec_lo
	s_and_b32 s3, vcc_lo, exec_lo
	s_delay_alu instid0(SALU_CYCLE_1)
	s_or_b32 s2, s2, s3
	s_or_b32 exec_lo, exec_lo, s34
	s_and_saveexec_b32 s3, s2
	s_cbranch_execnz .LBB73_206
	s_branch .LBB73_207
.LBB73_226:
	s_mov_b32 s36, -1
                                        ; implicit-def: $vgpr4
.LBB73_227:
	s_mov_b32 s3, 0
.LBB73_228:
	s_delay_alu instid0(SALU_CYCLE_1)
	s_and_b32 vcc_lo, exec_lo, s3
	s_cbranch_vccz .LBB73_232
; %bb.229:
	v_cmp_eq_u16_e32 vcc_lo, 11, v9
	s_cbranch_vccz .LBB73_231
; %bb.230:
	global_load_u8 v4, v[2:3], off
	s_mov_b32 s36, 0
	s_mov_b32 s2, -1
	s_waitcnt vmcnt(0)
	v_cmp_ne_u16_e32 vcc_lo, 0, v4
	v_cndmask_b32_e64 v4, 0, 1.0, vcc_lo
	s_branch .LBB73_232
.LBB73_231:
	s_mov_b32 s36, -1
                                        ; implicit-def: $vgpr4
.LBB73_232:
	s_branch .LBB73_20
.LBB73_233:
	v_cmp_gt_i16_e32 vcc_lo, 5, v9
	s_cbranch_vccnz .LBB73_238
; %bb.234:
	v_cmp_gt_i16_e32 vcc_lo, 8, v9
	s_cbranch_vccnz .LBB73_239
; %bb.235:
	;; [unrolled: 3-line block ×3, first 2 shown]
	v_cmp_lt_i16_e32 vcc_lo, 9, v9
	s_cbranch_vccz .LBB73_241
; %bb.237:
	global_load_b64 v[10:11], v[2:3], off
	s_mov_b32 s2, 0
	s_waitcnt vmcnt(0)
	v_cvt_f32_f64_e32 v4, v[10:11]
	s_branch .LBB73_242
.LBB73_238:
                                        ; implicit-def: $vgpr4
	s_branch .LBB73_260
.LBB73_239:
	s_mov_b32 s2, -1
                                        ; implicit-def: $vgpr4
	s_branch .LBB73_248
.LBB73_240:
	s_mov_b32 s2, -1
                                        ; implicit-def: $vgpr4
	s_branch .LBB73_245
.LBB73_241:
	s_mov_b32 s2, -1
                                        ; implicit-def: $vgpr4
.LBB73_242:
	s_delay_alu instid0(SALU_CYCLE_1)
	s_and_not1_b32 vcc_lo, exec_lo, s2
	s_cbranch_vccnz .LBB73_244
; %bb.243:
	global_load_b32 v4, v[2:3], off
.LBB73_244:
	s_mov_b32 s2, 0
.LBB73_245:
	s_delay_alu instid0(SALU_CYCLE_1)
	s_and_not1_b32 vcc_lo, exec_lo, s2
	s_cbranch_vccnz .LBB73_247
; %bb.246:
	global_load_b32 v4, v[2:3], off
	s_waitcnt vmcnt(0)
	v_cvt_f32_f16_e32 v4, v4
.LBB73_247:
	s_mov_b32 s2, 0
.LBB73_248:
	s_delay_alu instid0(SALU_CYCLE_1)
	s_and_not1_b32 vcc_lo, exec_lo, s2
	s_cbranch_vccnz .LBB73_259
; %bb.249:
	v_cmp_gt_i16_e32 vcc_lo, 6, v9
	s_cbranch_vccnz .LBB73_252
; %bb.250:
	v_cmp_lt_i16_e32 vcc_lo, 6, v9
	s_cbranch_vccz .LBB73_253
; %bb.251:
	global_load_b64 v[10:11], v[2:3], off
	s_mov_b32 s2, 0
	s_waitcnt vmcnt(0)
	v_cvt_f32_f64_e32 v4, v[10:11]
	s_branch .LBB73_254
.LBB73_252:
	s_mov_b32 s2, -1
                                        ; implicit-def: $vgpr4
	s_branch .LBB73_257
.LBB73_253:
	s_mov_b32 s2, -1
                                        ; implicit-def: $vgpr4
.LBB73_254:
	s_delay_alu instid0(SALU_CYCLE_1)
	s_and_not1_b32 vcc_lo, exec_lo, s2
	s_cbranch_vccnz .LBB73_256
; %bb.255:
	global_load_b32 v4, v[2:3], off
.LBB73_256:
	s_mov_b32 s2, 0
.LBB73_257:
	s_delay_alu instid0(SALU_CYCLE_1)
	s_and_not1_b32 vcc_lo, exec_lo, s2
	s_cbranch_vccnz .LBB73_259
; %bb.258:
	global_load_u16 v4, v[2:3], off
	s_waitcnt vmcnt(0)
	v_cvt_f32_f16_e32 v4, v4
.LBB73_259:
	s_cbranch_execnz .LBB73_279
.LBB73_260:
	v_cmp_gt_i16_e32 vcc_lo, 2, v9
	s_cbranch_vccnz .LBB73_264
; %bb.261:
	v_cmp_gt_i16_e32 vcc_lo, 3, v9
	s_cbranch_vccnz .LBB73_265
; %bb.262:
	v_cmp_lt_i16_e32 vcc_lo, 3, v9
	s_cbranch_vccz .LBB73_266
; %bb.263:
	global_load_b64 v[10:11], v[2:3], off
	s_mov_b32 s2, 0
	s_waitcnt vmcnt(0)
	v_xor_b32_e32 v4, v10, v11
	v_cls_i32_e32 v12, v11
	s_delay_alu instid0(VALU_DEP_2) | instskip(NEXT) | instid1(VALU_DEP_2)
	v_ashrrev_i32_e32 v4, 31, v4
	v_add_nc_u32_e32 v12, -1, v12
	s_delay_alu instid0(VALU_DEP_2) | instskip(NEXT) | instid1(VALU_DEP_1)
	v_add_nc_u32_e32 v4, 32, v4
	v_min_u32_e32 v4, v12, v4
	s_delay_alu instid0(VALU_DEP_1) | instskip(SKIP_1) | instid1(VALU_DEP_2)
	v_lshlrev_b64 v[10:11], v4, v[10:11]
	v_sub_nc_u32_e32 v4, 32, v4
	v_min_u32_e32 v10, 1, v10
	s_delay_alu instid0(VALU_DEP_1) | instskip(NEXT) | instid1(VALU_DEP_1)
	v_or_b32_e32 v10, v11, v10
	v_cvt_f32_i32_e32 v10, v10
	s_delay_alu instid0(VALU_DEP_1)
	v_ldexp_f32 v4, v10, v4
	s_branch .LBB73_267
.LBB73_264:
	s_mov_b32 s2, -1
                                        ; implicit-def: $vgpr4
	s_branch .LBB73_273
.LBB73_265:
	s_mov_b32 s2, -1
                                        ; implicit-def: $vgpr4
	s_branch .LBB73_270
.LBB73_266:
	s_mov_b32 s2, -1
                                        ; implicit-def: $vgpr4
.LBB73_267:
	s_delay_alu instid0(SALU_CYCLE_1)
	s_and_not1_b32 vcc_lo, exec_lo, s2
	s_cbranch_vccnz .LBB73_269
; %bb.268:
	global_load_b32 v4, v[2:3], off
	s_waitcnt vmcnt(0)
	v_cvt_f32_i32_e32 v4, v4
.LBB73_269:
	s_mov_b32 s2, 0
.LBB73_270:
	s_delay_alu instid0(SALU_CYCLE_1)
	s_and_not1_b32 vcc_lo, exec_lo, s2
	s_cbranch_vccnz .LBB73_272
; %bb.271:
	global_load_i16 v4, v[2:3], off
	s_waitcnt vmcnt(0)
	v_cvt_f32_i32_e32 v4, v4
.LBB73_272:
	s_mov_b32 s2, 0
.LBB73_273:
	s_delay_alu instid0(SALU_CYCLE_1)
	s_and_not1_b32 vcc_lo, exec_lo, s2
	s_cbranch_vccnz .LBB73_279
; %bb.274:
	v_cmp_lt_i16_e32 vcc_lo, 0, v9
	s_mov_b32 s2, 0
	s_cbranch_vccz .LBB73_276
; %bb.275:
	global_load_i8 v4, v[2:3], off
	s_waitcnt vmcnt(0)
	v_cvt_f32_i32_e32 v4, v4
	s_branch .LBB73_277
.LBB73_276:
	s_mov_b32 s2, -1
                                        ; implicit-def: $vgpr4
.LBB73_277:
	s_delay_alu instid0(SALU_CYCLE_1)
	s_and_not1_b32 vcc_lo, exec_lo, s2
	s_cbranch_vccnz .LBB73_279
; %bb.278:
	global_load_u8 v2, v[2:3], off
	s_waitcnt vmcnt(0)
	v_cvt_f32_ubyte0_e32 v4, v2
.LBB73_279:
	s_branch .LBB73_21
.LBB73_280:
	s_mov_b32 s2, 0
	s_mov_b32 s35, 0
	s_branch .LBB73_399
.LBB73_281:
	s_mov_b32 s35, -1
.LBB73_282:
	s_mov_b32 s2, 0
                                        ; implicit-def: $vgpr9
.LBB73_283:
	s_and_b32 vcc_lo, exec_lo, s3
	s_cbranch_vccz .LBB73_289
; %bb.284:
	v_cmp_eq_u16_e32 vcc_lo, 44, v3
	s_cbranch_vccz .LBB73_288
; %bb.285:
	global_load_u8 v9, v[1:2], off
	s_mov_b32 s35, 0
	s_mov_b32 s2, -1
	s_waitcnt vmcnt(0)
	v_lshlrev_b32_e32 v10, 23, v9
	v_cmp_ne_u32_e32 vcc_lo, 0xff, v9
	s_delay_alu instid0(VALU_DEP_2) | instskip(SKIP_1) | instid1(VALU_DEP_2)
	v_cndmask_b32_e32 v10, 0x7f800001, v10, vcc_lo
	v_cmp_ne_u32_e32 vcc_lo, 0, v9
	v_cndmask_b32_e32 v9, 0x400000, v10, vcc_lo
	s_branch .LBB73_289
.LBB73_286:
	s_or_saveexec_b32 s39, s39
                                        ; implicit-def: $sgpr40
	s_delay_alu instid0(SALU_CYCLE_1)
	s_xor_b32 exec_lo, exec_lo, s39
	s_cbranch_execz .LBB73_71
.LBB73_287:
	v_add_f32_e64 v0, 0x46000000, |v1|
	s_and_not1_b32 s34, s34, exec_lo
	s_mov_b32 s40, 0
	s_delay_alu instid0(VALU_DEP_1) | instskip(NEXT) | instid1(VALU_DEP_1)
	v_and_b32_e32 v0, 0xff, v0
	v_cmp_ne_u32_e32 vcc_lo, 0, v0
	s_and_b32 s41, vcc_lo, exec_lo
	s_delay_alu instid0(SALU_CYCLE_1)
	s_or_b32 s34, s34, s41
	s_or_b32 exec_lo, exec_lo, s39
	v_mov_b32_e32 v2, s40
	s_and_saveexec_b32 s39, s34
	s_cbranch_execnz .LBB73_72
	s_branch .LBB73_73
.LBB73_288:
	s_mov_b32 s35, -1
                                        ; implicit-def: $vgpr9
.LBB73_289:
	s_mov_b32 s3, 0
.LBB73_290:
	s_delay_alu instid0(SALU_CYCLE_1)
	s_and_b32 vcc_lo, exec_lo, s3
	s_cbranch_vccz .LBB73_294
; %bb.291:
	v_cmp_eq_u16_e32 vcc_lo, 29, v3
	s_cbranch_vccz .LBB73_293
; %bb.292:
	global_load_b64 v[9:10], v[1:2], off
	s_mov_b32 s2, -1
	s_mov_b32 s35, 0
	s_mov_b32 s3, 0
	s_waitcnt vmcnt(0)
	v_clz_i32_u32_e32 v11, v10
	s_delay_alu instid0(VALU_DEP_1) | instskip(NEXT) | instid1(VALU_DEP_1)
	v_min_u32_e32 v11, 32, v11
	v_lshlrev_b64 v[9:10], v11, v[9:10]
	s_delay_alu instid0(VALU_DEP_1) | instskip(NEXT) | instid1(VALU_DEP_1)
	v_min_u32_e32 v9, 1, v9
	v_or_b32_e32 v9, v10, v9
	v_sub_nc_u32_e32 v10, 32, v11
	s_delay_alu instid0(VALU_DEP_2) | instskip(NEXT) | instid1(VALU_DEP_1)
	v_cvt_f32_u32_e32 v9, v9
	v_ldexp_f32 v9, v9, v10
	s_branch .LBB73_295
.LBB73_293:
	s_mov_b32 s35, -1
                                        ; implicit-def: $vgpr9
.LBB73_294:
	s_mov_b32 s3, 0
.LBB73_295:
	s_delay_alu instid0(SALU_CYCLE_1)
	s_and_b32 vcc_lo, exec_lo, s3
	s_cbranch_vccz .LBB73_313
; %bb.296:
	v_cmp_gt_i16_e32 vcc_lo, 27, v3
	s_cbranch_vccnz .LBB73_299
; %bb.297:
	v_cmp_lt_i16_e32 vcc_lo, 27, v3
	s_cbranch_vccz .LBB73_300
; %bb.298:
	global_load_b32 v9, v[1:2], off
	s_mov_b32 s2, 0
	s_waitcnt vmcnt(0)
	v_cvt_f32_u32_e32 v9, v9
	s_branch .LBB73_301
.LBB73_299:
	s_mov_b32 s2, -1
                                        ; implicit-def: $vgpr9
	s_branch .LBB73_304
.LBB73_300:
	s_mov_b32 s2, -1
                                        ; implicit-def: $vgpr9
.LBB73_301:
	s_delay_alu instid0(SALU_CYCLE_1)
	s_and_not1_b32 vcc_lo, exec_lo, s2
	s_cbranch_vccnz .LBB73_303
; %bb.302:
	global_load_u16 v9, v[1:2], off
	s_waitcnt vmcnt(0)
	v_cvt_f32_u32_e32 v9, v9
.LBB73_303:
	s_mov_b32 s2, 0
.LBB73_304:
	s_delay_alu instid0(SALU_CYCLE_1)
	s_and_not1_b32 vcc_lo, exec_lo, s2
	s_cbranch_vccnz .LBB73_312
; %bb.305:
	global_load_u8 v10, v[1:2], off
	s_mov_b32 s2, 0
	s_mov_b32 s34, exec_lo
                                        ; implicit-def: $sgpr3
	s_waitcnt vmcnt(0)
	v_cmpx_lt_i16_e32 0x7f, v10
	s_xor_b32 s34, exec_lo, s34
	s_cbranch_execz .LBB73_326
; %bb.306:
	s_mov_b32 s2, -1
	s_mov_b32 s39, exec_lo
                                        ; implicit-def: $sgpr3
	v_cmpx_eq_u16_e32 0x80, v10
; %bb.307:
	s_mov_b32 s3, 0x7f800001
	s_xor_b32 s2, exec_lo, -1
; %bb.308:
	s_or_b32 exec_lo, exec_lo, s39
	s_delay_alu instid0(SALU_CYCLE_1)
	s_and_b32 s2, s2, exec_lo
	s_or_saveexec_b32 s34, s34
	v_mov_b32_e32 v9, s3
	s_xor_b32 exec_lo, exec_lo, s34
	s_cbranch_execnz .LBB73_327
.LBB73_309:
	s_or_b32 exec_lo, exec_lo, s34
	s_and_saveexec_b32 s3, s2
	s_cbranch_execz .LBB73_311
.LBB73_310:
	v_and_b32_e32 v9, 0xffff, v10
	s_delay_alu instid0(VALU_DEP_1) | instskip(NEXT) | instid1(VALU_DEP_1)
	v_and_b32_e32 v11, 7, v9
	v_clz_i32_u32_e32 v12, v11
	s_delay_alu instid0(VALU_DEP_1) | instskip(NEXT) | instid1(VALU_DEP_1)
	v_min_u32_e32 v12, 32, v12
	v_subrev_nc_u32_e32 v13, 28, v12
	v_sub_nc_u32_e32 v12, 29, v12
	s_delay_alu instid0(VALU_DEP_2) | instskip(SKIP_1) | instid1(VALU_DEP_2)
	v_lshlrev_b32_e32 v13, v13, v9
	v_bfe_u32 v9, v9, 3, 4
	v_and_b32_e32 v13, 7, v13
	s_delay_alu instid0(VALU_DEP_2) | instskip(SKIP_1) | instid1(VALU_DEP_1)
	v_cmp_eq_u32_e32 vcc_lo, 0, v9
	v_dual_cndmask_b32 v9, v9, v12 :: v_dual_lshlrev_b32 v10, 24, v10
	v_dual_cndmask_b32 v11, v11, v13 :: v_dual_and_b32 v10, 0x80000000, v10
	s_delay_alu instid0(VALU_DEP_2) | instskip(NEXT) | instid1(VALU_DEP_2)
	v_lshl_add_u32 v9, v9, 23, 0x3b800000
	v_lshlrev_b32_e32 v11, 20, v11
	s_delay_alu instid0(VALU_DEP_1)
	v_or3_b32 v9, v10, v9, v11
.LBB73_311:
	s_or_b32 exec_lo, exec_lo, s3
.LBB73_312:
	s_mov_b32 s2, -1
.LBB73_313:
	s_mov_b32 s3, 0
.LBB73_314:
	s_delay_alu instid0(SALU_CYCLE_1)
	s_and_b32 vcc_lo, exec_lo, s3
	s_cbranch_vccz .LBB73_349
; %bb.315:
	v_cmp_lt_i16_e32 vcc_lo, 22, v3
	s_cbranch_vccz .LBB73_325
; %bb.316:
	v_cmp_gt_i16_e32 vcc_lo, 24, v3
	s_cbranch_vccnz .LBB73_328
; %bb.317:
	v_cmp_lt_i16_e32 vcc_lo, 24, v3
	s_cbranch_vccz .LBB73_329
; %bb.318:
	global_load_u8 v10, v[1:2], off
	s_mov_b32 s2, 0
	s_mov_b32 s34, exec_lo
                                        ; implicit-def: $sgpr3
	s_waitcnt vmcnt(0)
	v_cmpx_lt_i16_e32 0x7f, v10
	s_xor_b32 s34, exec_lo, s34
	s_cbranch_execz .LBB73_341
; %bb.319:
	s_mov_b32 s2, -1
	s_mov_b32 s39, exec_lo
                                        ; implicit-def: $sgpr3
	v_cmpx_eq_u16_e32 0x80, v10
; %bb.320:
	s_mov_b32 s3, 0x7f800001
	s_xor_b32 s2, exec_lo, -1
; %bb.321:
	s_or_b32 exec_lo, exec_lo, s39
	s_delay_alu instid0(SALU_CYCLE_1)
	s_and_b32 s2, s2, exec_lo
	s_or_saveexec_b32 s34, s34
	v_mov_b32_e32 v9, s3
	s_xor_b32 exec_lo, exec_lo, s34
	s_cbranch_execnz .LBB73_342
.LBB73_322:
	s_or_b32 exec_lo, exec_lo, s34
	s_and_saveexec_b32 s3, s2
	s_cbranch_execz .LBB73_324
.LBB73_323:
	v_and_b32_e32 v9, 0xffff, v10
	s_delay_alu instid0(VALU_DEP_1) | instskip(NEXT) | instid1(VALU_DEP_1)
	v_and_b32_e32 v11, 3, v9
	v_clz_i32_u32_e32 v12, v11
	s_delay_alu instid0(VALU_DEP_1) | instskip(NEXT) | instid1(VALU_DEP_1)
	v_min_u32_e32 v12, 32, v12
	v_subrev_nc_u32_e32 v13, 29, v12
	v_sub_nc_u32_e32 v12, 30, v12
	s_delay_alu instid0(VALU_DEP_2) | instskip(SKIP_1) | instid1(VALU_DEP_2)
	v_lshlrev_b32_e32 v13, v13, v9
	v_bfe_u32 v9, v9, 2, 5
	v_and_b32_e32 v13, 3, v13
	s_delay_alu instid0(VALU_DEP_2) | instskip(SKIP_1) | instid1(VALU_DEP_1)
	v_cmp_eq_u32_e32 vcc_lo, 0, v9
	v_dual_cndmask_b32 v9, v9, v12 :: v_dual_lshlrev_b32 v10, 24, v10
	v_dual_cndmask_b32 v11, v11, v13 :: v_dual_and_b32 v10, 0x80000000, v10
	s_delay_alu instid0(VALU_DEP_2) | instskip(NEXT) | instid1(VALU_DEP_2)
	v_lshl_add_u32 v9, v9, 23, 0x37800000
	v_lshlrev_b32_e32 v11, 21, v11
	s_delay_alu instid0(VALU_DEP_1)
	v_or3_b32 v9, v10, v9, v11
.LBB73_324:
	s_or_b32 exec_lo, exec_lo, s3
	s_mov_b32 s2, 0
	s_branch .LBB73_330
.LBB73_325:
	s_mov_b32 s3, -1
                                        ; implicit-def: $vgpr9
	s_branch .LBB73_336
.LBB73_326:
	s_or_saveexec_b32 s34, s34
	v_mov_b32_e32 v9, s3
	s_xor_b32 exec_lo, exec_lo, s34
	s_cbranch_execz .LBB73_309
.LBB73_327:
	v_cmp_ne_u16_e32 vcc_lo, 0, v10
	v_mov_b32_e32 v9, 0
	s_and_not1_b32 s2, s2, exec_lo
	s_and_b32 s3, vcc_lo, exec_lo
	s_delay_alu instid0(SALU_CYCLE_1)
	s_or_b32 s2, s2, s3
	s_or_b32 exec_lo, exec_lo, s34
	s_and_saveexec_b32 s3, s2
	s_cbranch_execnz .LBB73_310
	s_branch .LBB73_311
.LBB73_328:
	s_mov_b32 s2, -1
                                        ; implicit-def: $vgpr9
	s_branch .LBB73_333
.LBB73_329:
	s_mov_b32 s2, -1
                                        ; implicit-def: $vgpr9
.LBB73_330:
	s_delay_alu instid0(SALU_CYCLE_1)
	s_and_b32 vcc_lo, exec_lo, s2
	s_cbranch_vccz .LBB73_332
; %bb.331:
	global_load_u8 v9, v[1:2], off
	s_waitcnt vmcnt(0)
	v_lshlrev_b32_e32 v9, 24, v9
	s_delay_alu instid0(VALU_DEP_1) | instskip(NEXT) | instid1(VALU_DEP_1)
	v_and_b32_e32 v10, 0x7f000000, v9
	v_clz_i32_u32_e32 v11, v10
	v_add_nc_u32_e32 v13, 0x1000000, v10
	v_cmp_ne_u32_e32 vcc_lo, 0, v10
	s_delay_alu instid0(VALU_DEP_3) | instskip(NEXT) | instid1(VALU_DEP_1)
	v_min_u32_e32 v11, 32, v11
	v_sub_nc_u32_e64 v11, v11, 4 clamp
	s_delay_alu instid0(VALU_DEP_1) | instskip(SKIP_1) | instid1(VALU_DEP_2)
	v_lshlrev_b32_e32 v12, v11, v10
	v_lshlrev_b32_e32 v11, 23, v11
	v_lshrrev_b32_e32 v12, 4, v12
	s_delay_alu instid0(VALU_DEP_1) | instskip(SKIP_1) | instid1(VALU_DEP_2)
	v_sub_nc_u32_e32 v11, v12, v11
	v_ashrrev_i32_e32 v12, 8, v13
	v_add_nc_u32_e32 v11, 0x3c000000, v11
	s_delay_alu instid0(VALU_DEP_1) | instskip(NEXT) | instid1(VALU_DEP_1)
	v_and_or_b32 v11, 0x7f800000, v12, v11
	v_cndmask_b32_e32 v10, 0, v11, vcc_lo
	s_delay_alu instid0(VALU_DEP_1)
	v_and_or_b32 v9, 0x80000000, v9, v10
.LBB73_332:
	s_mov_b32 s2, 0
.LBB73_333:
	s_delay_alu instid0(SALU_CYCLE_1)
	s_and_not1_b32 vcc_lo, exec_lo, s2
	s_cbranch_vccnz .LBB73_335
; %bb.334:
	global_load_u8 v9, v[1:2], off
	s_waitcnt vmcnt(0)
	v_lshlrev_b32_e32 v10, 25, v9
	v_lshlrev_b16 v9, 8, v9
	s_delay_alu instid0(VALU_DEP_2) | instskip(NEXT) | instid1(VALU_DEP_2)
	v_lshrrev_b32_e32 v11, 4, v10
	v_and_or_b32 v12, 0x7f00, v9, 0.5
	v_bfe_i32 v9, v9, 0, 16
	s_delay_alu instid0(VALU_DEP_3) | instskip(NEXT) | instid1(VALU_DEP_1)
	v_or_b32_e32 v11, 0x70000000, v11
	v_dual_add_f32 v12, -0.5, v12 :: v_dual_mul_f32 v11, 0x7800000, v11
	v_cmp_gt_u32_e32 vcc_lo, 0x8000000, v10
	s_delay_alu instid0(VALU_DEP_2) | instskip(NEXT) | instid1(VALU_DEP_1)
	v_cndmask_b32_e32 v10, v11, v12, vcc_lo
	v_and_or_b32 v9, 0x80000000, v9, v10
.LBB73_335:
	s_mov_b32 s3, 0
	s_mov_b32 s2, -1
.LBB73_336:
	s_and_not1_b32 vcc_lo, exec_lo, s3
	s_cbranch_vccnz .LBB73_349
; %bb.337:
	v_cmp_lt_i16_e32 vcc_lo, 14, v3
	s_cbranch_vccz .LBB73_340
; %bb.338:
	v_cmp_eq_u16_e32 vcc_lo, 15, v3
	s_cbranch_vccz .LBB73_343
; %bb.339:
	global_load_u16 v9, v[1:2], off
	s_mov_b32 s2, -1
	s_mov_b32 s35, 0
	s_waitcnt vmcnt(0)
	v_lshlrev_b32_e32 v9, 16, v9
	s_branch .LBB73_344
.LBB73_340:
	s_mov_b32 s3, -1
                                        ; implicit-def: $vgpr9
	s_branch .LBB73_345
.LBB73_341:
	s_or_saveexec_b32 s34, s34
	v_mov_b32_e32 v9, s3
	s_xor_b32 exec_lo, exec_lo, s34
	s_cbranch_execz .LBB73_322
.LBB73_342:
	v_cmp_ne_u16_e32 vcc_lo, 0, v10
	v_mov_b32_e32 v9, 0
	s_and_not1_b32 s2, s2, exec_lo
	s_and_b32 s3, vcc_lo, exec_lo
	s_delay_alu instid0(SALU_CYCLE_1)
	s_or_b32 s2, s2, s3
	s_or_b32 exec_lo, exec_lo, s34
	s_and_saveexec_b32 s3, s2
	s_cbranch_execnz .LBB73_323
	s_branch .LBB73_324
.LBB73_343:
	s_mov_b32 s35, -1
                                        ; implicit-def: $vgpr9
.LBB73_344:
	s_mov_b32 s3, 0
.LBB73_345:
	s_delay_alu instid0(SALU_CYCLE_1)
	s_and_b32 vcc_lo, exec_lo, s3
	s_cbranch_vccz .LBB73_349
; %bb.346:
	v_cmp_eq_u16_e32 vcc_lo, 11, v3
	s_cbranch_vccz .LBB73_348
; %bb.347:
	global_load_u8 v9, v[1:2], off
	s_mov_b32 s35, 0
	s_mov_b32 s2, -1
	s_waitcnt vmcnt(0)
	v_cmp_ne_u16_e32 vcc_lo, 0, v9
	v_cndmask_b32_e64 v9, 0, 1.0, vcc_lo
	s_branch .LBB73_349
.LBB73_348:
	s_mov_b32 s35, -1
                                        ; implicit-def: $vgpr9
.LBB73_349:
	s_branch .LBB73_30
.LBB73_350:
	v_cmp_gt_i16_e32 vcc_lo, 5, v3
	s_cbranch_vccnz .LBB73_355
; %bb.351:
	v_cmp_gt_i16_e32 vcc_lo, 8, v3
	s_cbranch_vccnz .LBB73_356
; %bb.352:
	;; [unrolled: 3-line block ×3, first 2 shown]
	v_cmp_lt_i16_e32 vcc_lo, 9, v3
	s_cbranch_vccz .LBB73_358
; %bb.354:
	global_load_b64 v[9:10], v[1:2], off
	s_mov_b32 s2, 0
	s_waitcnt vmcnt(0)
	v_cvt_f32_f64_e32 v9, v[9:10]
	s_branch .LBB73_359
.LBB73_355:
	s_mov_b32 s2, -1
                                        ; implicit-def: $vgpr9
	s_branch .LBB73_377
.LBB73_356:
	s_mov_b32 s2, -1
                                        ; implicit-def: $vgpr9
	s_branch .LBB73_365
.LBB73_357:
	s_mov_b32 s2, -1
                                        ; implicit-def: $vgpr9
	s_branch .LBB73_362
.LBB73_358:
	s_mov_b32 s2, -1
                                        ; implicit-def: $vgpr9
.LBB73_359:
	s_delay_alu instid0(SALU_CYCLE_1)
	s_and_not1_b32 vcc_lo, exec_lo, s2
	s_cbranch_vccnz .LBB73_361
; %bb.360:
	global_load_b32 v9, v[1:2], off
.LBB73_361:
	s_mov_b32 s2, 0
.LBB73_362:
	s_delay_alu instid0(SALU_CYCLE_1)
	s_and_not1_b32 vcc_lo, exec_lo, s2
	s_cbranch_vccnz .LBB73_364
; %bb.363:
	global_load_b32 v9, v[1:2], off
	s_waitcnt vmcnt(0)
	v_cvt_f32_f16_e32 v9, v9
.LBB73_364:
	s_mov_b32 s2, 0
.LBB73_365:
	s_delay_alu instid0(SALU_CYCLE_1)
	s_and_not1_b32 vcc_lo, exec_lo, s2
	s_cbranch_vccnz .LBB73_376
; %bb.366:
	v_cmp_gt_i16_e32 vcc_lo, 6, v3
	s_cbranch_vccnz .LBB73_369
; %bb.367:
	v_cmp_lt_i16_e32 vcc_lo, 6, v3
	s_cbranch_vccz .LBB73_370
; %bb.368:
	global_load_b64 v[9:10], v[1:2], off
	s_mov_b32 s2, 0
	s_waitcnt vmcnt(0)
	v_cvt_f32_f64_e32 v9, v[9:10]
	s_branch .LBB73_371
.LBB73_369:
	s_mov_b32 s2, -1
                                        ; implicit-def: $vgpr9
	s_branch .LBB73_374
.LBB73_370:
	s_mov_b32 s2, -1
                                        ; implicit-def: $vgpr9
.LBB73_371:
	s_delay_alu instid0(SALU_CYCLE_1)
	s_and_not1_b32 vcc_lo, exec_lo, s2
	s_cbranch_vccnz .LBB73_373
; %bb.372:
	global_load_b32 v9, v[1:2], off
.LBB73_373:
	s_mov_b32 s2, 0
.LBB73_374:
	s_delay_alu instid0(SALU_CYCLE_1)
	s_and_not1_b32 vcc_lo, exec_lo, s2
	s_cbranch_vccnz .LBB73_376
; %bb.375:
	global_load_u16 v9, v[1:2], off
	s_waitcnt vmcnt(0)
	v_cvt_f32_f16_e32 v9, v9
.LBB73_376:
	s_mov_b32 s2, 0
.LBB73_377:
	s_delay_alu instid0(SALU_CYCLE_1)
	s_and_not1_b32 vcc_lo, exec_lo, s2
	s_cbranch_vccnz .LBB73_397
; %bb.378:
	v_cmp_gt_i16_e32 vcc_lo, 2, v3
	s_cbranch_vccnz .LBB73_382
; %bb.379:
	v_cmp_gt_i16_e32 vcc_lo, 3, v3
	s_cbranch_vccnz .LBB73_383
; %bb.380:
	v_cmp_lt_i16_e32 vcc_lo, 3, v3
	s_cbranch_vccz .LBB73_384
; %bb.381:
	global_load_b64 v[9:10], v[1:2], off
	s_mov_b32 s2, 0
	s_waitcnt vmcnt(0)
	v_xor_b32_e32 v11, v9, v10
	v_cls_i32_e32 v12, v10
	s_delay_alu instid0(VALU_DEP_2) | instskip(NEXT) | instid1(VALU_DEP_2)
	v_ashrrev_i32_e32 v11, 31, v11
	v_add_nc_u32_e32 v12, -1, v12
	s_delay_alu instid0(VALU_DEP_2) | instskip(NEXT) | instid1(VALU_DEP_1)
	v_add_nc_u32_e32 v11, 32, v11
	v_min_u32_e32 v11, v12, v11
	s_delay_alu instid0(VALU_DEP_1) | instskip(NEXT) | instid1(VALU_DEP_1)
	v_lshlrev_b64 v[9:10], v11, v[9:10]
	v_min_u32_e32 v9, 1, v9
	s_delay_alu instid0(VALU_DEP_1) | instskip(SKIP_1) | instid1(VALU_DEP_2)
	v_or_b32_e32 v9, v10, v9
	v_sub_nc_u32_e32 v10, 32, v11
	v_cvt_f32_i32_e32 v9, v9
	s_delay_alu instid0(VALU_DEP_1)
	v_ldexp_f32 v9, v9, v10
	s_branch .LBB73_385
.LBB73_382:
	s_mov_b32 s2, -1
                                        ; implicit-def: $vgpr9
	s_branch .LBB73_391
.LBB73_383:
	s_mov_b32 s2, -1
                                        ; implicit-def: $vgpr9
	s_branch .LBB73_388
.LBB73_384:
	s_mov_b32 s2, -1
                                        ; implicit-def: $vgpr9
.LBB73_385:
	s_delay_alu instid0(SALU_CYCLE_1)
	s_and_not1_b32 vcc_lo, exec_lo, s2
	s_cbranch_vccnz .LBB73_387
; %bb.386:
	global_load_b32 v9, v[1:2], off
	s_waitcnt vmcnt(0)
	v_cvt_f32_i32_e32 v9, v9
.LBB73_387:
	s_mov_b32 s2, 0
.LBB73_388:
	s_delay_alu instid0(SALU_CYCLE_1)
	s_and_not1_b32 vcc_lo, exec_lo, s2
	s_cbranch_vccnz .LBB73_390
; %bb.389:
	global_load_i16 v9, v[1:2], off
	s_waitcnt vmcnt(0)
	v_cvt_f32_i32_e32 v9, v9
.LBB73_390:
	s_mov_b32 s2, 0
.LBB73_391:
	s_delay_alu instid0(SALU_CYCLE_1)
	s_and_not1_b32 vcc_lo, exec_lo, s2
	s_cbranch_vccnz .LBB73_397
; %bb.392:
	v_cmp_lt_i16_e32 vcc_lo, 0, v3
	s_mov_b32 s2, 0
	s_cbranch_vccz .LBB73_394
; %bb.393:
	global_load_i8 v3, v[1:2], off
	s_waitcnt vmcnt(0)
	v_cvt_f32_i32_e32 v9, v3
	s_branch .LBB73_395
.LBB73_394:
	s_mov_b32 s2, -1
                                        ; implicit-def: $vgpr9
.LBB73_395:
	s_delay_alu instid0(SALU_CYCLE_1)
	s_and_not1_b32 vcc_lo, exec_lo, s2
	s_cbranch_vccnz .LBB73_397
; %bb.396:
	global_load_u8 v1, v[1:2], off
	s_waitcnt vmcnt(0)
	v_cvt_f32_ubyte0_e32 v9, v1
.LBB73_397:
	s_branch .LBB73_31
.LBB73_398:
	s_mov_b32 s2, 0
.LBB73_399:
	s_mov_b32 s3, 0
                                        ; implicit-def: $vgpr8
.LBB73_400:
	s_and_b32 s34, s2, exec_lo
	s_and_b32 s35, s35, exec_lo
	;; [unrolled: 1-line block ×3, first 2 shown]
	s_or_not1_b32 s2, s3, exec_lo
.LBB73_401:
	s_or_b32 exec_lo, exec_lo, s37
	s_mov_b32 s39, 0
	s_mov_b32 s3, 0
                                        ; implicit-def: $vgpr4
                                        ; implicit-def: $vgpr2_vgpr3
                                        ; implicit-def: $vgpr0
                                        ; implicit-def: $vgpr1
                                        ; implicit-def: $vgpr9
	s_and_saveexec_b32 s37, s2
	s_cbranch_execz .LBB73_1317
; %bb.402:
	s_mov_b32 s43, -1
	s_mov_b32 s38, s36
	s_mov_b32 s40, s35
	;; [unrolled: 1-line block ×3, first 2 shown]
	s_mov_b32 s41, exec_lo
	v_cmpx_gt_i32_e64 s31, v8
	s_cbranch_execz .LBB73_735
; %bb.403:
	s_and_not1_b32 vcc_lo, exec_lo, s27
	s_cbranch_vccnz .LBB73_409
; %bb.404:
	v_dual_mov_b32 v0, 0 :: v_dual_mov_b32 v1, 0
	v_mov_b32_e32 v2, 0
	s_and_not1_b32 vcc_lo, exec_lo, s33
	s_mov_b32 s38, 0
	s_cbranch_vccnz .LBB73_410
; %bb.405:
	s_add_i32 s2, s30, 1
	v_dual_mov_b32 v1, 0 :: v_dual_mov_b32 v2, 0
	v_dual_mov_b32 v0, 0 :: v_dual_mov_b32 v3, v8
	s_and_b32 s39, s2, 30
	s_add_u32 s2, s16, 0xffffffec
	s_addc_u32 s3, s17, -1
	s_set_inst_prefetch_distance 0x1
	.p2align	6
.LBB73_406:                             ; =>This Inner Loop Header: Depth=1
	s_clause 0x2
	s_load_b128 s[44:47], s[2:3], 0x18
	s_load_b64 s[42:43], s[2:3], 0x28
	s_load_b128 s[48:51], s[2:3], 0xd8
	s_waitcnt vmcnt(0) lgkmcnt(0)
	v_mul_hi_u32 v4, s45, v3
	s_delay_alu instid0(VALU_DEP_1) | instskip(NEXT) | instid1(VALU_DEP_1)
	v_add_nc_u32_e32 v4, v3, v4
	v_lshrrev_b32_e32 v4, s46, v4
	s_delay_alu instid0(VALU_DEP_1)
	v_mul_hi_u32 v9, s42, v4
	v_mul_lo_u32 v10, v4, s44
	s_load_b64 s[44:45], s[2:3], 0xe8
	s_add_u32 s2, s2, 24
	s_addc_u32 s3, s3, 0
	s_add_i32 s39, s39, -2
	s_delay_alu instid0(SALU_CYCLE_1) | instskip(NEXT) | instid1(VALU_DEP_2)
	s_cmp_eq_u32 s39, 0
	v_add_nc_u32_e32 v9, v4, v9
	s_delay_alu instid0(VALU_DEP_2) | instskip(NEXT) | instid1(VALU_DEP_2)
	v_sub_nc_u32_e32 v10, v3, v10
	v_lshrrev_b32_e32 v3, s43, v9
	s_delay_alu instid0(VALU_DEP_2) | instskip(NEXT) | instid1(VALU_DEP_2)
	v_mul_lo_u32 v11, v10, s48
	v_mul_lo_u32 v9, v3, s47
	s_delay_alu instid0(VALU_DEP_1) | instskip(SKIP_2) | instid1(VALU_DEP_3)
	v_sub_nc_u32_e32 v4, v4, v9
	v_mul_lo_u32 v9, v10, s49
	v_mul_lo_u32 v10, v10, s50
	;; [unrolled: 1-line block ×3, first 2 shown]
	s_waitcnt lgkmcnt(0)
	v_mul_lo_u32 v13, v4, s44
	v_mul_lo_u32 v4, v4, s45
	s_delay_alu instid0(VALU_DEP_3) | instskip(NEXT) | instid1(VALU_DEP_3)
	v_add3_u32 v0, v11, v0, v12
	v_add3_u32 v2, v9, v2, v13
	s_delay_alu instid0(VALU_DEP_3)
	v_add3_u32 v1, v10, v1, v4
	s_cbranch_scc0 .LBB73_406
; %bb.407:
	s_set_inst_prefetch_distance 0x2
	s_bitcmp1_b32 s30, 0
	s_cselect_b32 s39, -1, 0
	s_delay_alu instid0(SALU_CYCLE_1)
	s_and_b32 vcc_lo, exec_lo, s39
	s_cbranch_vccnz .LBB73_410
; %bb.408:
	s_clause 0x3
	s_load_b64 s[42:43], s[2:3], 0x18
	s_load_b32 s39, s[2:3], 0x20
	s_load_b64 s[44:45], s[2:3], 0xd8
	s_load_b32 s2, s[2:3], 0xe0
	s_waitcnt lgkmcnt(0)
	v_mul_hi_u32 v4, s43, v3
	s_delay_alu instid0(VALU_DEP_1) | instskip(NEXT) | instid1(VALU_DEP_1)
	v_add_nc_u32_e32 v4, v3, v4
	v_lshrrev_b32_e32 v4, s39, v4
	s_delay_alu instid0(VALU_DEP_1) | instskip(NEXT) | instid1(VALU_DEP_1)
	v_mul_lo_u32 v4, v4, s42
	v_sub_nc_u32_e32 v12, v3, v4
	s_delay_alu instid0(VALU_DEP_1) | instskip(NEXT) | instid1(VALU_DEP_1)
	v_mad_u64_u32 v[3:4], null, v12, s44, v[0:1]
	v_mad_u64_u32 v[9:10], null, v12, s45, v[2:3]
	;; [unrolled: 1-line block ×3, first 2 shown]
	v_mov_b32_e32 v0, v3
	s_delay_alu instid0(VALU_DEP_2)
	v_dual_mov_b32 v2, v9 :: v_dual_mov_b32 v1, v10
	s_branch .LBB73_410
.LBB73_409:
	s_mov_b32 s38, -1
                                        ; implicit-def: $vgpr0
                                        ; implicit-def: $vgpr2
                                        ; implicit-def: $vgpr1
.LBB73_410:
	s_delay_alu instid0(SALU_CYCLE_1)
	s_and_not1_b32 vcc_lo, exec_lo, s38
	s_cbranch_vccnz .LBB73_413
; %bb.411:
	s_waitcnt lgkmcnt(0)
	v_mul_hi_u32 v0, s13, v8
	s_and_not1_b32 vcc_lo, exec_lo, s29
	s_delay_alu instid0(VALU_DEP_1) | instskip(NEXT) | instid1(VALU_DEP_1)
	v_add_nc_u32_e32 v0, v8, v0
	v_lshrrev_b32_e32 v3, s14, v0
	s_delay_alu instid0(VALU_DEP_1) | instskip(NEXT) | instid1(VALU_DEP_1)
	v_mul_lo_u32 v0, v3, s12
	v_sub_nc_u32_e32 v1, v8, v0
	s_delay_alu instid0(VALU_DEP_1)
	v_mul_lo_u32 v0, v1, s8
	v_mul_lo_u32 v2, v1, s9
	;; [unrolled: 1-line block ×3, first 2 shown]
	s_cbranch_vccnz .LBB73_413
; %bb.412:
	s_waitcnt vmcnt(0)
	v_mul_hi_u32 v4, s22, v3
	s_delay_alu instid0(VALU_DEP_1) | instskip(NEXT) | instid1(VALU_DEP_1)
	v_add_nc_u32_e32 v4, v3, v4
	v_lshrrev_b32_e32 v4, s23, v4
	s_delay_alu instid0(VALU_DEP_1) | instskip(NEXT) | instid1(VALU_DEP_1)
	v_mul_lo_u32 v4, v4, s15
	v_sub_nc_u32_e32 v12, v3, v4
	s_delay_alu instid0(VALU_DEP_1) | instskip(NEXT) | instid1(VALU_DEP_1)
	v_mad_u64_u32 v[3:4], null, v12, s11, v[0:1]
	v_mad_u64_u32 v[9:10], null, v12, s20, v[2:3]
	;; [unrolled: 1-line block ×3, first 2 shown]
	v_mov_b32_e32 v0, v3
	s_delay_alu instid0(VALU_DEP_2)
	v_dual_mov_b32 v2, v9 :: v_dual_mov_b32 v1, v10
.LBB73_413:
	s_waitcnt vmcnt(0)
	v_and_b32_e32 v9, 0xff, v7
	s_waitcnt lgkmcnt(0)
	s_delay_alu instid0(VALU_DEP_2) | instskip(NEXT) | instid1(VALU_DEP_1)
	v_add_co_u32 v2, s2, s6, v2
	v_add_co_ci_u32_e64 v3, null, s7, 0, s2
	s_delay_alu instid0(VALU_DEP_3)
	v_cmp_gt_i16_e32 vcc_lo, 11, v9
	s_mov_b32 s2, 0
	s_cbranch_vccnz .LBB73_420
; %bb.414:
	v_cmp_lt_i16_e32 vcc_lo, 25, v9
	s_cbranch_vccz .LBB73_429
; %bb.415:
	v_cmp_lt_i16_e32 vcc_lo, 28, v9
	s_cbranch_vccz .LBB73_431
	;; [unrolled: 3-line block ×4, first 2 shown]
; %bb.418:
	v_cmp_eq_u16_e32 vcc_lo, 46, v9
	s_mov_b32 s3, 0
	s_cbranch_vccz .LBB73_437
; %bb.419:
	global_load_b32 v4, v[2:3], off
	s_mov_b32 s2, -1
	s_mov_b32 s38, 0
	s_waitcnt vmcnt(0)
	v_lshlrev_b32_e32 v4, 16, v4
	s_branch .LBB73_439
.LBB73_420:
	s_mov_b32 s38, s36
                                        ; implicit-def: $vgpr4
	s_cbranch_execnz .LBB73_505
.LBB73_421:
	s_and_not1_b32 vcc_lo, exec_lo, s2
	s_cbranch_vccnz .LBB73_553
.LBB73_422:
	v_and_b32_e32 v3, 0xff, v6
	v_add_co_u32 v1, s2, s18, v1
	s_delay_alu instid0(VALU_DEP_1) | instskip(NEXT) | instid1(VALU_DEP_3)
	v_add_co_ci_u32_e64 v2, null, s19, 0, s2
	v_cmp_gt_i16_e32 vcc_lo, 11, v3
	s_mov_b32 s2, 0
	s_cbranch_vccnz .LBB73_430
; %bb.423:
	v_cmp_lt_i16_e32 vcc_lo, 25, v3
	s_cbranch_vccz .LBB73_432
; %bb.424:
	v_cmp_lt_i16_e32 vcc_lo, 28, v3
	s_cbranch_vccz .LBB73_434
; %bb.425:
	v_cmp_lt_i16_e32 vcc_lo, 43, v3
	s_cbranch_vccz .LBB73_436
; %bb.426:
	v_cmp_lt_i16_e32 vcc_lo, 45, v3
	s_cbranch_vccz .LBB73_442
; %bb.427:
	v_cmp_eq_u16_e32 vcc_lo, 46, v3
	s_mov_b32 s3, 0
	s_cbranch_vccz .LBB73_556
; %bb.428:
	global_load_b32 v9, v[1:2], off
	s_mov_b32 s2, -1
	s_mov_b32 s40, 0
	s_waitcnt vmcnt(0)
	v_lshlrev_b32_e32 v9, 16, v9
	s_branch .LBB73_558
.LBB73_429:
	s_mov_b32 s3, -1
	s_mov_b32 s38, s36
                                        ; implicit-def: $vgpr4
	s_branch .LBB73_469
.LBB73_430:
	s_mov_b32 s3, -1
	s_mov_b32 s40, s35
                                        ; implicit-def: $vgpr9
	s_branch .LBB73_623
.LBB73_431:
	s_mov_b32 s3, -1
	s_mov_b32 s38, s36
                                        ; implicit-def: $vgpr4
	s_branch .LBB73_450
.LBB73_432:
	s_mov_b32 s3, -1
	s_mov_b32 s40, s35
                                        ; implicit-def: $vgpr9
	s_branch .LBB73_587
.LBB73_433:
	s_mov_b32 s3, -1
	s_mov_b32 s38, s36
                                        ; implicit-def: $vgpr4
	s_branch .LBB73_445
.LBB73_434:
	s_mov_b32 s3, -1
	s_mov_b32 s40, s35
                                        ; implicit-def: $vgpr9
	s_branch .LBB73_568
.LBB73_435:
	s_mov_b32 s3, -1
	s_mov_b32 s38, s36
	s_branch .LBB73_438
.LBB73_436:
	s_mov_b32 s3, -1
	s_mov_b32 s40, s35
                                        ; implicit-def: $vgpr9
	s_branch .LBB73_563
.LBB73_437:
	s_mov_b32 s38, -1
.LBB73_438:
                                        ; implicit-def: $vgpr4
.LBB73_439:
	s_and_b32 vcc_lo, exec_lo, s3
	s_cbranch_vccz .LBB73_444
; %bb.440:
	v_cmp_eq_u16_e32 vcc_lo, 44, v9
	s_cbranch_vccz .LBB73_443
; %bb.441:
	global_load_u8 v4, v[2:3], off
	s_mov_b32 s38, 0
	s_mov_b32 s2, -1
	s_waitcnt vmcnt(0)
	v_lshlrev_b32_e32 v10, 23, v4
	v_cmp_ne_u32_e32 vcc_lo, 0xff, v4
	s_delay_alu instid0(VALU_DEP_2) | instskip(SKIP_1) | instid1(VALU_DEP_2)
	v_cndmask_b32_e32 v10, 0x7f800001, v10, vcc_lo
	v_cmp_ne_u32_e32 vcc_lo, 0, v4
	v_cndmask_b32_e32 v4, 0x400000, v10, vcc_lo
	s_branch .LBB73_444
.LBB73_442:
	s_mov_b32 s3, -1
	s_mov_b32 s40, s35
	s_branch .LBB73_557
.LBB73_443:
	s_mov_b32 s38, -1
                                        ; implicit-def: $vgpr4
.LBB73_444:
	s_mov_b32 s3, 0
.LBB73_445:
	s_delay_alu instid0(SALU_CYCLE_1)
	s_and_b32 vcc_lo, exec_lo, s3
	s_cbranch_vccz .LBB73_449
; %bb.446:
	v_cmp_eq_u16_e32 vcc_lo, 29, v9
	s_cbranch_vccz .LBB73_448
; %bb.447:
	global_load_b64 v[10:11], v[2:3], off
	s_mov_b32 s2, -1
	s_mov_b32 s38, 0
	s_mov_b32 s3, 0
	s_waitcnt vmcnt(0)
	v_clz_i32_u32_e32 v4, v11
	s_delay_alu instid0(VALU_DEP_1) | instskip(NEXT) | instid1(VALU_DEP_1)
	v_min_u32_e32 v4, 32, v4
	v_lshlrev_b64 v[10:11], v4, v[10:11]
	v_sub_nc_u32_e32 v4, 32, v4
	s_delay_alu instid0(VALU_DEP_2) | instskip(NEXT) | instid1(VALU_DEP_1)
	v_min_u32_e32 v10, 1, v10
	v_or_b32_e32 v10, v11, v10
	s_delay_alu instid0(VALU_DEP_1) | instskip(NEXT) | instid1(VALU_DEP_1)
	v_cvt_f32_u32_e32 v10, v10
	v_ldexp_f32 v4, v10, v4
	s_branch .LBB73_450
.LBB73_448:
	s_mov_b32 s38, -1
                                        ; implicit-def: $vgpr4
.LBB73_449:
	s_mov_b32 s3, 0
.LBB73_450:
	s_delay_alu instid0(SALU_CYCLE_1)
	s_and_b32 vcc_lo, exec_lo, s3
	s_cbranch_vccz .LBB73_468
; %bb.451:
	v_cmp_gt_i16_e32 vcc_lo, 27, v9
	s_cbranch_vccnz .LBB73_454
; %bb.452:
	v_cmp_lt_i16_e32 vcc_lo, 27, v9
	s_cbranch_vccz .LBB73_455
; %bb.453:
	global_load_b32 v4, v[2:3], off
	s_mov_b32 s2, 0
	s_waitcnt vmcnt(0)
	v_cvt_f32_u32_e32 v4, v4
	s_branch .LBB73_456
.LBB73_454:
	s_mov_b32 s2, -1
                                        ; implicit-def: $vgpr4
	s_branch .LBB73_459
.LBB73_455:
	s_mov_b32 s2, -1
                                        ; implicit-def: $vgpr4
.LBB73_456:
	s_delay_alu instid0(SALU_CYCLE_1)
	s_and_not1_b32 vcc_lo, exec_lo, s2
	s_cbranch_vccnz .LBB73_458
; %bb.457:
	global_load_u16 v4, v[2:3], off
	s_waitcnt vmcnt(0)
	v_cvt_f32_u32_e32 v4, v4
.LBB73_458:
	s_mov_b32 s2, 0
.LBB73_459:
	s_delay_alu instid0(SALU_CYCLE_1)
	s_and_not1_b32 vcc_lo, exec_lo, s2
	s_cbranch_vccnz .LBB73_467
; %bb.460:
	global_load_u8 v10, v[2:3], off
	s_mov_b32 s2, 0
	s_mov_b32 s39, exec_lo
                                        ; implicit-def: $sgpr3
	s_waitcnt vmcnt(0)
	v_cmpx_lt_i16_e32 0x7f, v10
	s_xor_b32 s39, exec_lo, s39
	s_cbranch_execz .LBB73_481
; %bb.461:
	s_mov_b32 s2, -1
	s_mov_b32 s40, exec_lo
                                        ; implicit-def: $sgpr3
	v_cmpx_eq_u16_e32 0x80, v10
; %bb.462:
	s_mov_b32 s3, 0x7f800001
	s_xor_b32 s2, exec_lo, -1
; %bb.463:
	s_or_b32 exec_lo, exec_lo, s40
	s_delay_alu instid0(SALU_CYCLE_1)
	s_and_b32 s2, s2, exec_lo
	s_or_saveexec_b32 s39, s39
	v_mov_b32_e32 v4, s3
	s_xor_b32 exec_lo, exec_lo, s39
	s_cbranch_execnz .LBB73_482
.LBB73_464:
	s_or_b32 exec_lo, exec_lo, s39
	s_and_saveexec_b32 s3, s2
	s_cbranch_execz .LBB73_466
.LBB73_465:
	v_and_b32_e32 v4, 0xffff, v10
	v_lshlrev_b32_e32 v10, 24, v10
	s_delay_alu instid0(VALU_DEP_2) | instskip(NEXT) | instid1(VALU_DEP_2)
	v_and_b32_e32 v11, 7, v4
	v_and_b32_e32 v10, 0x80000000, v10
	s_delay_alu instid0(VALU_DEP_2) | instskip(NEXT) | instid1(VALU_DEP_1)
	v_clz_i32_u32_e32 v12, v11
	v_min_u32_e32 v12, 32, v12
	s_delay_alu instid0(VALU_DEP_1) | instskip(SKIP_1) | instid1(VALU_DEP_2)
	v_subrev_nc_u32_e32 v13, 28, v12
	v_sub_nc_u32_e32 v12, 29, v12
	v_lshlrev_b32_e32 v13, v13, v4
	v_bfe_u32 v4, v4, 3, 4
	s_delay_alu instid0(VALU_DEP_1) | instskip(NEXT) | instid1(VALU_DEP_3)
	v_cmp_eq_u32_e32 vcc_lo, 0, v4
	v_dual_cndmask_b32 v4, v4, v12 :: v_dual_and_b32 v13, 7, v13
	s_delay_alu instid0(VALU_DEP_1) | instskip(NEXT) | instid1(VALU_DEP_2)
	v_cndmask_b32_e32 v11, v11, v13, vcc_lo
	v_lshl_add_u32 v4, v4, 23, 0x3b800000
	s_delay_alu instid0(VALU_DEP_2) | instskip(NEXT) | instid1(VALU_DEP_1)
	v_lshlrev_b32_e32 v11, 20, v11
	v_or3_b32 v4, v10, v4, v11
.LBB73_466:
	s_or_b32 exec_lo, exec_lo, s3
.LBB73_467:
	s_mov_b32 s2, -1
.LBB73_468:
	s_mov_b32 s3, 0
.LBB73_469:
	s_delay_alu instid0(SALU_CYCLE_1)
	s_and_b32 vcc_lo, exec_lo, s3
	s_cbranch_vccz .LBB73_504
; %bb.470:
	v_cmp_lt_i16_e32 vcc_lo, 22, v9
	s_cbranch_vccz .LBB73_480
; %bb.471:
	v_cmp_gt_i16_e32 vcc_lo, 24, v9
	s_cbranch_vccnz .LBB73_483
; %bb.472:
	v_cmp_lt_i16_e32 vcc_lo, 24, v9
	s_cbranch_vccz .LBB73_484
; %bb.473:
	global_load_u8 v10, v[2:3], off
	s_mov_b32 s2, 0
	s_mov_b32 s39, exec_lo
                                        ; implicit-def: $sgpr3
	s_waitcnt vmcnt(0)
	v_cmpx_lt_i16_e32 0x7f, v10
	s_xor_b32 s39, exec_lo, s39
	s_cbranch_execz .LBB73_496
; %bb.474:
	s_mov_b32 s2, -1
	s_mov_b32 s40, exec_lo
                                        ; implicit-def: $sgpr3
	v_cmpx_eq_u16_e32 0x80, v10
; %bb.475:
	s_mov_b32 s3, 0x7f800001
	s_xor_b32 s2, exec_lo, -1
; %bb.476:
	s_or_b32 exec_lo, exec_lo, s40
	s_delay_alu instid0(SALU_CYCLE_1)
	s_and_b32 s2, s2, exec_lo
	s_or_saveexec_b32 s39, s39
	v_mov_b32_e32 v4, s3
	s_xor_b32 exec_lo, exec_lo, s39
	s_cbranch_execnz .LBB73_497
.LBB73_477:
	s_or_b32 exec_lo, exec_lo, s39
	s_and_saveexec_b32 s3, s2
	s_cbranch_execz .LBB73_479
.LBB73_478:
	v_and_b32_e32 v4, 0xffff, v10
	v_lshlrev_b32_e32 v10, 24, v10
	s_delay_alu instid0(VALU_DEP_2) | instskip(NEXT) | instid1(VALU_DEP_2)
	v_and_b32_e32 v11, 3, v4
	v_and_b32_e32 v10, 0x80000000, v10
	s_delay_alu instid0(VALU_DEP_2) | instskip(NEXT) | instid1(VALU_DEP_1)
	v_clz_i32_u32_e32 v12, v11
	v_min_u32_e32 v12, 32, v12
	s_delay_alu instid0(VALU_DEP_1) | instskip(SKIP_1) | instid1(VALU_DEP_2)
	v_subrev_nc_u32_e32 v13, 29, v12
	v_sub_nc_u32_e32 v12, 30, v12
	v_lshlrev_b32_e32 v13, v13, v4
	v_bfe_u32 v4, v4, 2, 5
	s_delay_alu instid0(VALU_DEP_1) | instskip(NEXT) | instid1(VALU_DEP_3)
	v_cmp_eq_u32_e32 vcc_lo, 0, v4
	v_dual_cndmask_b32 v4, v4, v12 :: v_dual_and_b32 v13, 3, v13
	s_delay_alu instid0(VALU_DEP_1) | instskip(NEXT) | instid1(VALU_DEP_2)
	v_cndmask_b32_e32 v11, v11, v13, vcc_lo
	v_lshl_add_u32 v4, v4, 23, 0x37800000
	s_delay_alu instid0(VALU_DEP_2) | instskip(NEXT) | instid1(VALU_DEP_1)
	v_lshlrev_b32_e32 v11, 21, v11
	v_or3_b32 v4, v10, v4, v11
.LBB73_479:
	s_or_b32 exec_lo, exec_lo, s3
	s_mov_b32 s2, 0
	s_branch .LBB73_485
.LBB73_480:
	s_mov_b32 s3, -1
                                        ; implicit-def: $vgpr4
	s_branch .LBB73_491
.LBB73_481:
	s_or_saveexec_b32 s39, s39
	v_mov_b32_e32 v4, s3
	s_xor_b32 exec_lo, exec_lo, s39
	s_cbranch_execz .LBB73_464
.LBB73_482:
	v_cmp_ne_u16_e32 vcc_lo, 0, v10
	v_mov_b32_e32 v4, 0
	s_and_not1_b32 s2, s2, exec_lo
	s_and_b32 s3, vcc_lo, exec_lo
	s_delay_alu instid0(SALU_CYCLE_1)
	s_or_b32 s2, s2, s3
	s_or_b32 exec_lo, exec_lo, s39
	s_and_saveexec_b32 s3, s2
	s_cbranch_execnz .LBB73_465
	s_branch .LBB73_466
.LBB73_483:
	s_mov_b32 s2, -1
                                        ; implicit-def: $vgpr4
	s_branch .LBB73_488
.LBB73_484:
	s_mov_b32 s2, -1
                                        ; implicit-def: $vgpr4
.LBB73_485:
	s_delay_alu instid0(SALU_CYCLE_1)
	s_and_b32 vcc_lo, exec_lo, s2
	s_cbranch_vccz .LBB73_487
; %bb.486:
	global_load_u8 v4, v[2:3], off
	s_waitcnt vmcnt(0)
	v_lshlrev_b32_e32 v4, 24, v4
	s_delay_alu instid0(VALU_DEP_1) | instskip(NEXT) | instid1(VALU_DEP_1)
	v_and_b32_e32 v10, 0x7f000000, v4
	v_clz_i32_u32_e32 v11, v10
	v_cmp_ne_u32_e32 vcc_lo, 0, v10
	v_add_nc_u32_e32 v13, 0x1000000, v10
	s_delay_alu instid0(VALU_DEP_3) | instskip(NEXT) | instid1(VALU_DEP_1)
	v_min_u32_e32 v11, 32, v11
	v_sub_nc_u32_e64 v11, v11, 4 clamp
	s_delay_alu instid0(VALU_DEP_1) | instskip(SKIP_1) | instid1(VALU_DEP_2)
	v_lshlrev_b32_e32 v12, v11, v10
	v_lshlrev_b32_e32 v11, 23, v11
	v_lshrrev_b32_e32 v12, 4, v12
	s_delay_alu instid0(VALU_DEP_1) | instskip(SKIP_1) | instid1(VALU_DEP_2)
	v_sub_nc_u32_e32 v11, v12, v11
	v_ashrrev_i32_e32 v12, 8, v13
	v_add_nc_u32_e32 v11, 0x3c000000, v11
	s_delay_alu instid0(VALU_DEP_1) | instskip(NEXT) | instid1(VALU_DEP_1)
	v_and_or_b32 v11, 0x7f800000, v12, v11
	v_cndmask_b32_e32 v10, 0, v11, vcc_lo
	s_delay_alu instid0(VALU_DEP_1)
	v_and_or_b32 v4, 0x80000000, v4, v10
.LBB73_487:
	s_mov_b32 s2, 0
.LBB73_488:
	s_delay_alu instid0(SALU_CYCLE_1)
	s_and_not1_b32 vcc_lo, exec_lo, s2
	s_cbranch_vccnz .LBB73_490
; %bb.489:
	global_load_u8 v4, v[2:3], off
	s_waitcnt vmcnt(0)
	v_lshlrev_b32_e32 v10, 25, v4
	v_lshlrev_b16 v4, 8, v4
	s_delay_alu instid0(VALU_DEP_2) | instskip(NEXT) | instid1(VALU_DEP_2)
	v_lshrrev_b32_e32 v11, 4, v10
	v_and_or_b32 v12, 0x7f00, v4, 0.5
	v_bfe_i32 v4, v4, 0, 16
	s_delay_alu instid0(VALU_DEP_3) | instskip(NEXT) | instid1(VALU_DEP_1)
	v_or_b32_e32 v11, 0x70000000, v11
	v_dual_add_f32 v12, -0.5, v12 :: v_dual_mul_f32 v11, 0x7800000, v11
	v_cmp_gt_u32_e32 vcc_lo, 0x8000000, v10
	s_delay_alu instid0(VALU_DEP_2) | instskip(NEXT) | instid1(VALU_DEP_1)
	v_cndmask_b32_e32 v10, v11, v12, vcc_lo
	v_and_or_b32 v4, 0x80000000, v4, v10
.LBB73_490:
	s_mov_b32 s3, 0
	s_mov_b32 s2, -1
.LBB73_491:
	s_and_not1_b32 vcc_lo, exec_lo, s3
	s_cbranch_vccnz .LBB73_504
; %bb.492:
	v_cmp_lt_i16_e32 vcc_lo, 14, v9
	s_cbranch_vccz .LBB73_495
; %bb.493:
	v_cmp_eq_u16_e32 vcc_lo, 15, v9
	s_cbranch_vccz .LBB73_498
; %bb.494:
	global_load_u16 v4, v[2:3], off
	s_mov_b32 s2, -1
	s_mov_b32 s38, 0
	s_waitcnt vmcnt(0)
	v_lshlrev_b32_e32 v4, 16, v4
	s_branch .LBB73_499
.LBB73_495:
	s_mov_b32 s3, -1
                                        ; implicit-def: $vgpr4
	s_branch .LBB73_500
.LBB73_496:
	s_or_saveexec_b32 s39, s39
	v_mov_b32_e32 v4, s3
	s_xor_b32 exec_lo, exec_lo, s39
	s_cbranch_execz .LBB73_477
.LBB73_497:
	v_cmp_ne_u16_e32 vcc_lo, 0, v10
	v_mov_b32_e32 v4, 0
	s_and_not1_b32 s2, s2, exec_lo
	s_and_b32 s3, vcc_lo, exec_lo
	s_delay_alu instid0(SALU_CYCLE_1)
	s_or_b32 s2, s2, s3
	s_or_b32 exec_lo, exec_lo, s39
	s_and_saveexec_b32 s3, s2
	s_cbranch_execnz .LBB73_478
	s_branch .LBB73_479
.LBB73_498:
	s_mov_b32 s38, -1
                                        ; implicit-def: $vgpr4
.LBB73_499:
	s_mov_b32 s3, 0
.LBB73_500:
	s_delay_alu instid0(SALU_CYCLE_1)
	s_and_b32 vcc_lo, exec_lo, s3
	s_cbranch_vccz .LBB73_504
; %bb.501:
	v_cmp_eq_u16_e32 vcc_lo, 11, v9
	s_cbranch_vccz .LBB73_503
; %bb.502:
	global_load_u8 v4, v[2:3], off
	s_mov_b32 s38, 0
	s_mov_b32 s2, -1
	s_waitcnt vmcnt(0)
	v_cmp_ne_u16_e32 vcc_lo, 0, v4
	v_cndmask_b32_e64 v4, 0, 1.0, vcc_lo
	s_branch .LBB73_504
.LBB73_503:
	s_mov_b32 s38, -1
                                        ; implicit-def: $vgpr4
.LBB73_504:
	s_branch .LBB73_421
.LBB73_505:
	v_cmp_gt_i16_e32 vcc_lo, 5, v9
	s_cbranch_vccnz .LBB73_510
; %bb.506:
	v_cmp_gt_i16_e32 vcc_lo, 8, v9
	s_cbranch_vccnz .LBB73_511
; %bb.507:
	;; [unrolled: 3-line block ×3, first 2 shown]
	v_cmp_lt_i16_e32 vcc_lo, 9, v9
	s_cbranch_vccz .LBB73_513
; %bb.509:
	global_load_b64 v[10:11], v[2:3], off
	s_mov_b32 s2, 0
	s_waitcnt vmcnt(0)
	v_cvt_f32_f64_e32 v4, v[10:11]
	s_branch .LBB73_514
.LBB73_510:
	s_mov_b32 s2, -1
                                        ; implicit-def: $vgpr4
	s_branch .LBB73_532
.LBB73_511:
	s_mov_b32 s2, -1
                                        ; implicit-def: $vgpr4
	s_branch .LBB73_520
.LBB73_512:
	s_mov_b32 s2, -1
                                        ; implicit-def: $vgpr4
	s_branch .LBB73_517
.LBB73_513:
	s_mov_b32 s2, -1
                                        ; implicit-def: $vgpr4
.LBB73_514:
	s_delay_alu instid0(SALU_CYCLE_1)
	s_and_not1_b32 vcc_lo, exec_lo, s2
	s_cbranch_vccnz .LBB73_516
; %bb.515:
	global_load_b32 v4, v[2:3], off
.LBB73_516:
	s_mov_b32 s2, 0
.LBB73_517:
	s_delay_alu instid0(SALU_CYCLE_1)
	s_and_not1_b32 vcc_lo, exec_lo, s2
	s_cbranch_vccnz .LBB73_519
; %bb.518:
	global_load_b32 v4, v[2:3], off
	s_waitcnt vmcnt(0)
	v_cvt_f32_f16_e32 v4, v4
.LBB73_519:
	s_mov_b32 s2, 0
.LBB73_520:
	s_delay_alu instid0(SALU_CYCLE_1)
	s_and_not1_b32 vcc_lo, exec_lo, s2
	s_cbranch_vccnz .LBB73_531
; %bb.521:
	v_cmp_gt_i16_e32 vcc_lo, 6, v9
	s_cbranch_vccnz .LBB73_524
; %bb.522:
	v_cmp_lt_i16_e32 vcc_lo, 6, v9
	s_cbranch_vccz .LBB73_525
; %bb.523:
	global_load_b64 v[10:11], v[2:3], off
	s_mov_b32 s2, 0
	s_waitcnt vmcnt(0)
	v_cvt_f32_f64_e32 v4, v[10:11]
	s_branch .LBB73_526
.LBB73_524:
	s_mov_b32 s2, -1
                                        ; implicit-def: $vgpr4
	s_branch .LBB73_529
.LBB73_525:
	s_mov_b32 s2, -1
                                        ; implicit-def: $vgpr4
.LBB73_526:
	s_delay_alu instid0(SALU_CYCLE_1)
	s_and_not1_b32 vcc_lo, exec_lo, s2
	s_cbranch_vccnz .LBB73_528
; %bb.527:
	global_load_b32 v4, v[2:3], off
.LBB73_528:
	s_mov_b32 s2, 0
.LBB73_529:
	s_delay_alu instid0(SALU_CYCLE_1)
	s_and_not1_b32 vcc_lo, exec_lo, s2
	s_cbranch_vccnz .LBB73_531
; %bb.530:
	global_load_u16 v4, v[2:3], off
	s_waitcnt vmcnt(0)
	v_cvt_f32_f16_e32 v4, v4
.LBB73_531:
	s_mov_b32 s2, 0
.LBB73_532:
	s_delay_alu instid0(SALU_CYCLE_1)
	s_and_not1_b32 vcc_lo, exec_lo, s2
	s_cbranch_vccnz .LBB73_552
; %bb.533:
	v_cmp_gt_i16_e32 vcc_lo, 2, v9
	s_cbranch_vccnz .LBB73_537
; %bb.534:
	v_cmp_gt_i16_e32 vcc_lo, 3, v9
	s_cbranch_vccnz .LBB73_538
; %bb.535:
	v_cmp_lt_i16_e32 vcc_lo, 3, v9
	s_cbranch_vccz .LBB73_539
; %bb.536:
	global_load_b64 v[10:11], v[2:3], off
	s_mov_b32 s2, 0
	s_waitcnt vmcnt(0)
	v_xor_b32_e32 v4, v10, v11
	v_cls_i32_e32 v12, v11
	s_delay_alu instid0(VALU_DEP_2) | instskip(NEXT) | instid1(VALU_DEP_2)
	v_ashrrev_i32_e32 v4, 31, v4
	v_add_nc_u32_e32 v12, -1, v12
	s_delay_alu instid0(VALU_DEP_2) | instskip(NEXT) | instid1(VALU_DEP_1)
	v_add_nc_u32_e32 v4, 32, v4
	v_min_u32_e32 v4, v12, v4
	s_delay_alu instid0(VALU_DEP_1) | instskip(SKIP_1) | instid1(VALU_DEP_2)
	v_lshlrev_b64 v[10:11], v4, v[10:11]
	v_sub_nc_u32_e32 v4, 32, v4
	v_min_u32_e32 v10, 1, v10
	s_delay_alu instid0(VALU_DEP_1) | instskip(NEXT) | instid1(VALU_DEP_1)
	v_or_b32_e32 v10, v11, v10
	v_cvt_f32_i32_e32 v10, v10
	s_delay_alu instid0(VALU_DEP_1)
	v_ldexp_f32 v4, v10, v4
	s_branch .LBB73_540
.LBB73_537:
	s_mov_b32 s2, -1
                                        ; implicit-def: $vgpr4
	s_branch .LBB73_546
.LBB73_538:
	s_mov_b32 s2, -1
                                        ; implicit-def: $vgpr4
	s_branch .LBB73_543
.LBB73_539:
	s_mov_b32 s2, -1
                                        ; implicit-def: $vgpr4
.LBB73_540:
	s_delay_alu instid0(SALU_CYCLE_1)
	s_and_not1_b32 vcc_lo, exec_lo, s2
	s_cbranch_vccnz .LBB73_542
; %bb.541:
	global_load_b32 v4, v[2:3], off
	s_waitcnt vmcnt(0)
	v_cvt_f32_i32_e32 v4, v4
.LBB73_542:
	s_mov_b32 s2, 0
.LBB73_543:
	s_delay_alu instid0(SALU_CYCLE_1)
	s_and_not1_b32 vcc_lo, exec_lo, s2
	s_cbranch_vccnz .LBB73_545
; %bb.544:
	global_load_i16 v4, v[2:3], off
	s_waitcnt vmcnt(0)
	v_cvt_f32_i32_e32 v4, v4
.LBB73_545:
	s_mov_b32 s2, 0
.LBB73_546:
	s_delay_alu instid0(SALU_CYCLE_1)
	s_and_not1_b32 vcc_lo, exec_lo, s2
	s_cbranch_vccnz .LBB73_552
; %bb.547:
	v_cmp_lt_i16_e32 vcc_lo, 0, v9
	s_mov_b32 s2, 0
	s_cbranch_vccz .LBB73_549
; %bb.548:
	global_load_i8 v4, v[2:3], off
	s_waitcnt vmcnt(0)
	v_cvt_f32_i32_e32 v4, v4
	s_branch .LBB73_550
.LBB73_549:
	s_mov_b32 s2, -1
                                        ; implicit-def: $vgpr4
.LBB73_550:
	s_delay_alu instid0(SALU_CYCLE_1)
	s_and_not1_b32 vcc_lo, exec_lo, s2
	s_cbranch_vccnz .LBB73_552
; %bb.551:
	global_load_u8 v2, v[2:3], off
	s_waitcnt vmcnt(0)
	v_cvt_f32_ubyte0_e32 v4, v2
.LBB73_552:
	s_branch .LBB73_422
.LBB73_553:
	s_mov_b32 s3, 0
	s_mov_b32 s2, s34
	;; [unrolled: 1-line block ×3, first 2 shown]
	s_branch .LBB73_733
.LBB73_554:
	s_or_saveexec_b32 s39, s39
                                        ; implicit-def: $sgpr40
	s_delay_alu instid0(SALU_CYCLE_1)
	s_xor_b32 exec_lo, exec_lo, s39
	s_cbranch_execz .LBB73_84
.LBB73_555:
	v_add_f32_e64 v0, 0x42800000, |v1|
	s_and_not1_b32 s34, s34, exec_lo
	s_mov_b32 s40, 0
	s_delay_alu instid0(VALU_DEP_1) | instskip(NEXT) | instid1(VALU_DEP_1)
	v_and_b32_e32 v0, 0xff, v0
	v_cmp_ne_u32_e32 vcc_lo, 0, v0
	s_and_b32 s41, vcc_lo, exec_lo
	s_delay_alu instid0(SALU_CYCLE_1)
	s_or_b32 s34, s34, s41
	s_or_b32 exec_lo, exec_lo, s39
	v_mov_b32_e32 v2, s40
	s_and_saveexec_b32 s39, s34
	s_cbranch_execnz .LBB73_85
	s_branch .LBB73_86
.LBB73_556:
	s_mov_b32 s40, -1
.LBB73_557:
                                        ; implicit-def: $vgpr9
.LBB73_558:
	s_and_b32 vcc_lo, exec_lo, s3
	s_cbranch_vccz .LBB73_562
; %bb.559:
	v_cmp_eq_u16_e32 vcc_lo, 44, v3
	s_cbranch_vccz .LBB73_561
; %bb.560:
	global_load_u8 v9, v[1:2], off
	s_mov_b32 s40, 0
	s_mov_b32 s2, -1
	s_waitcnt vmcnt(0)
	v_lshlrev_b32_e32 v10, 23, v9
	v_cmp_ne_u32_e32 vcc_lo, 0xff, v9
	s_delay_alu instid0(VALU_DEP_2) | instskip(SKIP_1) | instid1(VALU_DEP_2)
	v_cndmask_b32_e32 v10, 0x7f800001, v10, vcc_lo
	v_cmp_ne_u32_e32 vcc_lo, 0, v9
	v_cndmask_b32_e32 v9, 0x400000, v10, vcc_lo
	s_branch .LBB73_562
.LBB73_561:
	s_mov_b32 s40, -1
                                        ; implicit-def: $vgpr9
.LBB73_562:
	s_mov_b32 s3, 0
.LBB73_563:
	s_delay_alu instid0(SALU_CYCLE_1)
	s_and_b32 vcc_lo, exec_lo, s3
	s_cbranch_vccz .LBB73_567
; %bb.564:
	v_cmp_eq_u16_e32 vcc_lo, 29, v3
	s_cbranch_vccz .LBB73_566
; %bb.565:
	global_load_b64 v[9:10], v[1:2], off
	s_mov_b32 s2, -1
	s_mov_b32 s40, 0
	s_mov_b32 s3, 0
	s_waitcnt vmcnt(0)
	v_clz_i32_u32_e32 v11, v10
	s_delay_alu instid0(VALU_DEP_1) | instskip(NEXT) | instid1(VALU_DEP_1)
	v_min_u32_e32 v11, 32, v11
	v_lshlrev_b64 v[9:10], v11, v[9:10]
	s_delay_alu instid0(VALU_DEP_1) | instskip(NEXT) | instid1(VALU_DEP_1)
	v_min_u32_e32 v9, 1, v9
	v_or_b32_e32 v9, v10, v9
	v_sub_nc_u32_e32 v10, 32, v11
	s_delay_alu instid0(VALU_DEP_2) | instskip(NEXT) | instid1(VALU_DEP_1)
	v_cvt_f32_u32_e32 v9, v9
	v_ldexp_f32 v9, v9, v10
	s_branch .LBB73_568
.LBB73_566:
	s_mov_b32 s40, -1
                                        ; implicit-def: $vgpr9
.LBB73_567:
	s_mov_b32 s3, 0
.LBB73_568:
	s_delay_alu instid0(SALU_CYCLE_1)
	s_and_b32 vcc_lo, exec_lo, s3
	s_cbranch_vccz .LBB73_586
; %bb.569:
	v_cmp_gt_i16_e32 vcc_lo, 27, v3
	s_cbranch_vccnz .LBB73_572
; %bb.570:
	v_cmp_lt_i16_e32 vcc_lo, 27, v3
	s_cbranch_vccz .LBB73_573
; %bb.571:
	global_load_b32 v9, v[1:2], off
	s_mov_b32 s2, 0
	s_waitcnt vmcnt(0)
	v_cvt_f32_u32_e32 v9, v9
	s_branch .LBB73_574
.LBB73_572:
	s_mov_b32 s2, -1
                                        ; implicit-def: $vgpr9
	s_branch .LBB73_577
.LBB73_573:
	s_mov_b32 s2, -1
                                        ; implicit-def: $vgpr9
.LBB73_574:
	s_delay_alu instid0(SALU_CYCLE_1)
	s_and_not1_b32 vcc_lo, exec_lo, s2
	s_cbranch_vccnz .LBB73_576
; %bb.575:
	global_load_u16 v9, v[1:2], off
	s_waitcnt vmcnt(0)
	v_cvt_f32_u32_e32 v9, v9
.LBB73_576:
	s_mov_b32 s2, 0
.LBB73_577:
	s_delay_alu instid0(SALU_CYCLE_1)
	s_and_not1_b32 vcc_lo, exec_lo, s2
	s_cbranch_vccnz .LBB73_585
; %bb.578:
	global_load_u8 v10, v[1:2], off
	s_mov_b32 s2, 0
	s_mov_b32 s39, exec_lo
                                        ; implicit-def: $sgpr3
	s_waitcnt vmcnt(0)
	v_cmpx_lt_i16_e32 0x7f, v10
	s_xor_b32 s39, exec_lo, s39
	s_cbranch_execz .LBB73_599
; %bb.579:
	s_mov_b32 s2, -1
	s_mov_b32 s42, exec_lo
                                        ; implicit-def: $sgpr3
	v_cmpx_eq_u16_e32 0x80, v10
; %bb.580:
	s_mov_b32 s3, 0x7f800001
	s_xor_b32 s2, exec_lo, -1
; %bb.581:
	s_or_b32 exec_lo, exec_lo, s42
	s_delay_alu instid0(SALU_CYCLE_1)
	s_and_b32 s2, s2, exec_lo
	s_or_saveexec_b32 s39, s39
	v_mov_b32_e32 v9, s3
	s_xor_b32 exec_lo, exec_lo, s39
	s_cbranch_execnz .LBB73_600
.LBB73_582:
	s_or_b32 exec_lo, exec_lo, s39
	s_and_saveexec_b32 s3, s2
	s_cbranch_execz .LBB73_584
.LBB73_583:
	v_and_b32_e32 v9, 0xffff, v10
	s_delay_alu instid0(VALU_DEP_1) | instskip(NEXT) | instid1(VALU_DEP_1)
	v_and_b32_e32 v11, 7, v9
	v_clz_i32_u32_e32 v12, v11
	s_delay_alu instid0(VALU_DEP_1) | instskip(NEXT) | instid1(VALU_DEP_1)
	v_min_u32_e32 v12, 32, v12
	v_subrev_nc_u32_e32 v13, 28, v12
	v_sub_nc_u32_e32 v12, 29, v12
	s_delay_alu instid0(VALU_DEP_2) | instskip(SKIP_1) | instid1(VALU_DEP_2)
	v_lshlrev_b32_e32 v13, v13, v9
	v_bfe_u32 v9, v9, 3, 4
	v_and_b32_e32 v13, 7, v13
	s_delay_alu instid0(VALU_DEP_2) | instskip(SKIP_1) | instid1(VALU_DEP_1)
	v_cmp_eq_u32_e32 vcc_lo, 0, v9
	v_dual_cndmask_b32 v9, v9, v12 :: v_dual_lshlrev_b32 v10, 24, v10
	v_dual_cndmask_b32 v11, v11, v13 :: v_dual_and_b32 v10, 0x80000000, v10
	s_delay_alu instid0(VALU_DEP_2) | instskip(NEXT) | instid1(VALU_DEP_2)
	v_lshl_add_u32 v9, v9, 23, 0x3b800000
	v_lshlrev_b32_e32 v11, 20, v11
	s_delay_alu instid0(VALU_DEP_1)
	v_or3_b32 v9, v10, v9, v11
.LBB73_584:
	s_or_b32 exec_lo, exec_lo, s3
.LBB73_585:
	s_mov_b32 s2, -1
.LBB73_586:
	s_mov_b32 s3, 0
.LBB73_587:
	s_delay_alu instid0(SALU_CYCLE_1)
	s_and_b32 vcc_lo, exec_lo, s3
	s_cbranch_vccz .LBB73_622
; %bb.588:
	v_cmp_lt_i16_e32 vcc_lo, 22, v3
	s_cbranch_vccz .LBB73_598
; %bb.589:
	v_cmp_gt_i16_e32 vcc_lo, 24, v3
	s_cbranch_vccnz .LBB73_601
; %bb.590:
	v_cmp_lt_i16_e32 vcc_lo, 24, v3
	s_cbranch_vccz .LBB73_602
; %bb.591:
	global_load_u8 v10, v[1:2], off
	s_mov_b32 s2, 0
	s_mov_b32 s39, exec_lo
                                        ; implicit-def: $sgpr3
	s_waitcnt vmcnt(0)
	v_cmpx_lt_i16_e32 0x7f, v10
	s_xor_b32 s39, exec_lo, s39
	s_cbranch_execz .LBB73_614
; %bb.592:
	s_mov_b32 s2, -1
	s_mov_b32 s42, exec_lo
                                        ; implicit-def: $sgpr3
	v_cmpx_eq_u16_e32 0x80, v10
; %bb.593:
	s_mov_b32 s3, 0x7f800001
	s_xor_b32 s2, exec_lo, -1
; %bb.594:
	s_or_b32 exec_lo, exec_lo, s42
	s_delay_alu instid0(SALU_CYCLE_1)
	s_and_b32 s2, s2, exec_lo
	s_or_saveexec_b32 s39, s39
	v_mov_b32_e32 v9, s3
	s_xor_b32 exec_lo, exec_lo, s39
	s_cbranch_execnz .LBB73_615
.LBB73_595:
	s_or_b32 exec_lo, exec_lo, s39
	s_and_saveexec_b32 s3, s2
	s_cbranch_execz .LBB73_597
.LBB73_596:
	v_and_b32_e32 v9, 0xffff, v10
	s_delay_alu instid0(VALU_DEP_1) | instskip(NEXT) | instid1(VALU_DEP_1)
	v_and_b32_e32 v11, 3, v9
	v_clz_i32_u32_e32 v12, v11
	s_delay_alu instid0(VALU_DEP_1) | instskip(NEXT) | instid1(VALU_DEP_1)
	v_min_u32_e32 v12, 32, v12
	v_subrev_nc_u32_e32 v13, 29, v12
	v_sub_nc_u32_e32 v12, 30, v12
	s_delay_alu instid0(VALU_DEP_2) | instskip(SKIP_1) | instid1(VALU_DEP_2)
	v_lshlrev_b32_e32 v13, v13, v9
	v_bfe_u32 v9, v9, 2, 5
	v_and_b32_e32 v13, 3, v13
	s_delay_alu instid0(VALU_DEP_2) | instskip(SKIP_1) | instid1(VALU_DEP_1)
	v_cmp_eq_u32_e32 vcc_lo, 0, v9
	v_dual_cndmask_b32 v9, v9, v12 :: v_dual_lshlrev_b32 v10, 24, v10
	v_dual_cndmask_b32 v11, v11, v13 :: v_dual_and_b32 v10, 0x80000000, v10
	s_delay_alu instid0(VALU_DEP_2) | instskip(NEXT) | instid1(VALU_DEP_2)
	v_lshl_add_u32 v9, v9, 23, 0x37800000
	v_lshlrev_b32_e32 v11, 21, v11
	s_delay_alu instid0(VALU_DEP_1)
	v_or3_b32 v9, v10, v9, v11
.LBB73_597:
	s_or_b32 exec_lo, exec_lo, s3
	s_mov_b32 s2, 0
	s_branch .LBB73_603
.LBB73_598:
	s_mov_b32 s3, -1
                                        ; implicit-def: $vgpr9
	s_branch .LBB73_609
.LBB73_599:
	s_or_saveexec_b32 s39, s39
	v_mov_b32_e32 v9, s3
	s_xor_b32 exec_lo, exec_lo, s39
	s_cbranch_execz .LBB73_582
.LBB73_600:
	v_cmp_ne_u16_e32 vcc_lo, 0, v10
	v_mov_b32_e32 v9, 0
	s_and_not1_b32 s2, s2, exec_lo
	s_and_b32 s3, vcc_lo, exec_lo
	s_delay_alu instid0(SALU_CYCLE_1)
	s_or_b32 s2, s2, s3
	s_or_b32 exec_lo, exec_lo, s39
	s_and_saveexec_b32 s3, s2
	s_cbranch_execnz .LBB73_583
	s_branch .LBB73_584
.LBB73_601:
	s_mov_b32 s2, -1
                                        ; implicit-def: $vgpr9
	s_branch .LBB73_606
.LBB73_602:
	s_mov_b32 s2, -1
                                        ; implicit-def: $vgpr9
.LBB73_603:
	s_delay_alu instid0(SALU_CYCLE_1)
	s_and_b32 vcc_lo, exec_lo, s2
	s_cbranch_vccz .LBB73_605
; %bb.604:
	global_load_u8 v9, v[1:2], off
	s_waitcnt vmcnt(0)
	v_lshlrev_b32_e32 v9, 24, v9
	s_delay_alu instid0(VALU_DEP_1) | instskip(NEXT) | instid1(VALU_DEP_1)
	v_and_b32_e32 v10, 0x7f000000, v9
	v_clz_i32_u32_e32 v11, v10
	v_add_nc_u32_e32 v13, 0x1000000, v10
	v_cmp_ne_u32_e32 vcc_lo, 0, v10
	s_delay_alu instid0(VALU_DEP_3) | instskip(NEXT) | instid1(VALU_DEP_1)
	v_min_u32_e32 v11, 32, v11
	v_sub_nc_u32_e64 v11, v11, 4 clamp
	s_delay_alu instid0(VALU_DEP_1) | instskip(SKIP_1) | instid1(VALU_DEP_2)
	v_lshlrev_b32_e32 v12, v11, v10
	v_lshlrev_b32_e32 v11, 23, v11
	v_lshrrev_b32_e32 v12, 4, v12
	s_delay_alu instid0(VALU_DEP_1) | instskip(SKIP_1) | instid1(VALU_DEP_2)
	v_sub_nc_u32_e32 v11, v12, v11
	v_ashrrev_i32_e32 v12, 8, v13
	v_add_nc_u32_e32 v11, 0x3c000000, v11
	s_delay_alu instid0(VALU_DEP_1) | instskip(NEXT) | instid1(VALU_DEP_1)
	v_and_or_b32 v11, 0x7f800000, v12, v11
	v_cndmask_b32_e32 v10, 0, v11, vcc_lo
	s_delay_alu instid0(VALU_DEP_1)
	v_and_or_b32 v9, 0x80000000, v9, v10
.LBB73_605:
	s_mov_b32 s2, 0
.LBB73_606:
	s_delay_alu instid0(SALU_CYCLE_1)
	s_and_not1_b32 vcc_lo, exec_lo, s2
	s_cbranch_vccnz .LBB73_608
; %bb.607:
	global_load_u8 v9, v[1:2], off
	s_waitcnt vmcnt(0)
	v_lshlrev_b32_e32 v10, 25, v9
	v_lshlrev_b16 v9, 8, v9
	s_delay_alu instid0(VALU_DEP_2) | instskip(NEXT) | instid1(VALU_DEP_2)
	v_lshrrev_b32_e32 v11, 4, v10
	v_and_or_b32 v12, 0x7f00, v9, 0.5
	v_bfe_i32 v9, v9, 0, 16
	s_delay_alu instid0(VALU_DEP_3) | instskip(NEXT) | instid1(VALU_DEP_1)
	v_or_b32_e32 v11, 0x70000000, v11
	v_dual_add_f32 v12, -0.5, v12 :: v_dual_mul_f32 v11, 0x7800000, v11
	v_cmp_gt_u32_e32 vcc_lo, 0x8000000, v10
	s_delay_alu instid0(VALU_DEP_2) | instskip(NEXT) | instid1(VALU_DEP_1)
	v_cndmask_b32_e32 v10, v11, v12, vcc_lo
	v_and_or_b32 v9, 0x80000000, v9, v10
.LBB73_608:
	s_mov_b32 s3, 0
	s_mov_b32 s2, -1
.LBB73_609:
	s_and_not1_b32 vcc_lo, exec_lo, s3
	s_cbranch_vccnz .LBB73_622
; %bb.610:
	v_cmp_lt_i16_e32 vcc_lo, 14, v3
	s_cbranch_vccz .LBB73_613
; %bb.611:
	v_cmp_eq_u16_e32 vcc_lo, 15, v3
	s_cbranch_vccz .LBB73_616
; %bb.612:
	global_load_u16 v9, v[1:2], off
	s_mov_b32 s2, -1
	s_mov_b32 s40, 0
	s_waitcnt vmcnt(0)
	v_lshlrev_b32_e32 v9, 16, v9
	s_branch .LBB73_617
.LBB73_613:
	s_mov_b32 s3, -1
                                        ; implicit-def: $vgpr9
	s_branch .LBB73_618
.LBB73_614:
	s_or_saveexec_b32 s39, s39
	v_mov_b32_e32 v9, s3
	s_xor_b32 exec_lo, exec_lo, s39
	s_cbranch_execz .LBB73_595
.LBB73_615:
	v_cmp_ne_u16_e32 vcc_lo, 0, v10
	v_mov_b32_e32 v9, 0
	s_and_not1_b32 s2, s2, exec_lo
	s_and_b32 s3, vcc_lo, exec_lo
	s_delay_alu instid0(SALU_CYCLE_1)
	s_or_b32 s2, s2, s3
	s_or_b32 exec_lo, exec_lo, s39
	s_and_saveexec_b32 s3, s2
	s_cbranch_execnz .LBB73_596
	s_branch .LBB73_597
.LBB73_616:
	s_mov_b32 s40, -1
                                        ; implicit-def: $vgpr9
.LBB73_617:
	s_mov_b32 s3, 0
.LBB73_618:
	s_delay_alu instid0(SALU_CYCLE_1)
	s_and_b32 vcc_lo, exec_lo, s3
	s_cbranch_vccz .LBB73_622
; %bb.619:
	v_cmp_eq_u16_e32 vcc_lo, 11, v3
	s_cbranch_vccz .LBB73_621
; %bb.620:
	global_load_u8 v9, v[1:2], off
	s_mov_b32 s40, 0
	s_mov_b32 s2, -1
	s_waitcnt vmcnt(0)
	v_cmp_ne_u16_e32 vcc_lo, 0, v9
	v_cndmask_b32_e64 v9, 0, 1.0, vcc_lo
	s_branch .LBB73_622
.LBB73_621:
	s_mov_b32 s40, -1
                                        ; implicit-def: $vgpr9
.LBB73_622:
	s_mov_b32 s3, 0
.LBB73_623:
	s_delay_alu instid0(SALU_CYCLE_1)
	s_and_b32 vcc_lo, exec_lo, s3
	s_cbranch_vccz .LBB73_672
; %bb.624:
	v_cmp_gt_i16_e32 vcc_lo, 5, v3
	s_cbranch_vccnz .LBB73_629
; %bb.625:
	v_cmp_gt_i16_e32 vcc_lo, 8, v3
	s_cbranch_vccnz .LBB73_630
	;; [unrolled: 3-line block ×3, first 2 shown]
; %bb.627:
	v_cmp_lt_i16_e32 vcc_lo, 9, v3
	s_cbranch_vccz .LBB73_632
; %bb.628:
	global_load_b64 v[9:10], v[1:2], off
	s_mov_b32 s2, 0
	s_waitcnt vmcnt(0)
	v_cvt_f32_f64_e32 v9, v[9:10]
	s_branch .LBB73_633
.LBB73_629:
	s_mov_b32 s2, -1
                                        ; implicit-def: $vgpr9
	s_branch .LBB73_651
.LBB73_630:
	s_mov_b32 s2, -1
                                        ; implicit-def: $vgpr9
	s_branch .LBB73_639
.LBB73_631:
	s_mov_b32 s2, -1
                                        ; implicit-def: $vgpr9
	s_branch .LBB73_636
.LBB73_632:
	s_mov_b32 s2, -1
                                        ; implicit-def: $vgpr9
.LBB73_633:
	s_delay_alu instid0(SALU_CYCLE_1)
	s_and_not1_b32 vcc_lo, exec_lo, s2
	s_cbranch_vccnz .LBB73_635
; %bb.634:
	global_load_b32 v9, v[1:2], off
.LBB73_635:
	s_mov_b32 s2, 0
.LBB73_636:
	s_delay_alu instid0(SALU_CYCLE_1)
	s_and_not1_b32 vcc_lo, exec_lo, s2
	s_cbranch_vccnz .LBB73_638
; %bb.637:
	global_load_b32 v9, v[1:2], off
	s_waitcnt vmcnt(0)
	v_cvt_f32_f16_e32 v9, v9
.LBB73_638:
	s_mov_b32 s2, 0
.LBB73_639:
	s_delay_alu instid0(SALU_CYCLE_1)
	s_and_not1_b32 vcc_lo, exec_lo, s2
	s_cbranch_vccnz .LBB73_650
; %bb.640:
	v_cmp_gt_i16_e32 vcc_lo, 6, v3
	s_cbranch_vccnz .LBB73_643
; %bb.641:
	v_cmp_lt_i16_e32 vcc_lo, 6, v3
	s_cbranch_vccz .LBB73_644
; %bb.642:
	global_load_b64 v[9:10], v[1:2], off
	s_mov_b32 s2, 0
	s_waitcnt vmcnt(0)
	v_cvt_f32_f64_e32 v9, v[9:10]
	s_branch .LBB73_645
.LBB73_643:
	s_mov_b32 s2, -1
                                        ; implicit-def: $vgpr9
	s_branch .LBB73_648
.LBB73_644:
	s_mov_b32 s2, -1
                                        ; implicit-def: $vgpr9
.LBB73_645:
	s_delay_alu instid0(SALU_CYCLE_1)
	s_and_not1_b32 vcc_lo, exec_lo, s2
	s_cbranch_vccnz .LBB73_647
; %bb.646:
	global_load_b32 v9, v[1:2], off
.LBB73_647:
	s_mov_b32 s2, 0
.LBB73_648:
	s_delay_alu instid0(SALU_CYCLE_1)
	s_and_not1_b32 vcc_lo, exec_lo, s2
	s_cbranch_vccnz .LBB73_650
; %bb.649:
	global_load_u16 v9, v[1:2], off
	s_waitcnt vmcnt(0)
	v_cvt_f32_f16_e32 v9, v9
.LBB73_650:
	s_mov_b32 s2, 0
.LBB73_651:
	s_delay_alu instid0(SALU_CYCLE_1)
	s_and_not1_b32 vcc_lo, exec_lo, s2
	s_cbranch_vccnz .LBB73_671
; %bb.652:
	v_cmp_gt_i16_e32 vcc_lo, 2, v3
	s_cbranch_vccnz .LBB73_656
; %bb.653:
	v_cmp_gt_i16_e32 vcc_lo, 3, v3
	s_cbranch_vccnz .LBB73_657
; %bb.654:
	v_cmp_lt_i16_e32 vcc_lo, 3, v3
	s_cbranch_vccz .LBB73_658
; %bb.655:
	global_load_b64 v[9:10], v[1:2], off
	s_mov_b32 s2, 0
	s_waitcnt vmcnt(0)
	v_xor_b32_e32 v11, v9, v10
	v_cls_i32_e32 v12, v10
	s_delay_alu instid0(VALU_DEP_2) | instskip(NEXT) | instid1(VALU_DEP_2)
	v_ashrrev_i32_e32 v11, 31, v11
	v_add_nc_u32_e32 v12, -1, v12
	s_delay_alu instid0(VALU_DEP_2) | instskip(NEXT) | instid1(VALU_DEP_1)
	v_add_nc_u32_e32 v11, 32, v11
	v_min_u32_e32 v11, v12, v11
	s_delay_alu instid0(VALU_DEP_1) | instskip(NEXT) | instid1(VALU_DEP_1)
	v_lshlrev_b64 v[9:10], v11, v[9:10]
	v_min_u32_e32 v9, 1, v9
	s_delay_alu instid0(VALU_DEP_1) | instskip(SKIP_1) | instid1(VALU_DEP_2)
	v_or_b32_e32 v9, v10, v9
	v_sub_nc_u32_e32 v10, 32, v11
	v_cvt_f32_i32_e32 v9, v9
	s_delay_alu instid0(VALU_DEP_1)
	v_ldexp_f32 v9, v9, v10
	s_branch .LBB73_659
.LBB73_656:
	s_mov_b32 s2, -1
                                        ; implicit-def: $vgpr9
	s_branch .LBB73_665
.LBB73_657:
	s_mov_b32 s2, -1
                                        ; implicit-def: $vgpr9
	s_branch .LBB73_662
.LBB73_658:
	s_mov_b32 s2, -1
                                        ; implicit-def: $vgpr9
.LBB73_659:
	s_delay_alu instid0(SALU_CYCLE_1)
	s_and_not1_b32 vcc_lo, exec_lo, s2
	s_cbranch_vccnz .LBB73_661
; %bb.660:
	global_load_b32 v9, v[1:2], off
	s_waitcnt vmcnt(0)
	v_cvt_f32_i32_e32 v9, v9
.LBB73_661:
	s_mov_b32 s2, 0
.LBB73_662:
	s_delay_alu instid0(SALU_CYCLE_1)
	s_and_not1_b32 vcc_lo, exec_lo, s2
	s_cbranch_vccnz .LBB73_664
; %bb.663:
	global_load_i16 v9, v[1:2], off
	s_waitcnt vmcnt(0)
	v_cvt_f32_i32_e32 v9, v9
.LBB73_664:
	s_mov_b32 s2, 0
.LBB73_665:
	s_delay_alu instid0(SALU_CYCLE_1)
	s_and_not1_b32 vcc_lo, exec_lo, s2
	s_cbranch_vccnz .LBB73_671
; %bb.666:
	v_cmp_lt_i16_e32 vcc_lo, 0, v3
	s_mov_b32 s2, 0
	s_cbranch_vccz .LBB73_668
; %bb.667:
	global_load_i8 v3, v[1:2], off
	s_waitcnt vmcnt(0)
	v_cvt_f32_i32_e32 v9, v3
	s_branch .LBB73_669
.LBB73_668:
	s_mov_b32 s2, -1
                                        ; implicit-def: $vgpr9
.LBB73_669:
	s_delay_alu instid0(SALU_CYCLE_1)
	s_and_not1_b32 vcc_lo, exec_lo, s2
	s_cbranch_vccnz .LBB73_671
; %bb.670:
	global_load_u8 v1, v[1:2], off
	s_waitcnt vmcnt(0)
	v_cvt_f32_ubyte0_e32 v9, v1
.LBB73_671:
	s_mov_b32 s2, -1
.LBB73_672:
	s_delay_alu instid0(SALU_CYCLE_1)
	s_and_not1_b32 vcc_lo, exec_lo, s2
	s_cbranch_vccnz .LBB73_692
; %bb.673:
	s_waitcnt vmcnt(0)
	s_delay_alu instid0(VALU_DEP_1) | instskip(SKIP_1) | instid1(VALU_DEP_1)
	v_trunc_f32_e32 v1, v9
	s_mov_b32 s39, exec_lo
	v_mul_f32_e64 v2, 0x2f800000, |v1|
	s_delay_alu instid0(VALU_DEP_1) | instskip(NEXT) | instid1(VALU_DEP_1)
	v_floor_f32_e32 v2, v2
	v_fma_f32 v3, 0xcf800000, v2, |v1|
	v_ashrrev_i32_e32 v1, 31, v1
	v_cvt_u32_f32_e32 v2, v2
	s_delay_alu instid0(VALU_DEP_3) | instskip(NEXT) | instid1(VALU_DEP_2)
	v_cvt_u32_f32_e32 v3, v3
	v_xor_b32_e32 v2, v2, v1
	s_delay_alu instid0(VALU_DEP_2) | instskip(NEXT) | instid1(VALU_DEP_1)
	v_xor_b32_e32 v3, v3, v1
	v_sub_co_u32 v10, vcc_lo, v3, v1
	s_delay_alu instid0(VALU_DEP_3) | instskip(SKIP_1) | instid1(VALU_DEP_2)
	v_sub_co_ci_u32_e32 v1, vcc_lo, v2, v1, vcc_lo
	v_cmp_class_f32_e64 vcc_lo, v9, 0x1f8
	v_dual_cndmask_b32 v3, -1, v1 :: v_dual_cndmask_b32 v2, -1, v10
	v_mov_b32_e32 v1, 0
	s_delay_alu instid0(VALU_DEP_2)
	v_cmpx_lt_i64_e32 -1, v[2:3]
	s_cbranch_execz .LBB73_685
; %bb.674:
	v_mov_b32_e32 v1, 1.0
	s_mov_b32 s42, exec_lo
	v_cmpx_lt_i64_e32 0, v[2:3]
	s_cbranch_execz .LBB73_684
; %bb.675:
                                        ; implicit-def: $vgpr1
	s_mov_b32 s2, exec_lo
	v_cmpx_ne_u64_e32 1, v[2:3]
	s_xor_b32 s43, exec_lo, s2
	s_cbranch_execz .LBB73_681
; %bb.676:
	v_mov_b32_e32 v1, 0x7fc00000
	s_mov_b32 s44, exec_lo
	v_cmpx_gt_u64_e32 0x81, v[2:3]
	s_cbranch_execz .LBB73_680
; %bb.677:
	v_dual_add_f32 v4, v4, v4 :: v_dual_mov_b32 v9, 1.0
	v_lshlrev_b64 v[2:3], 1, v[2:3]
	s_mov_b64 s[2:3], 2
	s_mov_b32 s45, 0
	s_delay_alu instid0(VALU_DEP_2)
	v_mov_b32_e32 v1, v4
.LBB73_678:                             ; =>This Inner Loop Header: Depth=1
	s_clz_i32_u32 s46, s3
	s_delay_alu instid0(SALU_CYCLE_1) | instskip(NEXT) | instid1(SALU_CYCLE_1)
	s_min_u32 s48, s46, 32
	s_lshl_b64 s[46:47], s[2:3], s48
	s_delay_alu instid0(SALU_CYCLE_1) | instskip(NEXT) | instid1(SALU_CYCLE_1)
	s_min_u32 s46, s46, 1
	s_or_b32 s46, s47, s46
	s_delay_alu instid0(SALU_CYCLE_1) | instskip(SKIP_3) | instid1(SALU_CYCLE_1)
	v_cvt_f32_u32_e32 v10, s46
	s_sub_i32 s46, 32, s48
	s_add_u32 s2, s2, 2
	s_addc_u32 s3, s3, 0
	v_cmp_ge_u64_e32 vcc_lo, s[2:3], v[2:3]
	v_ldexp_f32 v10, v10, s46
	s_delay_alu instid0(VALU_DEP_1) | instskip(SKIP_2) | instid1(VALU_DEP_2)
	v_mul_f32_e32 v10, v9, v10
	v_mov_b32_e32 v9, v1
	s_or_b32 s45, vcc_lo, s45
	v_fma_f32 v1, v4, v1, -v10
	s_and_not1_b32 exec_lo, exec_lo, s45
	s_cbranch_execnz .LBB73_678
; %bb.679:
	s_or_b32 exec_lo, exec_lo, s45
.LBB73_680:
	s_delay_alu instid0(SALU_CYCLE_1)
	s_or_b32 exec_lo, exec_lo, s44
                                        ; implicit-def: $vgpr4
.LBB73_681:
	s_and_not1_saveexec_b32 s2, s43
; %bb.682:
	v_add_f32_e32 v1, v4, v4
; %bb.683:
	s_or_b32 exec_lo, exec_lo, s2
.LBB73_684:
	s_delay_alu instid0(SALU_CYCLE_1)
	s_or_b32 exec_lo, exec_lo, s42
.LBB73_685:
	s_delay_alu instid0(SALU_CYCLE_1) | instskip(SKIP_2) | instid1(VALU_DEP_1)
	s_or_b32 exec_lo, exec_lo, s39
	v_and_b32_e32 v9, 0xff, v5
	v_add_co_u32 v3, s2, s4, v0
	v_add_co_ci_u32_e64 v4, null, s5, 0, s2
	s_delay_alu instid0(VALU_DEP_3)
	v_cmp_gt_i16_e32 vcc_lo, 11, v9
	s_mov_b32 s3, 0
	s_mov_b32 s39, -1
	s_mov_b32 s2, s34
	s_cbranch_vccnz .LBB73_693
; %bb.686:
	v_cmp_lt_i16_e32 vcc_lo, 25, v9
	s_cbranch_vccz .LBB73_756
; %bb.687:
	v_cmp_lt_i16_e32 vcc_lo, 28, v9
	s_cbranch_vccz .LBB73_758
	;; [unrolled: 3-line block ×4, first 2 shown]
; %bb.690:
	v_cmp_eq_u16_e32 vcc_lo, 46, v9
	s_mov_b32 s39, 0
	s_mov_b32 s2, -1
	s_cbranch_vccz .LBB73_763
; %bb.691:
	v_bfe_u32 v0, v1, 16, 1
	v_cmp_o_f32_e32 vcc_lo, v1, v1
	s_mov_b32 s3, -1
	s_mov_b32 s2, 0
	s_delay_alu instid0(VALU_DEP_2) | instskip(NEXT) | instid1(VALU_DEP_1)
	v_add3_u32 v0, v1, v0, 0x7fff
	v_lshrrev_b32_e32 v0, 16, v0
	s_delay_alu instid0(VALU_DEP_1)
	v_cndmask_b32_e32 v0, 0x7fc0, v0, vcc_lo
	global_store_b32 v[3:4], v0, off
	s_branch .LBB73_763
.LBB73_692:
	s_mov_b32 s3, 0
	s_mov_b32 s2, s34
	s_branch .LBB73_733
.LBB73_693:
	s_and_b32 vcc_lo, exec_lo, s39
	s_cbranch_vccz .LBB73_832
; %bb.694:
	v_cmp_gt_i16_e32 vcc_lo, 5, v9
	s_mov_b32 s3, -1
	s_cbranch_vccnz .LBB73_715
; %bb.695:
	v_cmp_gt_i16_e32 vcc_lo, 8, v9
	s_cbranch_vccnz .LBB73_705
; %bb.696:
	v_cmp_gt_i16_e32 vcc_lo, 9, v9
	s_cbranch_vccnz .LBB73_702
; %bb.697:
	v_cmp_lt_i16_e32 vcc_lo, 9, v9
	s_cbranch_vccz .LBB73_699
; %bb.698:
	v_cvt_f64_f32_e32 v[10:11], v1
	v_mov_b32_e32 v12, 0
	s_mov_b32 s3, 0
	s_delay_alu instid0(VALU_DEP_1)
	v_mov_b32_e32 v13, v12
	global_store_b128 v[3:4], v[10:13], off
.LBB73_699:
	s_and_not1_b32 vcc_lo, exec_lo, s3
	s_cbranch_vccnz .LBB73_701
; %bb.700:
	v_mov_b32_e32 v2, 0
	global_store_b64 v[3:4], v[1:2], off
.LBB73_701:
	s_mov_b32 s3, 0
.LBB73_702:
	s_delay_alu instid0(SALU_CYCLE_1)
	s_and_not1_b32 vcc_lo, exec_lo, s3
	s_cbranch_vccnz .LBB73_704
; %bb.703:
	v_cvt_f16_f32_e32 v0, v1
	s_delay_alu instid0(VALU_DEP_1)
	v_and_b32_e32 v0, 0xffff, v0
	global_store_b32 v[3:4], v0, off
.LBB73_704:
	s_mov_b32 s3, 0
.LBB73_705:
	s_delay_alu instid0(SALU_CYCLE_1)
	s_and_not1_b32 vcc_lo, exec_lo, s3
	s_cbranch_vccnz .LBB73_714
; %bb.706:
	v_cmp_gt_i16_e32 vcc_lo, 6, v9
	s_mov_b32 s3, -1
	s_cbranch_vccnz .LBB73_712
; %bb.707:
	v_cmp_lt_i16_e32 vcc_lo, 6, v9
	s_cbranch_vccz .LBB73_709
; %bb.708:
	v_cvt_f64_f32_e32 v[10:11], v1
	s_mov_b32 s3, 0
	global_store_b64 v[3:4], v[10:11], off
.LBB73_709:
	s_and_not1_b32 vcc_lo, exec_lo, s3
	s_cbranch_vccnz .LBB73_711
; %bb.710:
	global_store_b32 v[3:4], v1, off
.LBB73_711:
	s_mov_b32 s3, 0
.LBB73_712:
	s_delay_alu instid0(SALU_CYCLE_1)
	s_and_not1_b32 vcc_lo, exec_lo, s3
	s_cbranch_vccnz .LBB73_714
; %bb.713:
	v_cvt_f16_f32_e32 v0, v1
	global_store_b16 v[3:4], v0, off
.LBB73_714:
	s_mov_b32 s3, 0
.LBB73_715:
	s_delay_alu instid0(SALU_CYCLE_1)
	s_and_not1_b32 vcc_lo, exec_lo, s3
	s_cbranch_vccnz .LBB73_731
; %bb.716:
	v_cmp_gt_i16_e32 vcc_lo, 2, v9
	s_mov_b32 s3, -1
	s_cbranch_vccnz .LBB73_726
; %bb.717:
	v_cmp_gt_i16_e32 vcc_lo, 3, v9
	s_cbranch_vccnz .LBB73_723
; %bb.718:
	v_cmp_lt_i16_e32 vcc_lo, 3, v9
	s_cbranch_vccz .LBB73_720
; %bb.719:
	v_trunc_f32_e32 v0, v1
	s_mov_b32 s3, 0
	s_delay_alu instid0(VALU_DEP_1) | instskip(NEXT) | instid1(VALU_DEP_1)
	v_mul_f32_e64 v2, 0x2f800000, |v0|
	v_floor_f32_e32 v2, v2
	s_delay_alu instid0(VALU_DEP_1) | instskip(SKIP_2) | instid1(VALU_DEP_3)
	v_fma_f32 v10, 0xcf800000, v2, |v0|
	v_ashrrev_i32_e32 v0, 31, v0
	v_cvt_u32_f32_e32 v2, v2
	v_cvt_u32_f32_e32 v10, v10
	s_delay_alu instid0(VALU_DEP_2) | instskip(NEXT) | instid1(VALU_DEP_2)
	v_xor_b32_e32 v2, v2, v0
	v_xor_b32_e32 v10, v10, v0
	s_delay_alu instid0(VALU_DEP_1) | instskip(NEXT) | instid1(VALU_DEP_3)
	v_sub_co_u32 v10, vcc_lo, v10, v0
	v_sub_co_ci_u32_e32 v11, vcc_lo, v2, v0, vcc_lo
	global_store_b64 v[3:4], v[10:11], off
.LBB73_720:
	s_and_not1_b32 vcc_lo, exec_lo, s3
	s_cbranch_vccnz .LBB73_722
; %bb.721:
	v_cvt_i32_f32_e32 v0, v1
	global_store_b32 v[3:4], v0, off
.LBB73_722:
	s_mov_b32 s3, 0
.LBB73_723:
	s_delay_alu instid0(SALU_CYCLE_1)
	s_and_not1_b32 vcc_lo, exec_lo, s3
	s_cbranch_vccnz .LBB73_725
; %bb.724:
	v_cvt_i32_f32_e32 v0, v1
	global_store_b16 v[3:4], v0, off
.LBB73_725:
	s_mov_b32 s3, 0
.LBB73_726:
	s_delay_alu instid0(SALU_CYCLE_1)
	s_and_not1_b32 vcc_lo, exec_lo, s3
	s_cbranch_vccnz .LBB73_731
; %bb.727:
	v_cmp_lt_i16_e32 vcc_lo, 0, v9
	s_mov_b32 s3, -1
	s_cbranch_vccz .LBB73_729
; %bb.728:
	v_cvt_i32_f32_e32 v0, v1
	s_mov_b32 s3, 0
	global_store_b8 v[3:4], v0, off
.LBB73_729:
	s_and_not1_b32 vcc_lo, exec_lo, s3
	s_cbranch_vccnz .LBB73_731
; %bb.730:
	v_trunc_f32_e32 v0, v1
	s_delay_alu instid0(VALU_DEP_1) | instskip(NEXT) | instid1(VALU_DEP_1)
	v_mul_f32_e64 v1, 0x2f800000, |v0|
	v_floor_f32_e32 v1, v1
	s_delay_alu instid0(VALU_DEP_1) | instskip(SKIP_1) | instid1(VALU_DEP_2)
	v_fma_f32 v1, 0xcf800000, v1, |v0|
	v_ashrrev_i32_e32 v0, 31, v0
	v_cvt_u32_f32_e32 v1, v1
	s_delay_alu instid0(VALU_DEP_1) | instskip(NEXT) | instid1(VALU_DEP_1)
	v_xor_b32_e32 v1, v1, v0
	v_sub_nc_u32_e32 v0, v1, v0
	global_store_b8 v[3:4], v0, off
.LBB73_731:
	s_branch .LBB73_833
.LBB73_732:
	s_mov_b32 s3, 0
.LBB73_733:
                                        ; implicit-def: $vgpr8
.LBB73_734:
	s_and_not1_b32 s39, s34, exec_lo
	s_and_b32 s2, s2, exec_lo
	s_and_b32 s40, s40, exec_lo
	s_or_b32 s39, s39, s2
	s_and_not1_b32 s2, s35, exec_lo
	s_and_not1_b32 s42, s36, exec_lo
	s_and_b32 s38, s38, exec_lo
	s_or_b32 s40, s2, s40
	s_or_b32 s38, s42, s38
	s_or_not1_b32 s43, s3, exec_lo
.LBB73_735:
	s_or_b32 exec_lo, exec_lo, s41
	s_mov_b32 s2, 0
	s_mov_b32 s42, 0
	;; [unrolled: 1-line block ×3, first 2 shown]
                                        ; implicit-def: $vgpr4
                                        ; implicit-def: $vgpr2_vgpr3
                                        ; implicit-def: $vgpr0
                                        ; implicit-def: $vgpr1
                                        ; implicit-def: $vgpr9
	s_and_saveexec_b32 s41, s43
	s_cbranch_execz .LBB73_1316
; %bb.736:
	s_mov_b32 s47, -1
	s_mov_b32 s43, s38
	s_mov_b32 s44, s40
	;; [unrolled: 1-line block ×3, first 2 shown]
	s_mov_b32 s42, exec_lo
	v_cmpx_gt_i32_e64 s31, v8
	s_cbranch_execz .LBB73_1147
; %bb.737:
	s_and_not1_b32 vcc_lo, exec_lo, s27
	s_cbranch_vccnz .LBB73_743
; %bb.738:
	v_dual_mov_b32 v0, 0 :: v_dual_mov_b32 v1, 0
	v_mov_b32_e32 v2, 0
	s_and_not1_b32 vcc_lo, exec_lo, s33
	s_mov_b32 s43, 0
	s_cbranch_vccnz .LBB73_744
; %bb.739:
	s_add_i32 s2, s30, 1
	v_dual_mov_b32 v1, 0 :: v_dual_mov_b32 v2, 0
	v_dual_mov_b32 v0, 0 :: v_dual_mov_b32 v3, v8
	s_and_b32 s44, s2, 30
	s_add_u32 s2, s16, 0xffffffec
	s_addc_u32 s3, s17, -1
	s_set_inst_prefetch_distance 0x1
	.p2align	6
.LBB73_740:                             ; =>This Inner Loop Header: Depth=1
	s_clause 0x2
	s_load_b128 s[48:51], s[2:3], 0x18
	s_load_b64 s[46:47], s[2:3], 0x28
	s_load_b128 s[52:55], s[2:3], 0xd8
	s_waitcnt vmcnt(0) lgkmcnt(0)
	v_mul_hi_u32 v4, s49, v3
	s_delay_alu instid0(VALU_DEP_1) | instskip(NEXT) | instid1(VALU_DEP_1)
	v_add_nc_u32_e32 v4, v3, v4
	v_lshrrev_b32_e32 v4, s50, v4
	s_delay_alu instid0(VALU_DEP_1)
	v_mul_hi_u32 v9, s46, v4
	v_mul_lo_u32 v10, v4, s48
	s_load_b64 s[48:49], s[2:3], 0xe8
	s_add_u32 s2, s2, 24
	s_addc_u32 s3, s3, 0
	s_add_i32 s44, s44, -2
	s_delay_alu instid0(SALU_CYCLE_1) | instskip(NEXT) | instid1(VALU_DEP_2)
	s_cmp_eq_u32 s44, 0
	v_add_nc_u32_e32 v9, v4, v9
	s_delay_alu instid0(VALU_DEP_2) | instskip(NEXT) | instid1(VALU_DEP_2)
	v_sub_nc_u32_e32 v10, v3, v10
	v_lshrrev_b32_e32 v3, s47, v9
	s_delay_alu instid0(VALU_DEP_2) | instskip(NEXT) | instid1(VALU_DEP_2)
	v_mul_lo_u32 v11, v10, s52
	v_mul_lo_u32 v9, v3, s51
	s_delay_alu instid0(VALU_DEP_1) | instskip(SKIP_2) | instid1(VALU_DEP_3)
	v_sub_nc_u32_e32 v4, v4, v9
	v_mul_lo_u32 v9, v10, s53
	v_mul_lo_u32 v10, v10, s54
	;; [unrolled: 1-line block ×3, first 2 shown]
	s_waitcnt lgkmcnt(0)
	v_mul_lo_u32 v13, v4, s48
	v_mul_lo_u32 v4, v4, s49
	s_delay_alu instid0(VALU_DEP_3) | instskip(NEXT) | instid1(VALU_DEP_3)
	v_add3_u32 v0, v11, v0, v12
	v_add3_u32 v2, v9, v2, v13
	s_delay_alu instid0(VALU_DEP_3)
	v_add3_u32 v1, v10, v1, v4
	s_cbranch_scc0 .LBB73_740
; %bb.741:
	s_set_inst_prefetch_distance 0x2
	s_bitcmp1_b32 s30, 0
	s_cselect_b32 s44, -1, 0
	s_delay_alu instid0(SALU_CYCLE_1)
	s_and_b32 vcc_lo, exec_lo, s44
	s_cbranch_vccnz .LBB73_744
; %bb.742:
	s_clause 0x3
	s_load_b64 s[44:45], s[2:3], 0x18
	s_load_b32 s48, s[2:3], 0x20
	s_load_b64 s[46:47], s[2:3], 0xd8
	s_load_b32 s2, s[2:3], 0xe0
	s_waitcnt lgkmcnt(0)
	v_mul_hi_u32 v4, s45, v3
	s_delay_alu instid0(VALU_DEP_1) | instskip(NEXT) | instid1(VALU_DEP_1)
	v_add_nc_u32_e32 v4, v3, v4
	v_lshrrev_b32_e32 v4, s48, v4
	s_delay_alu instid0(VALU_DEP_1) | instskip(NEXT) | instid1(VALU_DEP_1)
	v_mul_lo_u32 v4, v4, s44
	v_sub_nc_u32_e32 v12, v3, v4
	s_delay_alu instid0(VALU_DEP_1) | instskip(NEXT) | instid1(VALU_DEP_1)
	v_mad_u64_u32 v[3:4], null, v12, s46, v[0:1]
	v_mad_u64_u32 v[9:10], null, v12, s47, v[2:3]
	;; [unrolled: 1-line block ×3, first 2 shown]
	v_mov_b32_e32 v0, v3
	s_delay_alu instid0(VALU_DEP_2)
	v_dual_mov_b32 v2, v9 :: v_dual_mov_b32 v1, v10
	s_branch .LBB73_744
.LBB73_743:
	s_mov_b32 s43, -1
                                        ; implicit-def: $vgpr0
                                        ; implicit-def: $vgpr2
                                        ; implicit-def: $vgpr1
.LBB73_744:
	s_delay_alu instid0(SALU_CYCLE_1)
	s_and_not1_b32 vcc_lo, exec_lo, s43
	s_cbranch_vccnz .LBB73_747
; %bb.745:
	s_waitcnt lgkmcnt(0)
	v_mul_hi_u32 v0, s13, v8
	s_and_not1_b32 vcc_lo, exec_lo, s29
	s_delay_alu instid0(VALU_DEP_1) | instskip(NEXT) | instid1(VALU_DEP_1)
	v_add_nc_u32_e32 v0, v8, v0
	v_lshrrev_b32_e32 v3, s14, v0
	s_delay_alu instid0(VALU_DEP_1) | instskip(NEXT) | instid1(VALU_DEP_1)
	v_mul_lo_u32 v0, v3, s12
	v_sub_nc_u32_e32 v1, v8, v0
	s_delay_alu instid0(VALU_DEP_1)
	v_mul_lo_u32 v0, v1, s8
	v_mul_lo_u32 v2, v1, s9
	;; [unrolled: 1-line block ×3, first 2 shown]
	s_cbranch_vccnz .LBB73_747
; %bb.746:
	s_waitcnt vmcnt(0)
	v_mul_hi_u32 v4, s22, v3
	s_delay_alu instid0(VALU_DEP_1) | instskip(NEXT) | instid1(VALU_DEP_1)
	v_add_nc_u32_e32 v4, v3, v4
	v_lshrrev_b32_e32 v4, s23, v4
	s_delay_alu instid0(VALU_DEP_1) | instskip(NEXT) | instid1(VALU_DEP_1)
	v_mul_lo_u32 v4, v4, s15
	v_sub_nc_u32_e32 v12, v3, v4
	s_delay_alu instid0(VALU_DEP_1) | instskip(NEXT) | instid1(VALU_DEP_1)
	v_mad_u64_u32 v[3:4], null, v12, s11, v[0:1]
	v_mad_u64_u32 v[9:10], null, v12, s20, v[2:3]
	;; [unrolled: 1-line block ×3, first 2 shown]
	v_mov_b32_e32 v0, v3
	s_delay_alu instid0(VALU_DEP_2)
	v_dual_mov_b32 v2, v9 :: v_dual_mov_b32 v1, v10
.LBB73_747:
	s_waitcnt vmcnt(0)
	v_and_b32_e32 v9, 0xff, v7
	s_waitcnt lgkmcnt(0)
	s_delay_alu instid0(VALU_DEP_2) | instskip(NEXT) | instid1(VALU_DEP_1)
	v_add_co_u32 v2, s2, s6, v2
	v_add_co_ci_u32_e64 v3, null, s7, 0, s2
	s_delay_alu instid0(VALU_DEP_3)
	v_cmp_gt_i16_e32 vcc_lo, 11, v9
	s_mov_b32 s2, 0
	s_cbranch_vccnz .LBB73_754
; %bb.748:
	v_cmp_lt_i16_e32 vcc_lo, 25, v9
	s_cbranch_vccz .LBB73_755
; %bb.749:
	v_cmp_lt_i16_e32 vcc_lo, 28, v9
	s_cbranch_vccz .LBB73_757
	;; [unrolled: 3-line block ×4, first 2 shown]
; %bb.752:
	v_cmp_eq_u16_e32 vcc_lo, 46, v9
	s_mov_b32 s3, 0
	s_cbranch_vccz .LBB73_834
; %bb.753:
	global_load_b32 v4, v[2:3], off
	s_mov_b32 s2, -1
	s_mov_b32 s43, 0
	s_waitcnt vmcnt(0)
	v_lshlrev_b32_e32 v4, 16, v4
	s_branch .LBB73_836
.LBB73_754:
	s_mov_b32 s3, -1
	s_mov_b32 s43, s38
                                        ; implicit-def: $vgpr4
	s_branch .LBB73_903
.LBB73_755:
	s_mov_b32 s3, -1
	s_mov_b32 s43, s38
                                        ; implicit-def: $vgpr4
	s_branch .LBB73_867
.LBB73_756:
	s_mov_b32 s2, s34
	s_branch .LBB73_790
.LBB73_757:
	s_mov_b32 s3, -1
	s_mov_b32 s43, s38
                                        ; implicit-def: $vgpr4
	s_branch .LBB73_848
.LBB73_758:
	s_mov_b32 s2, s34
	s_branch .LBB73_773
.LBB73_759:
	s_mov_b32 s3, -1
	s_mov_b32 s43, s38
                                        ; implicit-def: $vgpr4
	s_branch .LBB73_843
.LBB73_760:
	s_mov_b32 s2, s34
	s_branch .LBB73_769
.LBB73_761:
	s_mov_b32 s3, -1
	s_mov_b32 s43, s38
	s_branch .LBB73_835
.LBB73_762:
	s_mov_b32 s2, s34
.LBB73_763:
	s_and_b32 vcc_lo, exec_lo, s39
	s_cbranch_vccz .LBB73_768
; %bb.764:
	v_cmp_eq_u16_e32 vcc_lo, 44, v9
	s_mov_b32 s2, -1
	s_cbranch_vccz .LBB73_768
; %bb.765:
	v_bfe_u32 v2, v1, 23, 8
	v_mov_b32_e32 v0, 0xff
	s_mov_b32 s3, exec_lo
	s_delay_alu instid0(VALU_DEP_2)
	v_cmpx_ne_u32_e32 0xff, v2
; %bb.766:
	v_and_b32_e32 v0, 0x400000, v1
	v_and_or_b32 v2, 0x3fffff, v1, v2
	s_delay_alu instid0(VALU_DEP_2) | instskip(NEXT) | instid1(VALU_DEP_2)
	v_cmp_ne_u32_e32 vcc_lo, 0, v0
	v_cmp_ne_u32_e64 s2, 0, v2
	v_lshrrev_b32_e32 v0, 23, v1
	s_delay_alu instid0(VALU_DEP_2) | instskip(NEXT) | instid1(SALU_CYCLE_1)
	s_and_b32 s2, vcc_lo, s2
	v_cndmask_b32_e64 v2, 0, 1, s2
	s_delay_alu instid0(VALU_DEP_1)
	v_add_nc_u32_e32 v0, v0, v2
; %bb.767:
	s_or_b32 exec_lo, exec_lo, s3
	s_mov_b32 s3, -1
	s_mov_b32 s2, 0
	global_store_b8 v[3:4], v0, off
.LBB73_768:
	s_mov_b32 s39, 0
.LBB73_769:
	s_delay_alu instid0(SALU_CYCLE_1)
	s_and_b32 vcc_lo, exec_lo, s39
	s_cbranch_vccz .LBB73_772
; %bb.770:
	v_cmp_eq_u16_e32 vcc_lo, 29, v9
	s_mov_b32 s2, -1
	s_cbranch_vccz .LBB73_772
; %bb.771:
	v_trunc_f32_e32 v0, v1
	s_mov_b32 s3, -1
	s_mov_b32 s2, 0
	s_mov_b32 s39, 0
	s_delay_alu instid0(VALU_DEP_1) | instskip(NEXT) | instid1(VALU_DEP_1)
	v_mul_f32_e32 v2, 0x2f800000, v0
	v_floor_f32_e32 v2, v2
	s_delay_alu instid0(VALU_DEP_1) | instskip(SKIP_1) | instid1(VALU_DEP_2)
	v_fmamk_f32 v0, v2, 0xcf800000, v0
	v_cvt_u32_f32_e32 v11, v2
	v_cvt_u32_f32_e32 v10, v0
	global_store_b64 v[3:4], v[10:11], off
	s_branch .LBB73_773
.LBB73_772:
	s_mov_b32 s39, 0
.LBB73_773:
	s_delay_alu instid0(SALU_CYCLE_1)
	s_and_b32 vcc_lo, exec_lo, s39
	s_cbranch_vccz .LBB73_789
; %bb.774:
	v_cmp_gt_i16_e32 vcc_lo, 27, v9
	s_mov_b32 s3, -1
	s_cbranch_vccnz .LBB73_780
; %bb.775:
	v_cmp_lt_i16_e32 vcc_lo, 27, v9
	s_cbranch_vccz .LBB73_777
; %bb.776:
	v_cvt_u32_f32_e32 v0, v1
	s_mov_b32 s3, 0
	global_store_b32 v[3:4], v0, off
.LBB73_777:
	s_and_not1_b32 vcc_lo, exec_lo, s3
	s_cbranch_vccnz .LBB73_779
; %bb.778:
	v_cvt_u32_f32_e32 v0, v1
	global_store_b16 v[3:4], v0, off
.LBB73_779:
	s_mov_b32 s3, 0
.LBB73_780:
	s_delay_alu instid0(SALU_CYCLE_1)
	s_and_not1_b32 vcc_lo, exec_lo, s3
	s_cbranch_vccnz .LBB73_788
; %bb.781:
	v_and_b32_e32 v0, 0x7fffffff, v1
	v_mov_b32_e32 v2, 0x80
	s_mov_b32 s3, exec_lo
	s_delay_alu instid0(VALU_DEP_2)
	v_cmpx_gt_u32_e32 0x43800000, v0
	s_cbranch_execz .LBB73_787
; %bb.782:
	v_cmp_lt_u32_e32 vcc_lo, 0x3bffffff, v0
	s_mov_b32 s39, 0
                                        ; implicit-def: $vgpr0
	s_and_saveexec_b32 s42, vcc_lo
	s_delay_alu instid0(SALU_CYCLE_1)
	s_xor_b32 s42, exec_lo, s42
	s_cbranch_execz .LBB73_839
; %bb.783:
	v_bfe_u32 v0, v1, 20, 1
	s_mov_b32 s39, exec_lo
	s_delay_alu instid0(VALU_DEP_1) | instskip(NEXT) | instid1(VALU_DEP_1)
	v_add3_u32 v0, v1, v0, 0x487ffff
	v_lshrrev_b32_e32 v0, 20, v0
	s_or_saveexec_b32 s42, s42
                                        ; implicit-def: $sgpr43
	s_delay_alu instid0(SALU_CYCLE_1)
	s_xor_b32 exec_lo, exec_lo, s42
	s_cbranch_execnz .LBB73_840
.LBB73_784:
	s_or_b32 exec_lo, exec_lo, s42
	v_mov_b32_e32 v2, s43
	s_and_saveexec_b32 s42, s39
.LBB73_785:
	v_lshrrev_b32_e32 v2, 24, v1
	s_delay_alu instid0(VALU_DEP_1)
	v_and_or_b32 v2, 0x80, v2, v0
.LBB73_786:
	s_or_b32 exec_lo, exec_lo, s42
.LBB73_787:
	s_delay_alu instid0(SALU_CYCLE_1)
	s_or_b32 exec_lo, exec_lo, s3
	global_store_b8 v[3:4], v2, off
.LBB73_788:
	s_mov_b32 s3, -1
.LBB73_789:
	s_mov_b32 s39, 0
.LBB73_790:
	s_delay_alu instid0(SALU_CYCLE_1)
	s_and_b32 vcc_lo, exec_lo, s39
	s_cbranch_vccz .LBB73_831
; %bb.791:
	v_cmp_lt_i16_e32 vcc_lo, 22, v9
	s_mov_b32 s39, -1
	s_cbranch_vccz .LBB73_823
; %bb.792:
	v_cmp_gt_i16_e32 vcc_lo, 24, v9
	s_mov_b32 s3, -1
	s_cbranch_vccnz .LBB73_812
; %bb.793:
	v_cmp_lt_i16_e32 vcc_lo, 24, v9
	s_cbranch_vccz .LBB73_801
; %bb.794:
	v_and_b32_e32 v0, 0x7fffffff, v1
	v_mov_b32_e32 v2, 0x80
	s_mov_b32 s3, exec_lo
	s_delay_alu instid0(VALU_DEP_2)
	v_cmpx_gt_u32_e32 0x47800000, v0
	s_cbranch_execz .LBB73_800
; %bb.795:
	v_cmp_lt_u32_e32 vcc_lo, 0x37ffffff, v0
	s_mov_b32 s39, 0
                                        ; implicit-def: $vgpr0
	s_and_saveexec_b32 s42, vcc_lo
	s_delay_alu instid0(SALU_CYCLE_1)
	s_xor_b32 s42, exec_lo, s42
	s_cbranch_execz .LBB73_966
; %bb.796:
	v_bfe_u32 v0, v1, 21, 1
	s_mov_b32 s39, exec_lo
	s_delay_alu instid0(VALU_DEP_1) | instskip(NEXT) | instid1(VALU_DEP_1)
	v_add3_u32 v0, v1, v0, 0x88fffff
	v_lshrrev_b32_e32 v0, 21, v0
	s_or_saveexec_b32 s42, s42
                                        ; implicit-def: $sgpr43
	s_delay_alu instid0(SALU_CYCLE_1)
	s_xor_b32 exec_lo, exec_lo, s42
	s_cbranch_execnz .LBB73_967
.LBB73_797:
	s_or_b32 exec_lo, exec_lo, s42
	v_mov_b32_e32 v2, s43
	s_and_saveexec_b32 s42, s39
.LBB73_798:
	v_lshrrev_b32_e32 v2, 24, v1
	s_delay_alu instid0(VALU_DEP_1)
	v_and_or_b32 v2, 0x80, v2, v0
.LBB73_799:
	s_or_b32 exec_lo, exec_lo, s42
.LBB73_800:
	s_delay_alu instid0(SALU_CYCLE_1)
	s_or_b32 exec_lo, exec_lo, s3
	s_mov_b32 s3, 0
	global_store_b8 v[3:4], v2, off
.LBB73_801:
	s_and_b32 vcc_lo, exec_lo, s3
	s_cbranch_vccz .LBB73_811
; %bb.802:
	v_and_b32_e32 v2, 0x7fffffff, v1
	s_mov_b32 s3, exec_lo
                                        ; implicit-def: $vgpr0
	s_delay_alu instid0(VALU_DEP_1)
	v_cmpx_gt_u32_e32 0x43f00000, v2
	s_xor_b32 s3, exec_lo, s3
	s_cbranch_execz .LBB73_808
; %bb.803:
	s_mov_b32 s39, exec_lo
                                        ; implicit-def: $vgpr0
	v_cmpx_lt_u32_e32 0x3c7fffff, v2
	s_xor_b32 s39, exec_lo, s39
; %bb.804:
	v_bfe_u32 v0, v1, 20, 1
	s_delay_alu instid0(VALU_DEP_1) | instskip(NEXT) | instid1(VALU_DEP_1)
	v_add3_u32 v0, v1, v0, 0x407ffff
	v_and_b32_e32 v2, 0xff00000, v0
	v_lshrrev_b32_e32 v0, 20, v0
	s_delay_alu instid0(VALU_DEP_2) | instskip(NEXT) | instid1(VALU_DEP_2)
	v_cmp_ne_u32_e32 vcc_lo, 0x7f00000, v2
	v_cndmask_b32_e32 v0, 0x7e, v0, vcc_lo
; %bb.805:
	s_and_not1_saveexec_b32 s39, s39
; %bb.806:
	v_add_f32_e64 v0, 0x46800000, |v1|
; %bb.807:
	s_or_b32 exec_lo, exec_lo, s39
                                        ; implicit-def: $vgpr2
.LBB73_808:
	s_and_not1_saveexec_b32 s3, s3
; %bb.809:
	v_mov_b32_e32 v0, 0x7f
	v_cmp_lt_u32_e32 vcc_lo, 0x7f800000, v2
	s_delay_alu instid0(VALU_DEP_2)
	v_cndmask_b32_e32 v0, 0x7e, v0, vcc_lo
; %bb.810:
	s_or_b32 exec_lo, exec_lo, s3
	v_lshrrev_b32_e32 v2, 24, v1
	s_delay_alu instid0(VALU_DEP_1)
	v_and_or_b32 v0, 0x80, v2, v0
	global_store_b8 v[3:4], v0, off
.LBB73_811:
	s_mov_b32 s3, 0
.LBB73_812:
	s_delay_alu instid0(SALU_CYCLE_1)
	s_and_not1_b32 vcc_lo, exec_lo, s3
	s_cbranch_vccnz .LBB73_822
; %bb.813:
	v_and_b32_e32 v2, 0x7fffffff, v1
	s_mov_b32 s3, exec_lo
                                        ; implicit-def: $vgpr0
	s_delay_alu instid0(VALU_DEP_1)
	v_cmpx_gt_u32_e32 0x47800000, v2
	s_xor_b32 s3, exec_lo, s3
	s_cbranch_execz .LBB73_819
; %bb.814:
	s_mov_b32 s39, exec_lo
                                        ; implicit-def: $vgpr0
	v_cmpx_lt_u32_e32 0x387fffff, v2
	s_xor_b32 s39, exec_lo, s39
; %bb.815:
	v_bfe_u32 v0, v1, 21, 1
	s_delay_alu instid0(VALU_DEP_1) | instskip(NEXT) | instid1(VALU_DEP_1)
	v_add3_u32 v0, v1, v0, 0x80fffff
	v_lshrrev_b32_e32 v0, 21, v0
; %bb.816:
	s_and_not1_saveexec_b32 s39, s39
; %bb.817:
	v_add_f32_e64 v0, 0x43000000, |v1|
; %bb.818:
	s_or_b32 exec_lo, exec_lo, s39
                                        ; implicit-def: $vgpr2
.LBB73_819:
	s_and_not1_saveexec_b32 s3, s3
; %bb.820:
	v_mov_b32_e32 v0, 0x7f
	v_cmp_lt_u32_e32 vcc_lo, 0x7f800000, v2
	s_delay_alu instid0(VALU_DEP_2)
	v_cndmask_b32_e32 v0, 0x7c, v0, vcc_lo
; %bb.821:
	s_or_b32 exec_lo, exec_lo, s3
	v_lshrrev_b32_e32 v2, 24, v1
	s_delay_alu instid0(VALU_DEP_1)
	v_and_or_b32 v0, 0x80, v2, v0
	global_store_b8 v[3:4], v0, off
.LBB73_822:
	s_mov_b32 s39, 0
	s_mov_b32 s3, -1
.LBB73_823:
	s_and_not1_b32 vcc_lo, exec_lo, s39
	s_cbranch_vccnz .LBB73_831
; %bb.824:
	v_cmp_lt_i16_e32 vcc_lo, 14, v9
	s_mov_b32 s39, -1
	s_cbranch_vccz .LBB73_828
; %bb.825:
	v_cmp_eq_u16_e32 vcc_lo, 15, v9
	s_mov_b32 s2, -1
	s_cbranch_vccz .LBB73_827
; %bb.826:
	v_bfe_u32 v0, v1, 16, 1
	v_cmp_o_f32_e32 vcc_lo, v1, v1
	s_mov_b32 s3, -1
	s_mov_b32 s2, 0
	s_delay_alu instid0(VALU_DEP_2) | instskip(NEXT) | instid1(VALU_DEP_1)
	v_add3_u32 v0, v1, v0, 0x7fff
	v_lshrrev_b32_e32 v0, 16, v0
	s_delay_alu instid0(VALU_DEP_1)
	v_cndmask_b32_e32 v0, 0x7fc0, v0, vcc_lo
	global_store_b16 v[3:4], v0, off
.LBB73_827:
	s_mov_b32 s39, 0
.LBB73_828:
	s_delay_alu instid0(SALU_CYCLE_1)
	s_and_b32 vcc_lo, exec_lo, s39
	s_cbranch_vccz .LBB73_831
; %bb.829:
	v_cmp_eq_u16_e32 vcc_lo, 11, v9
	s_mov_b32 s2, -1
	s_cbranch_vccz .LBB73_831
; %bb.830:
	v_cmp_neq_f32_e32 vcc_lo, 0, v1
	s_mov_b32 s2, 0
	s_mov_b32 s3, -1
	v_cndmask_b32_e64 v0, 0, 1, vcc_lo
	global_store_b8 v[3:4], v0, off
.LBB73_831:
.LBB73_832:
	s_and_not1_b32 vcc_lo, exec_lo, s3
	s_cbranch_vccnz .LBB73_732
.LBB73_833:
	v_add_nc_u32_e32 v8, 0x80, v8
	s_mov_b32 s3, -1
	s_branch .LBB73_734
.LBB73_834:
	s_mov_b32 s43, -1
.LBB73_835:
                                        ; implicit-def: $vgpr4
.LBB73_836:
	s_and_b32 vcc_lo, exec_lo, s3
	s_cbranch_vccz .LBB73_842
; %bb.837:
	v_cmp_eq_u16_e32 vcc_lo, 44, v9
	s_cbranch_vccz .LBB73_841
; %bb.838:
	global_load_u8 v4, v[2:3], off
	s_mov_b32 s43, 0
	s_mov_b32 s2, -1
	s_waitcnt vmcnt(0)
	v_lshlrev_b32_e32 v10, 23, v4
	v_cmp_ne_u32_e32 vcc_lo, 0xff, v4
	s_delay_alu instid0(VALU_DEP_2) | instskip(SKIP_1) | instid1(VALU_DEP_2)
	v_cndmask_b32_e32 v10, 0x7f800001, v10, vcc_lo
	v_cmp_ne_u32_e32 vcc_lo, 0, v4
	v_cndmask_b32_e32 v4, 0x400000, v10, vcc_lo
	s_branch .LBB73_842
.LBB73_839:
	s_or_saveexec_b32 s42, s42
                                        ; implicit-def: $sgpr43
	s_delay_alu instid0(SALU_CYCLE_1)
	s_xor_b32 exec_lo, exec_lo, s42
	s_cbranch_execz .LBB73_784
.LBB73_840:
	v_add_f32_e64 v0, 0x46000000, |v1|
	s_and_not1_b32 s39, s39, exec_lo
	s_mov_b32 s43, 0
	s_delay_alu instid0(VALU_DEP_1) | instskip(NEXT) | instid1(VALU_DEP_1)
	v_and_b32_e32 v0, 0xff, v0
	v_cmp_ne_u32_e32 vcc_lo, 0, v0
	s_and_b32 s44, vcc_lo, exec_lo
	s_delay_alu instid0(SALU_CYCLE_1)
	s_or_b32 s39, s39, s44
	s_or_b32 exec_lo, exec_lo, s42
	v_mov_b32_e32 v2, s43
	s_and_saveexec_b32 s42, s39
	s_cbranch_execnz .LBB73_785
	s_branch .LBB73_786
.LBB73_841:
	s_mov_b32 s43, -1
                                        ; implicit-def: $vgpr4
.LBB73_842:
	s_mov_b32 s3, 0
.LBB73_843:
	s_delay_alu instid0(SALU_CYCLE_1)
	s_and_b32 vcc_lo, exec_lo, s3
	s_cbranch_vccz .LBB73_847
; %bb.844:
	v_cmp_eq_u16_e32 vcc_lo, 29, v9
	s_cbranch_vccz .LBB73_846
; %bb.845:
	global_load_b64 v[10:11], v[2:3], off
	s_mov_b32 s2, -1
	s_mov_b32 s43, 0
	s_mov_b32 s3, 0
	s_waitcnt vmcnt(0)
	v_clz_i32_u32_e32 v4, v11
	s_delay_alu instid0(VALU_DEP_1) | instskip(NEXT) | instid1(VALU_DEP_1)
	v_min_u32_e32 v4, 32, v4
	v_lshlrev_b64 v[10:11], v4, v[10:11]
	v_sub_nc_u32_e32 v4, 32, v4
	s_delay_alu instid0(VALU_DEP_2) | instskip(NEXT) | instid1(VALU_DEP_1)
	v_min_u32_e32 v10, 1, v10
	v_or_b32_e32 v10, v11, v10
	s_delay_alu instid0(VALU_DEP_1) | instskip(NEXT) | instid1(VALU_DEP_1)
	v_cvt_f32_u32_e32 v10, v10
	v_ldexp_f32 v4, v10, v4
	s_branch .LBB73_848
.LBB73_846:
	s_mov_b32 s43, -1
                                        ; implicit-def: $vgpr4
.LBB73_847:
	s_mov_b32 s3, 0
.LBB73_848:
	s_delay_alu instid0(SALU_CYCLE_1)
	s_and_b32 vcc_lo, exec_lo, s3
	s_cbranch_vccz .LBB73_866
; %bb.849:
	v_cmp_gt_i16_e32 vcc_lo, 27, v9
	s_cbranch_vccnz .LBB73_852
; %bb.850:
	v_cmp_lt_i16_e32 vcc_lo, 27, v9
	s_cbranch_vccz .LBB73_853
; %bb.851:
	global_load_b32 v4, v[2:3], off
	s_mov_b32 s2, 0
	s_waitcnt vmcnt(0)
	v_cvt_f32_u32_e32 v4, v4
	s_branch .LBB73_854
.LBB73_852:
	s_mov_b32 s2, -1
                                        ; implicit-def: $vgpr4
	s_branch .LBB73_857
.LBB73_853:
	s_mov_b32 s2, -1
                                        ; implicit-def: $vgpr4
.LBB73_854:
	s_delay_alu instid0(SALU_CYCLE_1)
	s_and_not1_b32 vcc_lo, exec_lo, s2
	s_cbranch_vccnz .LBB73_856
; %bb.855:
	global_load_u16 v4, v[2:3], off
	s_waitcnt vmcnt(0)
	v_cvt_f32_u32_e32 v4, v4
.LBB73_856:
	s_mov_b32 s2, 0
.LBB73_857:
	s_delay_alu instid0(SALU_CYCLE_1)
	s_and_not1_b32 vcc_lo, exec_lo, s2
	s_cbranch_vccnz .LBB73_865
; %bb.858:
	global_load_u8 v10, v[2:3], off
	s_mov_b32 s2, 0
	s_mov_b32 s44, exec_lo
                                        ; implicit-def: $sgpr3
	s_waitcnt vmcnt(0)
	v_cmpx_lt_i16_e32 0x7f, v10
	s_xor_b32 s44, exec_lo, s44
	s_cbranch_execz .LBB73_879
; %bb.859:
	s_mov_b32 s2, -1
	s_mov_b32 s45, exec_lo
                                        ; implicit-def: $sgpr3
	v_cmpx_eq_u16_e32 0x80, v10
; %bb.860:
	s_mov_b32 s3, 0x7f800001
	s_xor_b32 s2, exec_lo, -1
; %bb.861:
	s_or_b32 exec_lo, exec_lo, s45
	s_delay_alu instid0(SALU_CYCLE_1)
	s_and_b32 s2, s2, exec_lo
	s_or_saveexec_b32 s44, s44
	v_mov_b32_e32 v4, s3
	s_xor_b32 exec_lo, exec_lo, s44
	s_cbranch_execnz .LBB73_880
.LBB73_862:
	s_or_b32 exec_lo, exec_lo, s44
	s_and_saveexec_b32 s3, s2
	s_cbranch_execz .LBB73_864
.LBB73_863:
	v_and_b32_e32 v4, 0xffff, v10
	v_lshlrev_b32_e32 v10, 24, v10
	s_delay_alu instid0(VALU_DEP_2) | instskip(NEXT) | instid1(VALU_DEP_2)
	v_and_b32_e32 v11, 7, v4
	v_and_b32_e32 v10, 0x80000000, v10
	s_delay_alu instid0(VALU_DEP_2) | instskip(NEXT) | instid1(VALU_DEP_1)
	v_clz_i32_u32_e32 v12, v11
	v_min_u32_e32 v12, 32, v12
	s_delay_alu instid0(VALU_DEP_1) | instskip(SKIP_1) | instid1(VALU_DEP_2)
	v_subrev_nc_u32_e32 v13, 28, v12
	v_sub_nc_u32_e32 v12, 29, v12
	v_lshlrev_b32_e32 v13, v13, v4
	v_bfe_u32 v4, v4, 3, 4
	s_delay_alu instid0(VALU_DEP_1) | instskip(NEXT) | instid1(VALU_DEP_3)
	v_cmp_eq_u32_e32 vcc_lo, 0, v4
	v_dual_cndmask_b32 v4, v4, v12 :: v_dual_and_b32 v13, 7, v13
	s_delay_alu instid0(VALU_DEP_1) | instskip(NEXT) | instid1(VALU_DEP_2)
	v_cndmask_b32_e32 v11, v11, v13, vcc_lo
	v_lshl_add_u32 v4, v4, 23, 0x3b800000
	s_delay_alu instid0(VALU_DEP_2) | instskip(NEXT) | instid1(VALU_DEP_1)
	v_lshlrev_b32_e32 v11, 20, v11
	v_or3_b32 v4, v10, v4, v11
.LBB73_864:
	s_or_b32 exec_lo, exec_lo, s3
.LBB73_865:
	s_mov_b32 s2, -1
.LBB73_866:
	s_mov_b32 s3, 0
.LBB73_867:
	s_delay_alu instid0(SALU_CYCLE_1)
	s_and_b32 vcc_lo, exec_lo, s3
	s_cbranch_vccz .LBB73_902
; %bb.868:
	v_cmp_lt_i16_e32 vcc_lo, 22, v9
	s_cbranch_vccz .LBB73_878
; %bb.869:
	v_cmp_gt_i16_e32 vcc_lo, 24, v9
	s_cbranch_vccnz .LBB73_881
; %bb.870:
	v_cmp_lt_i16_e32 vcc_lo, 24, v9
	s_cbranch_vccz .LBB73_882
; %bb.871:
	global_load_u8 v10, v[2:3], off
	s_mov_b32 s2, 0
	s_mov_b32 s44, exec_lo
                                        ; implicit-def: $sgpr3
	s_waitcnt vmcnt(0)
	v_cmpx_lt_i16_e32 0x7f, v10
	s_xor_b32 s44, exec_lo, s44
	s_cbranch_execz .LBB73_894
; %bb.872:
	s_mov_b32 s2, -1
	s_mov_b32 s45, exec_lo
                                        ; implicit-def: $sgpr3
	v_cmpx_eq_u16_e32 0x80, v10
; %bb.873:
	s_mov_b32 s3, 0x7f800001
	s_xor_b32 s2, exec_lo, -1
; %bb.874:
	s_or_b32 exec_lo, exec_lo, s45
	s_delay_alu instid0(SALU_CYCLE_1)
	s_and_b32 s2, s2, exec_lo
	s_or_saveexec_b32 s44, s44
	v_mov_b32_e32 v4, s3
	s_xor_b32 exec_lo, exec_lo, s44
	s_cbranch_execnz .LBB73_895
.LBB73_875:
	s_or_b32 exec_lo, exec_lo, s44
	s_and_saveexec_b32 s3, s2
	s_cbranch_execz .LBB73_877
.LBB73_876:
	v_and_b32_e32 v4, 0xffff, v10
	v_lshlrev_b32_e32 v10, 24, v10
	s_delay_alu instid0(VALU_DEP_2) | instskip(NEXT) | instid1(VALU_DEP_2)
	v_and_b32_e32 v11, 3, v4
	v_and_b32_e32 v10, 0x80000000, v10
	s_delay_alu instid0(VALU_DEP_2) | instskip(NEXT) | instid1(VALU_DEP_1)
	v_clz_i32_u32_e32 v12, v11
	v_min_u32_e32 v12, 32, v12
	s_delay_alu instid0(VALU_DEP_1) | instskip(SKIP_1) | instid1(VALU_DEP_2)
	v_subrev_nc_u32_e32 v13, 29, v12
	v_sub_nc_u32_e32 v12, 30, v12
	v_lshlrev_b32_e32 v13, v13, v4
	v_bfe_u32 v4, v4, 2, 5
	s_delay_alu instid0(VALU_DEP_1) | instskip(NEXT) | instid1(VALU_DEP_3)
	v_cmp_eq_u32_e32 vcc_lo, 0, v4
	v_dual_cndmask_b32 v4, v4, v12 :: v_dual_and_b32 v13, 3, v13
	s_delay_alu instid0(VALU_DEP_1) | instskip(NEXT) | instid1(VALU_DEP_2)
	v_cndmask_b32_e32 v11, v11, v13, vcc_lo
	v_lshl_add_u32 v4, v4, 23, 0x37800000
	s_delay_alu instid0(VALU_DEP_2) | instskip(NEXT) | instid1(VALU_DEP_1)
	v_lshlrev_b32_e32 v11, 21, v11
	v_or3_b32 v4, v10, v4, v11
.LBB73_877:
	s_or_b32 exec_lo, exec_lo, s3
	s_mov_b32 s2, 0
	s_branch .LBB73_883
.LBB73_878:
	s_mov_b32 s3, -1
                                        ; implicit-def: $vgpr4
	s_branch .LBB73_889
.LBB73_879:
	s_or_saveexec_b32 s44, s44
	v_mov_b32_e32 v4, s3
	s_xor_b32 exec_lo, exec_lo, s44
	s_cbranch_execz .LBB73_862
.LBB73_880:
	v_cmp_ne_u16_e32 vcc_lo, 0, v10
	v_mov_b32_e32 v4, 0
	s_and_not1_b32 s2, s2, exec_lo
	s_and_b32 s3, vcc_lo, exec_lo
	s_delay_alu instid0(SALU_CYCLE_1)
	s_or_b32 s2, s2, s3
	s_or_b32 exec_lo, exec_lo, s44
	s_and_saveexec_b32 s3, s2
	s_cbranch_execnz .LBB73_863
	s_branch .LBB73_864
.LBB73_881:
	s_mov_b32 s2, -1
                                        ; implicit-def: $vgpr4
	s_branch .LBB73_886
.LBB73_882:
	s_mov_b32 s2, -1
                                        ; implicit-def: $vgpr4
.LBB73_883:
	s_delay_alu instid0(SALU_CYCLE_1)
	s_and_b32 vcc_lo, exec_lo, s2
	s_cbranch_vccz .LBB73_885
; %bb.884:
	global_load_u8 v4, v[2:3], off
	s_waitcnt vmcnt(0)
	v_lshlrev_b32_e32 v4, 24, v4
	s_delay_alu instid0(VALU_DEP_1) | instskip(NEXT) | instid1(VALU_DEP_1)
	v_and_b32_e32 v10, 0x7f000000, v4
	v_clz_i32_u32_e32 v11, v10
	v_cmp_ne_u32_e32 vcc_lo, 0, v10
	v_add_nc_u32_e32 v13, 0x1000000, v10
	s_delay_alu instid0(VALU_DEP_3) | instskip(NEXT) | instid1(VALU_DEP_1)
	v_min_u32_e32 v11, 32, v11
	v_sub_nc_u32_e64 v11, v11, 4 clamp
	s_delay_alu instid0(VALU_DEP_1) | instskip(SKIP_1) | instid1(VALU_DEP_2)
	v_lshlrev_b32_e32 v12, v11, v10
	v_lshlrev_b32_e32 v11, 23, v11
	v_lshrrev_b32_e32 v12, 4, v12
	s_delay_alu instid0(VALU_DEP_1) | instskip(SKIP_1) | instid1(VALU_DEP_2)
	v_sub_nc_u32_e32 v11, v12, v11
	v_ashrrev_i32_e32 v12, 8, v13
	v_add_nc_u32_e32 v11, 0x3c000000, v11
	s_delay_alu instid0(VALU_DEP_1) | instskip(NEXT) | instid1(VALU_DEP_1)
	v_and_or_b32 v11, 0x7f800000, v12, v11
	v_cndmask_b32_e32 v10, 0, v11, vcc_lo
	s_delay_alu instid0(VALU_DEP_1)
	v_and_or_b32 v4, 0x80000000, v4, v10
.LBB73_885:
	s_mov_b32 s2, 0
.LBB73_886:
	s_delay_alu instid0(SALU_CYCLE_1)
	s_and_not1_b32 vcc_lo, exec_lo, s2
	s_cbranch_vccnz .LBB73_888
; %bb.887:
	global_load_u8 v4, v[2:3], off
	s_waitcnt vmcnt(0)
	v_lshlrev_b32_e32 v10, 25, v4
	v_lshlrev_b16 v4, 8, v4
	s_delay_alu instid0(VALU_DEP_2) | instskip(NEXT) | instid1(VALU_DEP_2)
	v_lshrrev_b32_e32 v11, 4, v10
	v_and_or_b32 v12, 0x7f00, v4, 0.5
	v_bfe_i32 v4, v4, 0, 16
	s_delay_alu instid0(VALU_DEP_3) | instskip(NEXT) | instid1(VALU_DEP_1)
	v_or_b32_e32 v11, 0x70000000, v11
	v_dual_add_f32 v12, -0.5, v12 :: v_dual_mul_f32 v11, 0x7800000, v11
	v_cmp_gt_u32_e32 vcc_lo, 0x8000000, v10
	s_delay_alu instid0(VALU_DEP_2) | instskip(NEXT) | instid1(VALU_DEP_1)
	v_cndmask_b32_e32 v10, v11, v12, vcc_lo
	v_and_or_b32 v4, 0x80000000, v4, v10
.LBB73_888:
	s_mov_b32 s3, 0
	s_mov_b32 s2, -1
.LBB73_889:
	s_and_not1_b32 vcc_lo, exec_lo, s3
	s_cbranch_vccnz .LBB73_902
; %bb.890:
	v_cmp_lt_i16_e32 vcc_lo, 14, v9
	s_cbranch_vccz .LBB73_893
; %bb.891:
	v_cmp_eq_u16_e32 vcc_lo, 15, v9
	s_cbranch_vccz .LBB73_896
; %bb.892:
	global_load_u16 v4, v[2:3], off
	s_mov_b32 s2, -1
	s_mov_b32 s43, 0
	s_waitcnt vmcnt(0)
	v_lshlrev_b32_e32 v4, 16, v4
	s_branch .LBB73_897
.LBB73_893:
	s_mov_b32 s3, -1
                                        ; implicit-def: $vgpr4
	s_branch .LBB73_898
.LBB73_894:
	s_or_saveexec_b32 s44, s44
	v_mov_b32_e32 v4, s3
	s_xor_b32 exec_lo, exec_lo, s44
	s_cbranch_execz .LBB73_875
.LBB73_895:
	v_cmp_ne_u16_e32 vcc_lo, 0, v10
	v_mov_b32_e32 v4, 0
	s_and_not1_b32 s2, s2, exec_lo
	s_and_b32 s3, vcc_lo, exec_lo
	s_delay_alu instid0(SALU_CYCLE_1)
	s_or_b32 s2, s2, s3
	s_or_b32 exec_lo, exec_lo, s44
	s_and_saveexec_b32 s3, s2
	s_cbranch_execnz .LBB73_876
	s_branch .LBB73_877
.LBB73_896:
	s_mov_b32 s43, -1
                                        ; implicit-def: $vgpr4
.LBB73_897:
	s_mov_b32 s3, 0
.LBB73_898:
	s_delay_alu instid0(SALU_CYCLE_1)
	s_and_b32 vcc_lo, exec_lo, s3
	s_cbranch_vccz .LBB73_902
; %bb.899:
	v_cmp_eq_u16_e32 vcc_lo, 11, v9
	s_cbranch_vccz .LBB73_901
; %bb.900:
	global_load_u8 v4, v[2:3], off
	s_mov_b32 s43, 0
	s_mov_b32 s2, -1
	s_waitcnt vmcnt(0)
	v_cmp_ne_u16_e32 vcc_lo, 0, v4
	v_cndmask_b32_e64 v4, 0, 1.0, vcc_lo
	s_branch .LBB73_902
.LBB73_901:
	s_mov_b32 s43, -1
                                        ; implicit-def: $vgpr4
.LBB73_902:
	s_mov_b32 s3, 0
.LBB73_903:
	s_delay_alu instid0(SALU_CYCLE_1)
	s_and_b32 vcc_lo, exec_lo, s3
	s_cbranch_vccz .LBB73_952
; %bb.904:
	v_cmp_gt_i16_e32 vcc_lo, 5, v9
	s_cbranch_vccnz .LBB73_909
; %bb.905:
	v_cmp_gt_i16_e32 vcc_lo, 8, v9
	s_cbranch_vccnz .LBB73_910
	;; [unrolled: 3-line block ×3, first 2 shown]
; %bb.907:
	v_cmp_lt_i16_e32 vcc_lo, 9, v9
	s_cbranch_vccz .LBB73_912
; %bb.908:
	global_load_b64 v[10:11], v[2:3], off
	s_mov_b32 s2, 0
	s_waitcnt vmcnt(0)
	v_cvt_f32_f64_e32 v4, v[10:11]
	s_branch .LBB73_913
.LBB73_909:
	s_mov_b32 s2, -1
                                        ; implicit-def: $vgpr4
	s_branch .LBB73_931
.LBB73_910:
	s_mov_b32 s2, -1
                                        ; implicit-def: $vgpr4
	s_branch .LBB73_919
.LBB73_911:
	s_mov_b32 s2, -1
                                        ; implicit-def: $vgpr4
	s_branch .LBB73_916
.LBB73_912:
	s_mov_b32 s2, -1
                                        ; implicit-def: $vgpr4
.LBB73_913:
	s_delay_alu instid0(SALU_CYCLE_1)
	s_and_not1_b32 vcc_lo, exec_lo, s2
	s_cbranch_vccnz .LBB73_915
; %bb.914:
	global_load_b32 v4, v[2:3], off
.LBB73_915:
	s_mov_b32 s2, 0
.LBB73_916:
	s_delay_alu instid0(SALU_CYCLE_1)
	s_and_not1_b32 vcc_lo, exec_lo, s2
	s_cbranch_vccnz .LBB73_918
; %bb.917:
	global_load_b32 v4, v[2:3], off
	s_waitcnt vmcnt(0)
	v_cvt_f32_f16_e32 v4, v4
.LBB73_918:
	s_mov_b32 s2, 0
.LBB73_919:
	s_delay_alu instid0(SALU_CYCLE_1)
	s_and_not1_b32 vcc_lo, exec_lo, s2
	s_cbranch_vccnz .LBB73_930
; %bb.920:
	v_cmp_gt_i16_e32 vcc_lo, 6, v9
	s_cbranch_vccnz .LBB73_923
; %bb.921:
	v_cmp_lt_i16_e32 vcc_lo, 6, v9
	s_cbranch_vccz .LBB73_924
; %bb.922:
	global_load_b64 v[10:11], v[2:3], off
	s_mov_b32 s2, 0
	s_waitcnt vmcnt(0)
	v_cvt_f32_f64_e32 v4, v[10:11]
	s_branch .LBB73_925
.LBB73_923:
	s_mov_b32 s2, -1
                                        ; implicit-def: $vgpr4
	s_branch .LBB73_928
.LBB73_924:
	s_mov_b32 s2, -1
                                        ; implicit-def: $vgpr4
.LBB73_925:
	s_delay_alu instid0(SALU_CYCLE_1)
	s_and_not1_b32 vcc_lo, exec_lo, s2
	s_cbranch_vccnz .LBB73_927
; %bb.926:
	global_load_b32 v4, v[2:3], off
.LBB73_927:
	s_mov_b32 s2, 0
.LBB73_928:
	s_delay_alu instid0(SALU_CYCLE_1)
	s_and_not1_b32 vcc_lo, exec_lo, s2
	s_cbranch_vccnz .LBB73_930
; %bb.929:
	global_load_u16 v4, v[2:3], off
	s_waitcnt vmcnt(0)
	v_cvt_f32_f16_e32 v4, v4
.LBB73_930:
	s_mov_b32 s2, 0
.LBB73_931:
	s_delay_alu instid0(SALU_CYCLE_1)
	s_and_not1_b32 vcc_lo, exec_lo, s2
	s_cbranch_vccnz .LBB73_951
; %bb.932:
	v_cmp_gt_i16_e32 vcc_lo, 2, v9
	s_cbranch_vccnz .LBB73_936
; %bb.933:
	v_cmp_gt_i16_e32 vcc_lo, 3, v9
	s_cbranch_vccnz .LBB73_937
; %bb.934:
	v_cmp_lt_i16_e32 vcc_lo, 3, v9
	s_cbranch_vccz .LBB73_938
; %bb.935:
	global_load_b64 v[10:11], v[2:3], off
	s_mov_b32 s2, 0
	s_waitcnt vmcnt(0)
	v_xor_b32_e32 v4, v10, v11
	v_cls_i32_e32 v12, v11
	s_delay_alu instid0(VALU_DEP_2) | instskip(NEXT) | instid1(VALU_DEP_2)
	v_ashrrev_i32_e32 v4, 31, v4
	v_add_nc_u32_e32 v12, -1, v12
	s_delay_alu instid0(VALU_DEP_2) | instskip(NEXT) | instid1(VALU_DEP_1)
	v_add_nc_u32_e32 v4, 32, v4
	v_min_u32_e32 v4, v12, v4
	s_delay_alu instid0(VALU_DEP_1) | instskip(SKIP_1) | instid1(VALU_DEP_2)
	v_lshlrev_b64 v[10:11], v4, v[10:11]
	v_sub_nc_u32_e32 v4, 32, v4
	v_min_u32_e32 v10, 1, v10
	s_delay_alu instid0(VALU_DEP_1) | instskip(NEXT) | instid1(VALU_DEP_1)
	v_or_b32_e32 v10, v11, v10
	v_cvt_f32_i32_e32 v10, v10
	s_delay_alu instid0(VALU_DEP_1)
	v_ldexp_f32 v4, v10, v4
	s_branch .LBB73_939
.LBB73_936:
	s_mov_b32 s2, -1
                                        ; implicit-def: $vgpr4
	s_branch .LBB73_945
.LBB73_937:
	s_mov_b32 s2, -1
                                        ; implicit-def: $vgpr4
	s_branch .LBB73_942
.LBB73_938:
	s_mov_b32 s2, -1
                                        ; implicit-def: $vgpr4
.LBB73_939:
	s_delay_alu instid0(SALU_CYCLE_1)
	s_and_not1_b32 vcc_lo, exec_lo, s2
	s_cbranch_vccnz .LBB73_941
; %bb.940:
	global_load_b32 v4, v[2:3], off
	s_waitcnt vmcnt(0)
	v_cvt_f32_i32_e32 v4, v4
.LBB73_941:
	s_mov_b32 s2, 0
.LBB73_942:
	s_delay_alu instid0(SALU_CYCLE_1)
	s_and_not1_b32 vcc_lo, exec_lo, s2
	s_cbranch_vccnz .LBB73_944
; %bb.943:
	global_load_i16 v4, v[2:3], off
	s_waitcnt vmcnt(0)
	v_cvt_f32_i32_e32 v4, v4
.LBB73_944:
	s_mov_b32 s2, 0
.LBB73_945:
	s_delay_alu instid0(SALU_CYCLE_1)
	s_and_not1_b32 vcc_lo, exec_lo, s2
	s_cbranch_vccnz .LBB73_951
; %bb.946:
	v_cmp_lt_i16_e32 vcc_lo, 0, v9
	s_mov_b32 s2, 0
	s_cbranch_vccz .LBB73_948
; %bb.947:
	global_load_i8 v4, v[2:3], off
	s_waitcnt vmcnt(0)
	v_cvt_f32_i32_e32 v4, v4
	s_branch .LBB73_949
.LBB73_948:
	s_mov_b32 s2, -1
                                        ; implicit-def: $vgpr4
.LBB73_949:
	s_delay_alu instid0(SALU_CYCLE_1)
	s_and_not1_b32 vcc_lo, exec_lo, s2
	s_cbranch_vccnz .LBB73_951
; %bb.950:
	global_load_u8 v2, v[2:3], off
	s_waitcnt vmcnt(0)
	v_cvt_f32_ubyte0_e32 v4, v2
.LBB73_951:
	s_mov_b32 s2, -1
.LBB73_952:
	s_delay_alu instid0(SALU_CYCLE_1)
	s_and_not1_b32 vcc_lo, exec_lo, s2
	s_cbranch_vccnz .LBB73_960
; %bb.953:
	v_and_b32_e32 v3, 0xff, v6
	v_add_co_u32 v1, s2, s18, v1
	s_delay_alu instid0(VALU_DEP_1) | instskip(NEXT) | instid1(VALU_DEP_3)
	v_add_co_ci_u32_e64 v2, null, s19, 0, s2
	v_cmp_gt_i16_e32 vcc_lo, 11, v3
	s_mov_b32 s2, 0
	s_cbranch_vccnz .LBB73_961
; %bb.954:
	v_cmp_lt_i16_e32 vcc_lo, 25, v3
	s_cbranch_vccz .LBB73_962
; %bb.955:
	v_cmp_lt_i16_e32 vcc_lo, 28, v3
	s_cbranch_vccz .LBB73_963
	;; [unrolled: 3-line block ×4, first 2 shown]
; %bb.958:
	v_cmp_eq_u16_e32 vcc_lo, 46, v3
	s_mov_b32 s3, 0
	s_cbranch_vccz .LBB73_968
; %bb.959:
	global_load_b32 v9, v[1:2], off
	s_mov_b32 s2, -1
	s_mov_b32 s44, 0
	s_waitcnt vmcnt(0)
	v_lshlrev_b32_e32 v9, 16, v9
	s_branch .LBB73_970
.LBB73_960:
	s_mov_b32 s3, 0
	s_mov_b32 s2, s39
	;; [unrolled: 1-line block ×3, first 2 shown]
	s_branch .LBB73_1145
.LBB73_961:
	s_mov_b32 s3, -1
	s_mov_b32 s44, s40
                                        ; implicit-def: $vgpr9
	s_branch .LBB73_1035
.LBB73_962:
	s_mov_b32 s3, -1
	s_mov_b32 s44, s40
                                        ; implicit-def: $vgpr9
	s_branch .LBB73_999
.LBB73_963:
	s_mov_b32 s3, -1
	s_mov_b32 s44, s40
                                        ; implicit-def: $vgpr9
	s_branch .LBB73_980
.LBB73_964:
	s_mov_b32 s3, -1
	s_mov_b32 s44, s40
                                        ; implicit-def: $vgpr9
	s_branch .LBB73_975
.LBB73_965:
	s_mov_b32 s3, -1
	s_mov_b32 s44, s40
	s_branch .LBB73_969
.LBB73_966:
	s_or_saveexec_b32 s42, s42
                                        ; implicit-def: $sgpr43
	s_delay_alu instid0(SALU_CYCLE_1)
	s_xor_b32 exec_lo, exec_lo, s42
	s_cbranch_execz .LBB73_797
.LBB73_967:
	v_add_f32_e64 v0, 0x42800000, |v1|
	s_and_not1_b32 s39, s39, exec_lo
	s_mov_b32 s43, 0
	s_delay_alu instid0(VALU_DEP_1) | instskip(NEXT) | instid1(VALU_DEP_1)
	v_and_b32_e32 v0, 0xff, v0
	v_cmp_ne_u32_e32 vcc_lo, 0, v0
	s_and_b32 s44, vcc_lo, exec_lo
	s_delay_alu instid0(SALU_CYCLE_1)
	s_or_b32 s39, s39, s44
	s_or_b32 exec_lo, exec_lo, s42
	v_mov_b32_e32 v2, s43
	s_and_saveexec_b32 s42, s39
	s_cbranch_execnz .LBB73_798
	s_branch .LBB73_799
.LBB73_968:
	s_mov_b32 s44, -1
.LBB73_969:
                                        ; implicit-def: $vgpr9
.LBB73_970:
	s_and_b32 vcc_lo, exec_lo, s3
	s_cbranch_vccz .LBB73_974
; %bb.971:
	v_cmp_eq_u16_e32 vcc_lo, 44, v3
	s_cbranch_vccz .LBB73_973
; %bb.972:
	global_load_u8 v9, v[1:2], off
	s_mov_b32 s44, 0
	s_mov_b32 s2, -1
	s_waitcnt vmcnt(0)
	v_lshlrev_b32_e32 v10, 23, v9
	v_cmp_ne_u32_e32 vcc_lo, 0xff, v9
	s_delay_alu instid0(VALU_DEP_2) | instskip(SKIP_1) | instid1(VALU_DEP_2)
	v_cndmask_b32_e32 v10, 0x7f800001, v10, vcc_lo
	v_cmp_ne_u32_e32 vcc_lo, 0, v9
	v_cndmask_b32_e32 v9, 0x400000, v10, vcc_lo
	s_branch .LBB73_974
.LBB73_973:
	s_mov_b32 s44, -1
                                        ; implicit-def: $vgpr9
.LBB73_974:
	s_mov_b32 s3, 0
.LBB73_975:
	s_delay_alu instid0(SALU_CYCLE_1)
	s_and_b32 vcc_lo, exec_lo, s3
	s_cbranch_vccz .LBB73_979
; %bb.976:
	v_cmp_eq_u16_e32 vcc_lo, 29, v3
	s_cbranch_vccz .LBB73_978
; %bb.977:
	global_load_b64 v[9:10], v[1:2], off
	s_mov_b32 s2, -1
	s_mov_b32 s44, 0
	s_mov_b32 s3, 0
	s_waitcnt vmcnt(0)
	v_clz_i32_u32_e32 v11, v10
	s_delay_alu instid0(VALU_DEP_1) | instskip(NEXT) | instid1(VALU_DEP_1)
	v_min_u32_e32 v11, 32, v11
	v_lshlrev_b64 v[9:10], v11, v[9:10]
	s_delay_alu instid0(VALU_DEP_1) | instskip(NEXT) | instid1(VALU_DEP_1)
	v_min_u32_e32 v9, 1, v9
	v_or_b32_e32 v9, v10, v9
	v_sub_nc_u32_e32 v10, 32, v11
	s_delay_alu instid0(VALU_DEP_2) | instskip(NEXT) | instid1(VALU_DEP_1)
	v_cvt_f32_u32_e32 v9, v9
	v_ldexp_f32 v9, v9, v10
	s_branch .LBB73_980
.LBB73_978:
	s_mov_b32 s44, -1
                                        ; implicit-def: $vgpr9
.LBB73_979:
	s_mov_b32 s3, 0
.LBB73_980:
	s_delay_alu instid0(SALU_CYCLE_1)
	s_and_b32 vcc_lo, exec_lo, s3
	s_cbranch_vccz .LBB73_998
; %bb.981:
	v_cmp_gt_i16_e32 vcc_lo, 27, v3
	s_cbranch_vccnz .LBB73_984
; %bb.982:
	v_cmp_lt_i16_e32 vcc_lo, 27, v3
	s_cbranch_vccz .LBB73_985
; %bb.983:
	global_load_b32 v9, v[1:2], off
	s_mov_b32 s2, 0
	s_waitcnt vmcnt(0)
	v_cvt_f32_u32_e32 v9, v9
	s_branch .LBB73_986
.LBB73_984:
	s_mov_b32 s2, -1
                                        ; implicit-def: $vgpr9
	s_branch .LBB73_989
.LBB73_985:
	s_mov_b32 s2, -1
                                        ; implicit-def: $vgpr9
.LBB73_986:
	s_delay_alu instid0(SALU_CYCLE_1)
	s_and_not1_b32 vcc_lo, exec_lo, s2
	s_cbranch_vccnz .LBB73_988
; %bb.987:
	global_load_u16 v9, v[1:2], off
	s_waitcnt vmcnt(0)
	v_cvt_f32_u32_e32 v9, v9
.LBB73_988:
	s_mov_b32 s2, 0
.LBB73_989:
	s_delay_alu instid0(SALU_CYCLE_1)
	s_and_not1_b32 vcc_lo, exec_lo, s2
	s_cbranch_vccnz .LBB73_997
; %bb.990:
	global_load_u8 v10, v[1:2], off
	s_mov_b32 s2, 0
	s_mov_b32 s45, exec_lo
                                        ; implicit-def: $sgpr3
	s_waitcnt vmcnt(0)
	v_cmpx_lt_i16_e32 0x7f, v10
	s_xor_b32 s45, exec_lo, s45
	s_cbranch_execz .LBB73_1011
; %bb.991:
	s_mov_b32 s2, -1
	s_mov_b32 s46, exec_lo
                                        ; implicit-def: $sgpr3
	v_cmpx_eq_u16_e32 0x80, v10
; %bb.992:
	s_mov_b32 s3, 0x7f800001
	s_xor_b32 s2, exec_lo, -1
; %bb.993:
	s_or_b32 exec_lo, exec_lo, s46
	s_delay_alu instid0(SALU_CYCLE_1)
	s_and_b32 s2, s2, exec_lo
	s_or_saveexec_b32 s45, s45
	v_mov_b32_e32 v9, s3
	s_xor_b32 exec_lo, exec_lo, s45
	s_cbranch_execnz .LBB73_1012
.LBB73_994:
	s_or_b32 exec_lo, exec_lo, s45
	s_and_saveexec_b32 s3, s2
	s_cbranch_execz .LBB73_996
.LBB73_995:
	v_and_b32_e32 v9, 0xffff, v10
	s_delay_alu instid0(VALU_DEP_1) | instskip(NEXT) | instid1(VALU_DEP_1)
	v_and_b32_e32 v11, 7, v9
	v_clz_i32_u32_e32 v12, v11
	s_delay_alu instid0(VALU_DEP_1) | instskip(NEXT) | instid1(VALU_DEP_1)
	v_min_u32_e32 v12, 32, v12
	v_subrev_nc_u32_e32 v13, 28, v12
	v_sub_nc_u32_e32 v12, 29, v12
	s_delay_alu instid0(VALU_DEP_2) | instskip(SKIP_1) | instid1(VALU_DEP_2)
	v_lshlrev_b32_e32 v13, v13, v9
	v_bfe_u32 v9, v9, 3, 4
	v_and_b32_e32 v13, 7, v13
	s_delay_alu instid0(VALU_DEP_2) | instskip(SKIP_1) | instid1(VALU_DEP_1)
	v_cmp_eq_u32_e32 vcc_lo, 0, v9
	v_dual_cndmask_b32 v9, v9, v12 :: v_dual_lshlrev_b32 v10, 24, v10
	v_dual_cndmask_b32 v11, v11, v13 :: v_dual_and_b32 v10, 0x80000000, v10
	s_delay_alu instid0(VALU_DEP_2) | instskip(NEXT) | instid1(VALU_DEP_2)
	v_lshl_add_u32 v9, v9, 23, 0x3b800000
	v_lshlrev_b32_e32 v11, 20, v11
	s_delay_alu instid0(VALU_DEP_1)
	v_or3_b32 v9, v10, v9, v11
.LBB73_996:
	s_or_b32 exec_lo, exec_lo, s3
.LBB73_997:
	s_mov_b32 s2, -1
.LBB73_998:
	s_mov_b32 s3, 0
.LBB73_999:
	s_delay_alu instid0(SALU_CYCLE_1)
	s_and_b32 vcc_lo, exec_lo, s3
	s_cbranch_vccz .LBB73_1034
; %bb.1000:
	v_cmp_lt_i16_e32 vcc_lo, 22, v3
	s_cbranch_vccz .LBB73_1010
; %bb.1001:
	v_cmp_gt_i16_e32 vcc_lo, 24, v3
	s_cbranch_vccnz .LBB73_1013
; %bb.1002:
	v_cmp_lt_i16_e32 vcc_lo, 24, v3
	s_cbranch_vccz .LBB73_1014
; %bb.1003:
	global_load_u8 v10, v[1:2], off
	s_mov_b32 s2, 0
	s_mov_b32 s45, exec_lo
                                        ; implicit-def: $sgpr3
	s_waitcnt vmcnt(0)
	v_cmpx_lt_i16_e32 0x7f, v10
	s_xor_b32 s45, exec_lo, s45
	s_cbranch_execz .LBB73_1026
; %bb.1004:
	s_mov_b32 s2, -1
	s_mov_b32 s46, exec_lo
                                        ; implicit-def: $sgpr3
	v_cmpx_eq_u16_e32 0x80, v10
; %bb.1005:
	s_mov_b32 s3, 0x7f800001
	s_xor_b32 s2, exec_lo, -1
; %bb.1006:
	s_or_b32 exec_lo, exec_lo, s46
	s_delay_alu instid0(SALU_CYCLE_1)
	s_and_b32 s2, s2, exec_lo
	s_or_saveexec_b32 s45, s45
	v_mov_b32_e32 v9, s3
	s_xor_b32 exec_lo, exec_lo, s45
	s_cbranch_execnz .LBB73_1027
.LBB73_1007:
	s_or_b32 exec_lo, exec_lo, s45
	s_and_saveexec_b32 s3, s2
	s_cbranch_execz .LBB73_1009
.LBB73_1008:
	v_and_b32_e32 v9, 0xffff, v10
	s_delay_alu instid0(VALU_DEP_1) | instskip(NEXT) | instid1(VALU_DEP_1)
	v_and_b32_e32 v11, 3, v9
	v_clz_i32_u32_e32 v12, v11
	s_delay_alu instid0(VALU_DEP_1) | instskip(NEXT) | instid1(VALU_DEP_1)
	v_min_u32_e32 v12, 32, v12
	v_subrev_nc_u32_e32 v13, 29, v12
	v_sub_nc_u32_e32 v12, 30, v12
	s_delay_alu instid0(VALU_DEP_2) | instskip(SKIP_1) | instid1(VALU_DEP_2)
	v_lshlrev_b32_e32 v13, v13, v9
	v_bfe_u32 v9, v9, 2, 5
	v_and_b32_e32 v13, 3, v13
	s_delay_alu instid0(VALU_DEP_2) | instskip(SKIP_1) | instid1(VALU_DEP_1)
	v_cmp_eq_u32_e32 vcc_lo, 0, v9
	v_dual_cndmask_b32 v9, v9, v12 :: v_dual_lshlrev_b32 v10, 24, v10
	v_dual_cndmask_b32 v11, v11, v13 :: v_dual_and_b32 v10, 0x80000000, v10
	s_delay_alu instid0(VALU_DEP_2) | instskip(NEXT) | instid1(VALU_DEP_2)
	v_lshl_add_u32 v9, v9, 23, 0x37800000
	v_lshlrev_b32_e32 v11, 21, v11
	s_delay_alu instid0(VALU_DEP_1)
	v_or3_b32 v9, v10, v9, v11
.LBB73_1009:
	s_or_b32 exec_lo, exec_lo, s3
	s_mov_b32 s2, 0
	s_branch .LBB73_1015
.LBB73_1010:
	s_mov_b32 s3, -1
                                        ; implicit-def: $vgpr9
	s_branch .LBB73_1021
.LBB73_1011:
	s_or_saveexec_b32 s45, s45
	v_mov_b32_e32 v9, s3
	s_xor_b32 exec_lo, exec_lo, s45
	s_cbranch_execz .LBB73_994
.LBB73_1012:
	v_cmp_ne_u16_e32 vcc_lo, 0, v10
	v_mov_b32_e32 v9, 0
	s_and_not1_b32 s2, s2, exec_lo
	s_and_b32 s3, vcc_lo, exec_lo
	s_delay_alu instid0(SALU_CYCLE_1)
	s_or_b32 s2, s2, s3
	s_or_b32 exec_lo, exec_lo, s45
	s_and_saveexec_b32 s3, s2
	s_cbranch_execnz .LBB73_995
	s_branch .LBB73_996
.LBB73_1013:
	s_mov_b32 s2, -1
                                        ; implicit-def: $vgpr9
	s_branch .LBB73_1018
.LBB73_1014:
	s_mov_b32 s2, -1
                                        ; implicit-def: $vgpr9
.LBB73_1015:
	s_delay_alu instid0(SALU_CYCLE_1)
	s_and_b32 vcc_lo, exec_lo, s2
	s_cbranch_vccz .LBB73_1017
; %bb.1016:
	global_load_u8 v9, v[1:2], off
	s_waitcnt vmcnt(0)
	v_lshlrev_b32_e32 v9, 24, v9
	s_delay_alu instid0(VALU_DEP_1) | instskip(NEXT) | instid1(VALU_DEP_1)
	v_and_b32_e32 v10, 0x7f000000, v9
	v_clz_i32_u32_e32 v11, v10
	v_add_nc_u32_e32 v13, 0x1000000, v10
	v_cmp_ne_u32_e32 vcc_lo, 0, v10
	s_delay_alu instid0(VALU_DEP_3) | instskip(NEXT) | instid1(VALU_DEP_1)
	v_min_u32_e32 v11, 32, v11
	v_sub_nc_u32_e64 v11, v11, 4 clamp
	s_delay_alu instid0(VALU_DEP_1) | instskip(SKIP_1) | instid1(VALU_DEP_2)
	v_lshlrev_b32_e32 v12, v11, v10
	v_lshlrev_b32_e32 v11, 23, v11
	v_lshrrev_b32_e32 v12, 4, v12
	s_delay_alu instid0(VALU_DEP_1) | instskip(SKIP_1) | instid1(VALU_DEP_2)
	v_sub_nc_u32_e32 v11, v12, v11
	v_ashrrev_i32_e32 v12, 8, v13
	v_add_nc_u32_e32 v11, 0x3c000000, v11
	s_delay_alu instid0(VALU_DEP_1) | instskip(NEXT) | instid1(VALU_DEP_1)
	v_and_or_b32 v11, 0x7f800000, v12, v11
	v_cndmask_b32_e32 v10, 0, v11, vcc_lo
	s_delay_alu instid0(VALU_DEP_1)
	v_and_or_b32 v9, 0x80000000, v9, v10
.LBB73_1017:
	s_mov_b32 s2, 0
.LBB73_1018:
	s_delay_alu instid0(SALU_CYCLE_1)
	s_and_not1_b32 vcc_lo, exec_lo, s2
	s_cbranch_vccnz .LBB73_1020
; %bb.1019:
	global_load_u8 v9, v[1:2], off
	s_waitcnt vmcnt(0)
	v_lshlrev_b32_e32 v10, 25, v9
	v_lshlrev_b16 v9, 8, v9
	s_delay_alu instid0(VALU_DEP_2) | instskip(NEXT) | instid1(VALU_DEP_2)
	v_lshrrev_b32_e32 v11, 4, v10
	v_and_or_b32 v12, 0x7f00, v9, 0.5
	v_bfe_i32 v9, v9, 0, 16
	s_delay_alu instid0(VALU_DEP_3) | instskip(NEXT) | instid1(VALU_DEP_1)
	v_or_b32_e32 v11, 0x70000000, v11
	v_dual_add_f32 v12, -0.5, v12 :: v_dual_mul_f32 v11, 0x7800000, v11
	v_cmp_gt_u32_e32 vcc_lo, 0x8000000, v10
	s_delay_alu instid0(VALU_DEP_2) | instskip(NEXT) | instid1(VALU_DEP_1)
	v_cndmask_b32_e32 v10, v11, v12, vcc_lo
	v_and_or_b32 v9, 0x80000000, v9, v10
.LBB73_1020:
	s_mov_b32 s3, 0
	s_mov_b32 s2, -1
.LBB73_1021:
	s_and_not1_b32 vcc_lo, exec_lo, s3
	s_cbranch_vccnz .LBB73_1034
; %bb.1022:
	v_cmp_lt_i16_e32 vcc_lo, 14, v3
	s_cbranch_vccz .LBB73_1025
; %bb.1023:
	v_cmp_eq_u16_e32 vcc_lo, 15, v3
	s_cbranch_vccz .LBB73_1028
; %bb.1024:
	global_load_u16 v9, v[1:2], off
	s_mov_b32 s2, -1
	s_mov_b32 s44, 0
	s_waitcnt vmcnt(0)
	v_lshlrev_b32_e32 v9, 16, v9
	s_branch .LBB73_1029
.LBB73_1025:
	s_mov_b32 s3, -1
                                        ; implicit-def: $vgpr9
	s_branch .LBB73_1030
.LBB73_1026:
	s_or_saveexec_b32 s45, s45
	v_mov_b32_e32 v9, s3
	s_xor_b32 exec_lo, exec_lo, s45
	s_cbranch_execz .LBB73_1007
.LBB73_1027:
	v_cmp_ne_u16_e32 vcc_lo, 0, v10
	v_mov_b32_e32 v9, 0
	s_and_not1_b32 s2, s2, exec_lo
	s_and_b32 s3, vcc_lo, exec_lo
	s_delay_alu instid0(SALU_CYCLE_1)
	s_or_b32 s2, s2, s3
	s_or_b32 exec_lo, exec_lo, s45
	s_and_saveexec_b32 s3, s2
	s_cbranch_execnz .LBB73_1008
	s_branch .LBB73_1009
.LBB73_1028:
	s_mov_b32 s44, -1
                                        ; implicit-def: $vgpr9
.LBB73_1029:
	s_mov_b32 s3, 0
.LBB73_1030:
	s_delay_alu instid0(SALU_CYCLE_1)
	s_and_b32 vcc_lo, exec_lo, s3
	s_cbranch_vccz .LBB73_1034
; %bb.1031:
	v_cmp_eq_u16_e32 vcc_lo, 11, v3
	s_cbranch_vccz .LBB73_1033
; %bb.1032:
	global_load_u8 v9, v[1:2], off
	s_mov_b32 s44, 0
	s_mov_b32 s2, -1
	s_waitcnt vmcnt(0)
	v_cmp_ne_u16_e32 vcc_lo, 0, v9
	v_cndmask_b32_e64 v9, 0, 1.0, vcc_lo
	s_branch .LBB73_1034
.LBB73_1033:
	s_mov_b32 s44, -1
                                        ; implicit-def: $vgpr9
.LBB73_1034:
	s_mov_b32 s3, 0
.LBB73_1035:
	s_delay_alu instid0(SALU_CYCLE_1)
	s_and_b32 vcc_lo, exec_lo, s3
	s_cbranch_vccz .LBB73_1084
; %bb.1036:
	v_cmp_gt_i16_e32 vcc_lo, 5, v3
	s_cbranch_vccnz .LBB73_1041
; %bb.1037:
	v_cmp_gt_i16_e32 vcc_lo, 8, v3
	s_cbranch_vccnz .LBB73_1042
	;; [unrolled: 3-line block ×3, first 2 shown]
; %bb.1039:
	v_cmp_lt_i16_e32 vcc_lo, 9, v3
	s_cbranch_vccz .LBB73_1044
; %bb.1040:
	global_load_b64 v[9:10], v[1:2], off
	s_mov_b32 s2, 0
	s_waitcnt vmcnt(0)
	v_cvt_f32_f64_e32 v9, v[9:10]
	s_branch .LBB73_1045
.LBB73_1041:
	s_mov_b32 s2, -1
                                        ; implicit-def: $vgpr9
	s_branch .LBB73_1063
.LBB73_1042:
	s_mov_b32 s2, -1
                                        ; implicit-def: $vgpr9
	s_branch .LBB73_1051
.LBB73_1043:
	s_mov_b32 s2, -1
                                        ; implicit-def: $vgpr9
	s_branch .LBB73_1048
.LBB73_1044:
	s_mov_b32 s2, -1
                                        ; implicit-def: $vgpr9
.LBB73_1045:
	s_delay_alu instid0(SALU_CYCLE_1)
	s_and_not1_b32 vcc_lo, exec_lo, s2
	s_cbranch_vccnz .LBB73_1047
; %bb.1046:
	global_load_b32 v9, v[1:2], off
.LBB73_1047:
	s_mov_b32 s2, 0
.LBB73_1048:
	s_delay_alu instid0(SALU_CYCLE_1)
	s_and_not1_b32 vcc_lo, exec_lo, s2
	s_cbranch_vccnz .LBB73_1050
; %bb.1049:
	global_load_b32 v9, v[1:2], off
	s_waitcnt vmcnt(0)
	v_cvt_f32_f16_e32 v9, v9
.LBB73_1050:
	s_mov_b32 s2, 0
.LBB73_1051:
	s_delay_alu instid0(SALU_CYCLE_1)
	s_and_not1_b32 vcc_lo, exec_lo, s2
	s_cbranch_vccnz .LBB73_1062
; %bb.1052:
	v_cmp_gt_i16_e32 vcc_lo, 6, v3
	s_cbranch_vccnz .LBB73_1055
; %bb.1053:
	v_cmp_lt_i16_e32 vcc_lo, 6, v3
	s_cbranch_vccz .LBB73_1056
; %bb.1054:
	global_load_b64 v[9:10], v[1:2], off
	s_mov_b32 s2, 0
	s_waitcnt vmcnt(0)
	v_cvt_f32_f64_e32 v9, v[9:10]
	s_branch .LBB73_1057
.LBB73_1055:
	s_mov_b32 s2, -1
                                        ; implicit-def: $vgpr9
	s_branch .LBB73_1060
.LBB73_1056:
	s_mov_b32 s2, -1
                                        ; implicit-def: $vgpr9
.LBB73_1057:
	s_delay_alu instid0(SALU_CYCLE_1)
	s_and_not1_b32 vcc_lo, exec_lo, s2
	s_cbranch_vccnz .LBB73_1059
; %bb.1058:
	global_load_b32 v9, v[1:2], off
.LBB73_1059:
	s_mov_b32 s2, 0
.LBB73_1060:
	s_delay_alu instid0(SALU_CYCLE_1)
	s_and_not1_b32 vcc_lo, exec_lo, s2
	s_cbranch_vccnz .LBB73_1062
; %bb.1061:
	global_load_u16 v9, v[1:2], off
	s_waitcnt vmcnt(0)
	v_cvt_f32_f16_e32 v9, v9
.LBB73_1062:
	s_mov_b32 s2, 0
.LBB73_1063:
	s_delay_alu instid0(SALU_CYCLE_1)
	s_and_not1_b32 vcc_lo, exec_lo, s2
	s_cbranch_vccnz .LBB73_1083
; %bb.1064:
	v_cmp_gt_i16_e32 vcc_lo, 2, v3
	s_cbranch_vccnz .LBB73_1068
; %bb.1065:
	v_cmp_gt_i16_e32 vcc_lo, 3, v3
	s_cbranch_vccnz .LBB73_1069
; %bb.1066:
	v_cmp_lt_i16_e32 vcc_lo, 3, v3
	s_cbranch_vccz .LBB73_1070
; %bb.1067:
	global_load_b64 v[9:10], v[1:2], off
	s_mov_b32 s2, 0
	s_waitcnt vmcnt(0)
	v_xor_b32_e32 v11, v9, v10
	v_cls_i32_e32 v12, v10
	s_delay_alu instid0(VALU_DEP_2) | instskip(NEXT) | instid1(VALU_DEP_2)
	v_ashrrev_i32_e32 v11, 31, v11
	v_add_nc_u32_e32 v12, -1, v12
	s_delay_alu instid0(VALU_DEP_2) | instskip(NEXT) | instid1(VALU_DEP_1)
	v_add_nc_u32_e32 v11, 32, v11
	v_min_u32_e32 v11, v12, v11
	s_delay_alu instid0(VALU_DEP_1) | instskip(NEXT) | instid1(VALU_DEP_1)
	v_lshlrev_b64 v[9:10], v11, v[9:10]
	v_min_u32_e32 v9, 1, v9
	s_delay_alu instid0(VALU_DEP_1) | instskip(SKIP_1) | instid1(VALU_DEP_2)
	v_or_b32_e32 v9, v10, v9
	v_sub_nc_u32_e32 v10, 32, v11
	v_cvt_f32_i32_e32 v9, v9
	s_delay_alu instid0(VALU_DEP_1)
	v_ldexp_f32 v9, v9, v10
	s_branch .LBB73_1071
.LBB73_1068:
	s_mov_b32 s2, -1
                                        ; implicit-def: $vgpr9
	s_branch .LBB73_1077
.LBB73_1069:
	s_mov_b32 s2, -1
                                        ; implicit-def: $vgpr9
	s_branch .LBB73_1074
.LBB73_1070:
	s_mov_b32 s2, -1
                                        ; implicit-def: $vgpr9
.LBB73_1071:
	s_delay_alu instid0(SALU_CYCLE_1)
	s_and_not1_b32 vcc_lo, exec_lo, s2
	s_cbranch_vccnz .LBB73_1073
; %bb.1072:
	global_load_b32 v9, v[1:2], off
	s_waitcnt vmcnt(0)
	v_cvt_f32_i32_e32 v9, v9
.LBB73_1073:
	s_mov_b32 s2, 0
.LBB73_1074:
	s_delay_alu instid0(SALU_CYCLE_1)
	s_and_not1_b32 vcc_lo, exec_lo, s2
	s_cbranch_vccnz .LBB73_1076
; %bb.1075:
	global_load_i16 v9, v[1:2], off
	s_waitcnt vmcnt(0)
	v_cvt_f32_i32_e32 v9, v9
.LBB73_1076:
	s_mov_b32 s2, 0
.LBB73_1077:
	s_delay_alu instid0(SALU_CYCLE_1)
	s_and_not1_b32 vcc_lo, exec_lo, s2
	s_cbranch_vccnz .LBB73_1083
; %bb.1078:
	v_cmp_lt_i16_e32 vcc_lo, 0, v3
	s_mov_b32 s2, 0
	s_cbranch_vccz .LBB73_1080
; %bb.1079:
	global_load_i8 v3, v[1:2], off
	s_waitcnt vmcnt(0)
	v_cvt_f32_i32_e32 v9, v3
	s_branch .LBB73_1081
.LBB73_1080:
	s_mov_b32 s2, -1
                                        ; implicit-def: $vgpr9
.LBB73_1081:
	s_delay_alu instid0(SALU_CYCLE_1)
	s_and_not1_b32 vcc_lo, exec_lo, s2
	s_cbranch_vccnz .LBB73_1083
; %bb.1082:
	global_load_u8 v1, v[1:2], off
	s_waitcnt vmcnt(0)
	v_cvt_f32_ubyte0_e32 v9, v1
.LBB73_1083:
	s_mov_b32 s2, -1
.LBB73_1084:
	s_delay_alu instid0(SALU_CYCLE_1)
	s_and_not1_b32 vcc_lo, exec_lo, s2
	s_cbranch_vccnz .LBB73_1104
; %bb.1085:
	s_waitcnt vmcnt(0)
	s_delay_alu instid0(VALU_DEP_1) | instskip(SKIP_1) | instid1(VALU_DEP_1)
	v_trunc_f32_e32 v1, v9
	s_mov_b32 s45, exec_lo
	v_mul_f32_e64 v2, 0x2f800000, |v1|
	s_delay_alu instid0(VALU_DEP_1) | instskip(NEXT) | instid1(VALU_DEP_1)
	v_floor_f32_e32 v2, v2
	v_fma_f32 v3, 0xcf800000, v2, |v1|
	v_ashrrev_i32_e32 v1, 31, v1
	v_cvt_u32_f32_e32 v2, v2
	s_delay_alu instid0(VALU_DEP_3) | instskip(NEXT) | instid1(VALU_DEP_2)
	v_cvt_u32_f32_e32 v3, v3
	v_xor_b32_e32 v2, v2, v1
	s_delay_alu instid0(VALU_DEP_2) | instskip(NEXT) | instid1(VALU_DEP_1)
	v_xor_b32_e32 v3, v3, v1
	v_sub_co_u32 v10, vcc_lo, v3, v1
	s_delay_alu instid0(VALU_DEP_3) | instskip(SKIP_1) | instid1(VALU_DEP_2)
	v_sub_co_ci_u32_e32 v1, vcc_lo, v2, v1, vcc_lo
	v_cmp_class_f32_e64 vcc_lo, v9, 0x1f8
	v_dual_cndmask_b32 v3, -1, v1 :: v_dual_cndmask_b32 v2, -1, v10
	v_mov_b32_e32 v1, 0
	s_delay_alu instid0(VALU_DEP_2)
	v_cmpx_lt_i64_e32 -1, v[2:3]
	s_cbranch_execz .LBB73_1097
; %bb.1086:
	v_mov_b32_e32 v1, 1.0
	s_mov_b32 s46, exec_lo
	v_cmpx_lt_i64_e32 0, v[2:3]
	s_cbranch_execz .LBB73_1096
; %bb.1087:
                                        ; implicit-def: $vgpr1
	s_mov_b32 s2, exec_lo
	v_cmpx_ne_u64_e32 1, v[2:3]
	s_xor_b32 s47, exec_lo, s2
	s_cbranch_execz .LBB73_1093
; %bb.1088:
	v_mov_b32_e32 v1, 0x7fc00000
	s_mov_b32 s48, exec_lo
	v_cmpx_gt_u64_e32 0x81, v[2:3]
	s_cbranch_execz .LBB73_1092
; %bb.1089:
	v_dual_add_f32 v4, v4, v4 :: v_dual_mov_b32 v9, 1.0
	v_lshlrev_b64 v[2:3], 1, v[2:3]
	s_mov_b64 s[2:3], 2
	s_mov_b32 s49, 0
	s_delay_alu instid0(VALU_DEP_2)
	v_mov_b32_e32 v1, v4
.LBB73_1090:                            ; =>This Inner Loop Header: Depth=1
	s_clz_i32_u32 s50, s3
	s_delay_alu instid0(SALU_CYCLE_1) | instskip(NEXT) | instid1(SALU_CYCLE_1)
	s_min_u32 s52, s50, 32
	s_lshl_b64 s[50:51], s[2:3], s52
	s_delay_alu instid0(SALU_CYCLE_1) | instskip(NEXT) | instid1(SALU_CYCLE_1)
	s_min_u32 s50, s50, 1
	s_or_b32 s50, s51, s50
	s_delay_alu instid0(SALU_CYCLE_1) | instskip(SKIP_3) | instid1(SALU_CYCLE_1)
	v_cvt_f32_u32_e32 v10, s50
	s_sub_i32 s50, 32, s52
	s_add_u32 s2, s2, 2
	s_addc_u32 s3, s3, 0
	v_cmp_ge_u64_e32 vcc_lo, s[2:3], v[2:3]
	v_ldexp_f32 v10, v10, s50
	s_delay_alu instid0(VALU_DEP_1) | instskip(SKIP_2) | instid1(VALU_DEP_2)
	v_mul_f32_e32 v10, v9, v10
	v_mov_b32_e32 v9, v1
	s_or_b32 s49, vcc_lo, s49
	v_fma_f32 v1, v4, v1, -v10
	s_and_not1_b32 exec_lo, exec_lo, s49
	s_cbranch_execnz .LBB73_1090
; %bb.1091:
	s_or_b32 exec_lo, exec_lo, s49
.LBB73_1092:
	s_delay_alu instid0(SALU_CYCLE_1)
	s_or_b32 exec_lo, exec_lo, s48
                                        ; implicit-def: $vgpr4
.LBB73_1093:
	s_and_not1_saveexec_b32 s2, s47
; %bb.1094:
	v_add_f32_e32 v1, v4, v4
; %bb.1095:
	s_or_b32 exec_lo, exec_lo, s2
.LBB73_1096:
	s_delay_alu instid0(SALU_CYCLE_1)
	s_or_b32 exec_lo, exec_lo, s46
.LBB73_1097:
	s_delay_alu instid0(SALU_CYCLE_1) | instskip(SKIP_2) | instid1(VALU_DEP_1)
	s_or_b32 exec_lo, exec_lo, s45
	v_and_b32_e32 v9, 0xff, v5
	v_add_co_u32 v3, s2, s4, v0
	v_add_co_ci_u32_e64 v4, null, s5, 0, s2
	s_delay_alu instid0(VALU_DEP_3)
	v_cmp_gt_i16_e32 vcc_lo, 11, v9
	s_mov_b32 s3, 0
	s_mov_b32 s45, -1
	s_mov_b32 s2, s39
	s_cbranch_vccnz .LBB73_1105
; %bb.1098:
	v_cmp_lt_i16_e32 vcc_lo, 25, v9
	s_cbranch_vccz .LBB73_1168
; %bb.1099:
	v_cmp_lt_i16_e32 vcc_lo, 28, v9
	s_cbranch_vccz .LBB73_1170
	;; [unrolled: 3-line block ×4, first 2 shown]
; %bb.1102:
	v_cmp_eq_u16_e32 vcc_lo, 46, v9
	s_mov_b32 s45, 0
	s_mov_b32 s2, -1
	s_cbranch_vccz .LBB73_1175
; %bb.1103:
	v_bfe_u32 v0, v1, 16, 1
	v_cmp_o_f32_e32 vcc_lo, v1, v1
	s_mov_b32 s3, -1
	s_mov_b32 s2, 0
	s_delay_alu instid0(VALU_DEP_2) | instskip(NEXT) | instid1(VALU_DEP_1)
	v_add3_u32 v0, v1, v0, 0x7fff
	v_lshrrev_b32_e32 v0, 16, v0
	s_delay_alu instid0(VALU_DEP_1)
	v_cndmask_b32_e32 v0, 0x7fc0, v0, vcc_lo
	global_store_b32 v[3:4], v0, off
	s_branch .LBB73_1175
.LBB73_1104:
	s_mov_b32 s3, 0
	s_mov_b32 s2, s39
	s_branch .LBB73_1145
.LBB73_1105:
	s_and_b32 vcc_lo, exec_lo, s45
	s_cbranch_vccz .LBB73_1244
; %bb.1106:
	v_cmp_gt_i16_e32 vcc_lo, 5, v9
	s_mov_b32 s3, -1
	s_cbranch_vccnz .LBB73_1127
; %bb.1107:
	v_cmp_gt_i16_e32 vcc_lo, 8, v9
	s_cbranch_vccnz .LBB73_1117
; %bb.1108:
	v_cmp_gt_i16_e32 vcc_lo, 9, v9
	s_cbranch_vccnz .LBB73_1114
; %bb.1109:
	v_cmp_lt_i16_e32 vcc_lo, 9, v9
	s_cbranch_vccz .LBB73_1111
; %bb.1110:
	v_cvt_f64_f32_e32 v[10:11], v1
	v_mov_b32_e32 v12, 0
	s_mov_b32 s3, 0
	s_delay_alu instid0(VALU_DEP_1)
	v_mov_b32_e32 v13, v12
	global_store_b128 v[3:4], v[10:13], off
.LBB73_1111:
	s_and_not1_b32 vcc_lo, exec_lo, s3
	s_cbranch_vccnz .LBB73_1113
; %bb.1112:
	v_mov_b32_e32 v2, 0
	global_store_b64 v[3:4], v[1:2], off
.LBB73_1113:
	s_mov_b32 s3, 0
.LBB73_1114:
	s_delay_alu instid0(SALU_CYCLE_1)
	s_and_not1_b32 vcc_lo, exec_lo, s3
	s_cbranch_vccnz .LBB73_1116
; %bb.1115:
	v_cvt_f16_f32_e32 v0, v1
	s_delay_alu instid0(VALU_DEP_1)
	v_and_b32_e32 v0, 0xffff, v0
	global_store_b32 v[3:4], v0, off
.LBB73_1116:
	s_mov_b32 s3, 0
.LBB73_1117:
	s_delay_alu instid0(SALU_CYCLE_1)
	s_and_not1_b32 vcc_lo, exec_lo, s3
	s_cbranch_vccnz .LBB73_1126
; %bb.1118:
	v_cmp_gt_i16_e32 vcc_lo, 6, v9
	s_mov_b32 s3, -1
	s_cbranch_vccnz .LBB73_1124
; %bb.1119:
	v_cmp_lt_i16_e32 vcc_lo, 6, v9
	s_cbranch_vccz .LBB73_1121
; %bb.1120:
	v_cvt_f64_f32_e32 v[10:11], v1
	s_mov_b32 s3, 0
	global_store_b64 v[3:4], v[10:11], off
.LBB73_1121:
	s_and_not1_b32 vcc_lo, exec_lo, s3
	s_cbranch_vccnz .LBB73_1123
; %bb.1122:
	global_store_b32 v[3:4], v1, off
.LBB73_1123:
	s_mov_b32 s3, 0
.LBB73_1124:
	s_delay_alu instid0(SALU_CYCLE_1)
	s_and_not1_b32 vcc_lo, exec_lo, s3
	s_cbranch_vccnz .LBB73_1126
; %bb.1125:
	v_cvt_f16_f32_e32 v0, v1
	global_store_b16 v[3:4], v0, off
.LBB73_1126:
	s_mov_b32 s3, 0
.LBB73_1127:
	s_delay_alu instid0(SALU_CYCLE_1)
	s_and_not1_b32 vcc_lo, exec_lo, s3
	s_cbranch_vccnz .LBB73_1143
; %bb.1128:
	v_cmp_gt_i16_e32 vcc_lo, 2, v9
	s_mov_b32 s3, -1
	s_cbranch_vccnz .LBB73_1138
; %bb.1129:
	v_cmp_gt_i16_e32 vcc_lo, 3, v9
	s_cbranch_vccnz .LBB73_1135
; %bb.1130:
	v_cmp_lt_i16_e32 vcc_lo, 3, v9
	s_cbranch_vccz .LBB73_1132
; %bb.1131:
	v_trunc_f32_e32 v0, v1
	s_mov_b32 s3, 0
	s_delay_alu instid0(VALU_DEP_1) | instskip(NEXT) | instid1(VALU_DEP_1)
	v_mul_f32_e64 v2, 0x2f800000, |v0|
	v_floor_f32_e32 v2, v2
	s_delay_alu instid0(VALU_DEP_1) | instskip(SKIP_2) | instid1(VALU_DEP_3)
	v_fma_f32 v10, 0xcf800000, v2, |v0|
	v_ashrrev_i32_e32 v0, 31, v0
	v_cvt_u32_f32_e32 v2, v2
	v_cvt_u32_f32_e32 v10, v10
	s_delay_alu instid0(VALU_DEP_2) | instskip(NEXT) | instid1(VALU_DEP_2)
	v_xor_b32_e32 v2, v2, v0
	v_xor_b32_e32 v10, v10, v0
	s_delay_alu instid0(VALU_DEP_1) | instskip(NEXT) | instid1(VALU_DEP_3)
	v_sub_co_u32 v10, vcc_lo, v10, v0
	v_sub_co_ci_u32_e32 v11, vcc_lo, v2, v0, vcc_lo
	global_store_b64 v[3:4], v[10:11], off
.LBB73_1132:
	s_and_not1_b32 vcc_lo, exec_lo, s3
	s_cbranch_vccnz .LBB73_1134
; %bb.1133:
	v_cvt_i32_f32_e32 v0, v1
	global_store_b32 v[3:4], v0, off
.LBB73_1134:
	s_mov_b32 s3, 0
.LBB73_1135:
	s_delay_alu instid0(SALU_CYCLE_1)
	s_and_not1_b32 vcc_lo, exec_lo, s3
	s_cbranch_vccnz .LBB73_1137
; %bb.1136:
	v_cvt_i32_f32_e32 v0, v1
	global_store_b16 v[3:4], v0, off
.LBB73_1137:
	s_mov_b32 s3, 0
.LBB73_1138:
	s_delay_alu instid0(SALU_CYCLE_1)
	s_and_not1_b32 vcc_lo, exec_lo, s3
	s_cbranch_vccnz .LBB73_1143
; %bb.1139:
	v_cmp_lt_i16_e32 vcc_lo, 0, v9
	s_mov_b32 s3, -1
	s_cbranch_vccz .LBB73_1141
; %bb.1140:
	v_cvt_i32_f32_e32 v0, v1
	s_mov_b32 s3, 0
	global_store_b8 v[3:4], v0, off
.LBB73_1141:
	s_and_not1_b32 vcc_lo, exec_lo, s3
	s_cbranch_vccnz .LBB73_1143
; %bb.1142:
	v_trunc_f32_e32 v0, v1
	s_delay_alu instid0(VALU_DEP_1) | instskip(NEXT) | instid1(VALU_DEP_1)
	v_mul_f32_e64 v1, 0x2f800000, |v0|
	v_floor_f32_e32 v1, v1
	s_delay_alu instid0(VALU_DEP_1) | instskip(SKIP_1) | instid1(VALU_DEP_2)
	v_fma_f32 v1, 0xcf800000, v1, |v0|
	v_ashrrev_i32_e32 v0, 31, v0
	v_cvt_u32_f32_e32 v1, v1
	s_delay_alu instid0(VALU_DEP_1) | instskip(NEXT) | instid1(VALU_DEP_1)
	v_xor_b32_e32 v1, v1, v0
	v_sub_nc_u32_e32 v0, v1, v0
	global_store_b8 v[3:4], v0, off
.LBB73_1143:
	s_branch .LBB73_1245
.LBB73_1144:
	s_mov_b32 s3, 0
.LBB73_1145:
                                        ; implicit-def: $vgpr8
.LBB73_1146:
	s_and_not1_b32 s45, s39, exec_lo
	s_and_b32 s2, s2, exec_lo
	s_and_b32 s44, s44, exec_lo
	s_or_b32 s45, s45, s2
	s_and_not1_b32 s2, s40, exec_lo
	s_and_not1_b32 s46, s38, exec_lo
	s_and_b32 s43, s43, exec_lo
	s_or_b32 s44, s2, s44
	s_or_b32 s43, s46, s43
	s_or_not1_b32 s47, s3, exec_lo
.LBB73_1147:
	s_or_b32 exec_lo, exec_lo, s42
	s_mov_b32 s2, 0
	s_mov_b32 s46, 0
	;; [unrolled: 1-line block ×3, first 2 shown]
                                        ; implicit-def: $vgpr4
                                        ; implicit-def: $vgpr2_vgpr3
                                        ; implicit-def: $vgpr0
                                        ; implicit-def: $vgpr1
                                        ; implicit-def: $vgpr9
	s_and_saveexec_b32 s42, s47
	s_cbranch_execz .LBB73_1315
; %bb.1148:
	v_cmp_gt_i32_e32 vcc_lo, s31, v8
	s_mov_b32 s47, s43
	s_mov_b32 s48, 0
                                        ; implicit-def: $vgpr4
                                        ; implicit-def: $vgpr2_vgpr3
                                        ; implicit-def: $vgpr0
                                        ; implicit-def: $vgpr1
                                        ; implicit-def: $vgpr9
	s_and_saveexec_b32 s31, vcc_lo
	s_cbranch_execz .LBB73_1314
; %bb.1149:
	s_and_not1_b32 vcc_lo, exec_lo, s27
	s_cbranch_vccnz .LBB73_1155
; %bb.1150:
	v_dual_mov_b32 v0, 0 :: v_dual_mov_b32 v1, 0
	v_mov_b32_e32 v2, 0
	s_and_not1_b32 vcc_lo, exec_lo, s33
	s_mov_b32 s33, 0
	s_cbranch_vccnz .LBB73_1156
; %bb.1151:
	s_add_i32 s2, s30, 1
	v_dual_mov_b32 v1, 0 :: v_dual_mov_b32 v2, 0
	v_dual_mov_b32 v0, 0 :: v_dual_mov_b32 v3, v8
	s_and_b32 s46, s2, 30
	s_add_u32 s2, s16, 0xffffffec
	s_addc_u32 s3, s17, -1
	s_set_inst_prefetch_distance 0x1
	.p2align	6
.LBB73_1152:                            ; =>This Inner Loop Header: Depth=1
	s_clause 0x2
	s_load_b128 s[48:51], s[2:3], 0x18
	s_load_b64 s[56:57], s[2:3], 0x28
	s_load_b128 s[52:55], s[2:3], 0xd8
	s_waitcnt vmcnt(0) lgkmcnt(0)
	v_mul_hi_u32 v4, s49, v3
	s_delay_alu instid0(VALU_DEP_1) | instskip(NEXT) | instid1(VALU_DEP_1)
	v_add_nc_u32_e32 v4, v3, v4
	v_lshrrev_b32_e32 v4, s50, v4
	s_delay_alu instid0(VALU_DEP_1)
	v_mul_hi_u32 v9, s56, v4
	v_mul_lo_u32 v10, v4, s48
	s_load_b64 s[48:49], s[2:3], 0xe8
	s_add_u32 s2, s2, 24
	s_addc_u32 s3, s3, 0
	s_add_i32 s46, s46, -2
	s_delay_alu instid0(SALU_CYCLE_1) | instskip(NEXT) | instid1(VALU_DEP_2)
	s_cmp_eq_u32 s46, 0
	v_add_nc_u32_e32 v9, v4, v9
	s_delay_alu instid0(VALU_DEP_2) | instskip(NEXT) | instid1(VALU_DEP_2)
	v_sub_nc_u32_e32 v10, v3, v10
	v_lshrrev_b32_e32 v3, s57, v9
	s_delay_alu instid0(VALU_DEP_2) | instskip(NEXT) | instid1(VALU_DEP_2)
	v_mul_lo_u32 v11, v10, s52
	v_mul_lo_u32 v9, v3, s51
	s_delay_alu instid0(VALU_DEP_1) | instskip(SKIP_2) | instid1(VALU_DEP_3)
	v_sub_nc_u32_e32 v4, v4, v9
	v_mul_lo_u32 v9, v10, s53
	v_mul_lo_u32 v10, v10, s54
	;; [unrolled: 1-line block ×3, first 2 shown]
	s_waitcnt lgkmcnt(0)
	v_mul_lo_u32 v13, v4, s48
	v_mul_lo_u32 v4, v4, s49
	s_delay_alu instid0(VALU_DEP_3) | instskip(NEXT) | instid1(VALU_DEP_3)
	v_add3_u32 v0, v11, v0, v12
	v_add3_u32 v2, v9, v2, v13
	s_delay_alu instid0(VALU_DEP_3)
	v_add3_u32 v1, v10, v1, v4
	s_cbranch_scc0 .LBB73_1152
; %bb.1153:
	s_set_inst_prefetch_distance 0x2
	s_bitcmp1_b32 s30, 0
	s_cselect_b32 s30, -1, 0
	s_delay_alu instid0(SALU_CYCLE_1)
	s_and_b32 vcc_lo, exec_lo, s30
	s_cbranch_vccnz .LBB73_1156
; %bb.1154:
	s_clause 0x3
	s_load_b64 s[46:47], s[2:3], 0x18
	s_load_b32 s30, s[2:3], 0x20
	s_load_b64 s[48:49], s[2:3], 0xd8
	s_load_b32 s2, s[2:3], 0xe0
	s_waitcnt lgkmcnt(0)
	v_mul_hi_u32 v4, s47, v3
	s_delay_alu instid0(VALU_DEP_1) | instskip(NEXT) | instid1(VALU_DEP_1)
	v_add_nc_u32_e32 v4, v3, v4
	v_lshrrev_b32_e32 v4, s30, v4
	s_delay_alu instid0(VALU_DEP_1) | instskip(NEXT) | instid1(VALU_DEP_1)
	v_mul_lo_u32 v4, v4, s46
	v_sub_nc_u32_e32 v12, v3, v4
	s_delay_alu instid0(VALU_DEP_1) | instskip(NEXT) | instid1(VALU_DEP_1)
	v_mad_u64_u32 v[3:4], null, v12, s48, v[0:1]
	v_mad_u64_u32 v[9:10], null, v12, s49, v[2:3]
	;; [unrolled: 1-line block ×3, first 2 shown]
	v_mov_b32_e32 v0, v3
	s_delay_alu instid0(VALU_DEP_2)
	v_dual_mov_b32 v2, v9 :: v_dual_mov_b32 v1, v10
	s_branch .LBB73_1156
.LBB73_1155:
	s_mov_b32 s33, -1
                                        ; implicit-def: $vgpr0
                                        ; implicit-def: $vgpr2
                                        ; implicit-def: $vgpr1
.LBB73_1156:
	s_delay_alu instid0(SALU_CYCLE_1)
	s_and_not1_b32 vcc_lo, exec_lo, s33
	s_cbranch_vccnz .LBB73_1159
; %bb.1157:
	s_waitcnt lgkmcnt(0)
	v_mul_hi_u32 v0, s13, v8
	s_and_not1_b32 vcc_lo, exec_lo, s29
	s_delay_alu instid0(VALU_DEP_1) | instskip(NEXT) | instid1(VALU_DEP_1)
	v_add_nc_u32_e32 v0, v8, v0
	v_lshrrev_b32_e32 v3, s14, v0
	s_delay_alu instid0(VALU_DEP_1) | instskip(NEXT) | instid1(VALU_DEP_1)
	v_mul_lo_u32 v0, v3, s12
	v_sub_nc_u32_e32 v1, v8, v0
	s_delay_alu instid0(VALU_DEP_1)
	v_mul_lo_u32 v0, v1, s8
	v_mul_lo_u32 v2, v1, s9
	;; [unrolled: 1-line block ×3, first 2 shown]
	s_cbranch_vccnz .LBB73_1159
; %bb.1158:
	s_waitcnt vmcnt(0)
	v_mul_hi_u32 v4, s22, v3
	s_delay_alu instid0(VALU_DEP_1) | instskip(NEXT) | instid1(VALU_DEP_1)
	v_add_nc_u32_e32 v4, v3, v4
	v_lshrrev_b32_e32 v4, s23, v4
	s_delay_alu instid0(VALU_DEP_1) | instskip(NEXT) | instid1(VALU_DEP_1)
	v_mul_lo_u32 v4, v4, s15
	v_sub_nc_u32_e32 v11, v3, v4
	s_delay_alu instid0(VALU_DEP_1) | instskip(NEXT) | instid1(VALU_DEP_1)
	v_mad_u64_u32 v[3:4], null, v11, s11, v[0:1]
	v_mad_u64_u32 v[8:9], null, v11, s20, v[2:3]
	;; [unrolled: 1-line block ×3, first 2 shown]
	v_mov_b32_e32 v0, v3
	s_delay_alu instid0(VALU_DEP_2)
	v_dual_mov_b32 v2, v8 :: v_dual_mov_b32 v1, v9
.LBB73_1159:
	s_waitcnt vmcnt(0)
	v_and_b32_e32 v4, 0xff, v7
	s_waitcnt lgkmcnt(0)
	s_delay_alu instid0(VALU_DEP_2) | instskip(NEXT) | instid1(VALU_DEP_1)
	v_add_co_u32 v2, s2, s6, v2
	v_add_co_ci_u32_e64 v3, null, s7, 0, s2
	s_delay_alu instid0(VALU_DEP_3)
	v_cmp_gt_i16_e32 vcc_lo, 11, v4
	s_mov_b32 s6, 0
	s_cbranch_vccnz .LBB73_1166
; %bb.1160:
	v_cmp_lt_i16_e32 vcc_lo, 25, v4
	s_mov_b32 s3, 0
	s_cbranch_vccz .LBB73_1167
; %bb.1161:
	v_cmp_lt_i16_e32 vcc_lo, 28, v4
	s_cbranch_vccz .LBB73_1169
; %bb.1162:
	v_cmp_lt_i16_e32 vcc_lo, 43, v4
	;; [unrolled: 3-line block ×3, first 2 shown]
	s_cbranch_vccz .LBB73_1173
; %bb.1164:
	v_cmp_eq_u16_e32 vcc_lo, 46, v4
	s_mov_b32 s7, 0
	s_cbranch_vccz .LBB73_1246
; %bb.1165:
	global_load_b32 v7, v[2:3], off
	s_mov_b32 s2, 0
	s_mov_b32 s6, -1
	s_waitcnt vmcnt(0)
	v_lshlrev_b32_e32 v9, 16, v7
	s_branch .LBB73_1248
.LBB73_1166:
	s_mov_b32 s7, -1
	s_mov_b32 s3, 0
	s_mov_b32 s2, s43
                                        ; implicit-def: $vgpr9
	s_branch .LBB73_1313
.LBB73_1167:
	s_mov_b32 s7, -1
	s_mov_b32 s2, s43
                                        ; implicit-def: $vgpr9
	s_branch .LBB73_1279
.LBB73_1168:
	s_mov_b32 s2, s39
	s_branch .LBB73_1202
.LBB73_1169:
	s_mov_b32 s7, -1
	s_mov_b32 s2, s43
                                        ; implicit-def: $vgpr9
	s_branch .LBB73_1260
.LBB73_1170:
	s_mov_b32 s2, s39
	s_branch .LBB73_1185
.LBB73_1171:
	s_mov_b32 s7, -1
	s_mov_b32 s2, s43
                                        ; implicit-def: $vgpr9
	s_branch .LBB73_1255
.LBB73_1172:
	s_mov_b32 s2, s39
	s_branch .LBB73_1181
.LBB73_1173:
	s_mov_b32 s7, -1
	s_mov_b32 s2, s43
	s_branch .LBB73_1247
.LBB73_1174:
	s_mov_b32 s2, s39
.LBB73_1175:
	s_and_b32 vcc_lo, exec_lo, s45
	s_cbranch_vccz .LBB73_1180
; %bb.1176:
	v_cmp_eq_u16_e32 vcc_lo, 44, v9
	s_mov_b32 s2, -1
	s_cbranch_vccz .LBB73_1180
; %bb.1177:
	v_bfe_u32 v2, v1, 23, 8
	v_mov_b32_e32 v0, 0xff
	s_mov_b32 s3, exec_lo
	s_delay_alu instid0(VALU_DEP_2)
	v_cmpx_ne_u32_e32 0xff, v2
; %bb.1178:
	v_and_b32_e32 v0, 0x400000, v1
	v_and_or_b32 v2, 0x3fffff, v1, v2
	s_delay_alu instid0(VALU_DEP_2) | instskip(NEXT) | instid1(VALU_DEP_2)
	v_cmp_ne_u32_e32 vcc_lo, 0, v0
	v_cmp_ne_u32_e64 s2, 0, v2
	v_lshrrev_b32_e32 v0, 23, v1
	s_delay_alu instid0(VALU_DEP_2) | instskip(NEXT) | instid1(SALU_CYCLE_1)
	s_and_b32 s2, vcc_lo, s2
	v_cndmask_b32_e64 v2, 0, 1, s2
	s_delay_alu instid0(VALU_DEP_1)
	v_add_nc_u32_e32 v0, v0, v2
; %bb.1179:
	s_or_b32 exec_lo, exec_lo, s3
	s_mov_b32 s3, -1
	s_mov_b32 s2, 0
	global_store_b8 v[3:4], v0, off
.LBB73_1180:
	s_mov_b32 s45, 0
.LBB73_1181:
	s_delay_alu instid0(SALU_CYCLE_1)
	s_and_b32 vcc_lo, exec_lo, s45
	s_cbranch_vccz .LBB73_1184
; %bb.1182:
	v_cmp_eq_u16_e32 vcc_lo, 29, v9
	s_mov_b32 s2, -1
	s_cbranch_vccz .LBB73_1184
; %bb.1183:
	v_trunc_f32_e32 v0, v1
	s_mov_b32 s3, -1
	s_mov_b32 s2, 0
	s_mov_b32 s45, 0
	s_delay_alu instid0(VALU_DEP_1) | instskip(NEXT) | instid1(VALU_DEP_1)
	v_mul_f32_e32 v2, 0x2f800000, v0
	v_floor_f32_e32 v2, v2
	s_delay_alu instid0(VALU_DEP_1) | instskip(SKIP_1) | instid1(VALU_DEP_2)
	v_fmamk_f32 v0, v2, 0xcf800000, v0
	v_cvt_u32_f32_e32 v11, v2
	v_cvt_u32_f32_e32 v10, v0
	global_store_b64 v[3:4], v[10:11], off
	s_branch .LBB73_1185
.LBB73_1184:
	s_mov_b32 s45, 0
.LBB73_1185:
	s_delay_alu instid0(SALU_CYCLE_1)
	s_and_b32 vcc_lo, exec_lo, s45
	s_cbranch_vccz .LBB73_1201
; %bb.1186:
	v_cmp_gt_i16_e32 vcc_lo, 27, v9
	s_mov_b32 s3, -1
	s_cbranch_vccnz .LBB73_1192
; %bb.1187:
	v_cmp_lt_i16_e32 vcc_lo, 27, v9
	v_cvt_u32_f32_e32 v0, v1
	s_cbranch_vccz .LBB73_1189
; %bb.1188:
	s_mov_b32 s3, 0
	global_store_b32 v[3:4], v0, off
.LBB73_1189:
	s_and_not1_b32 vcc_lo, exec_lo, s3
	s_cbranch_vccnz .LBB73_1191
; %bb.1190:
	global_store_b16 v[3:4], v0, off
.LBB73_1191:
	s_mov_b32 s3, 0
.LBB73_1192:
	s_delay_alu instid0(SALU_CYCLE_1)
	s_and_not1_b32 vcc_lo, exec_lo, s3
	s_cbranch_vccnz .LBB73_1200
; %bb.1193:
	v_and_b32_e32 v0, 0x7fffffff, v1
	v_mov_b32_e32 v2, 0x80
	s_mov_b32 s3, exec_lo
	s_delay_alu instid0(VALU_DEP_2)
	v_cmpx_gt_u32_e32 0x43800000, v0
	s_cbranch_execz .LBB73_1199
; %bb.1194:
	v_cmp_lt_u32_e32 vcc_lo, 0x3bffffff, v0
	s_mov_b32 s45, 0
                                        ; implicit-def: $vgpr0
	s_and_saveexec_b32 s46, vcc_lo
	s_delay_alu instid0(SALU_CYCLE_1)
	s_xor_b32 s46, exec_lo, s46
	s_cbranch_execz .LBB73_1251
; %bb.1195:
	v_bfe_u32 v0, v1, 20, 1
	s_mov_b32 s45, exec_lo
	s_delay_alu instid0(VALU_DEP_1) | instskip(NEXT) | instid1(VALU_DEP_1)
	v_add3_u32 v0, v1, v0, 0x487ffff
	v_lshrrev_b32_e32 v0, 20, v0
	s_or_saveexec_b32 s46, s46
                                        ; implicit-def: $sgpr47
	s_delay_alu instid0(SALU_CYCLE_1)
	s_xor_b32 exec_lo, exec_lo, s46
	s_cbranch_execnz .LBB73_1252
.LBB73_1196:
	s_or_b32 exec_lo, exec_lo, s46
	v_mov_b32_e32 v2, s47
	s_and_saveexec_b32 s46, s45
.LBB73_1197:
	v_lshrrev_b32_e32 v2, 24, v1
	s_delay_alu instid0(VALU_DEP_1)
	v_and_or_b32 v2, 0x80, v2, v0
.LBB73_1198:
	s_or_b32 exec_lo, exec_lo, s46
.LBB73_1199:
	s_delay_alu instid0(SALU_CYCLE_1)
	s_or_b32 exec_lo, exec_lo, s3
	global_store_b8 v[3:4], v2, off
.LBB73_1200:
	s_mov_b32 s3, -1
.LBB73_1201:
	s_mov_b32 s45, 0
.LBB73_1202:
	s_delay_alu instid0(SALU_CYCLE_1)
	s_and_b32 vcc_lo, exec_lo, s45
	s_cbranch_vccz .LBB73_1243
; %bb.1203:
	v_cmp_lt_i16_e32 vcc_lo, 22, v9
	s_mov_b32 s45, -1
	s_cbranch_vccz .LBB73_1235
; %bb.1204:
	v_cmp_gt_i16_e32 vcc_lo, 24, v9
	s_mov_b32 s3, -1
	s_cbranch_vccnz .LBB73_1224
; %bb.1205:
	v_cmp_lt_i16_e32 vcc_lo, 24, v9
	s_cbranch_vccz .LBB73_1213
; %bb.1206:
	v_and_b32_e32 v0, 0x7fffffff, v1
	v_mov_b32_e32 v2, 0x80
	s_mov_b32 s3, exec_lo
	s_delay_alu instid0(VALU_DEP_2)
	v_cmpx_gt_u32_e32 0x47800000, v0
	s_cbranch_execz .LBB73_1212
; %bb.1207:
	v_cmp_lt_u32_e32 vcc_lo, 0x37ffffff, v0
	s_mov_b32 s45, 0
                                        ; implicit-def: $vgpr0
	s_and_saveexec_b32 s46, vcc_lo
	s_delay_alu instid0(SALU_CYCLE_1)
	s_xor_b32 s46, exec_lo, s46
	s_cbranch_execz .LBB73_2376
; %bb.1208:
	v_bfe_u32 v0, v1, 21, 1
	s_mov_b32 s45, exec_lo
	s_delay_alu instid0(VALU_DEP_1) | instskip(NEXT) | instid1(VALU_DEP_1)
	v_add3_u32 v0, v1, v0, 0x88fffff
	v_lshrrev_b32_e32 v0, 21, v0
	s_or_saveexec_b32 s46, s46
                                        ; implicit-def: $sgpr47
	s_delay_alu instid0(SALU_CYCLE_1)
	s_xor_b32 exec_lo, exec_lo, s46
	s_cbranch_execnz .LBB73_2377
.LBB73_1209:
	s_or_b32 exec_lo, exec_lo, s46
	v_mov_b32_e32 v2, s47
	s_and_saveexec_b32 s46, s45
.LBB73_1210:
	v_lshrrev_b32_e32 v2, 24, v1
	s_delay_alu instid0(VALU_DEP_1)
	v_and_or_b32 v2, 0x80, v2, v0
.LBB73_1211:
	s_or_b32 exec_lo, exec_lo, s46
.LBB73_1212:
	s_delay_alu instid0(SALU_CYCLE_1)
	s_or_b32 exec_lo, exec_lo, s3
	s_mov_b32 s3, 0
	global_store_b8 v[3:4], v2, off
.LBB73_1213:
	s_and_b32 vcc_lo, exec_lo, s3
	s_cbranch_vccz .LBB73_1223
; %bb.1214:
	v_and_b32_e32 v2, 0x7fffffff, v1
	s_mov_b32 s3, exec_lo
                                        ; implicit-def: $vgpr0
	s_delay_alu instid0(VALU_DEP_1)
	v_cmpx_gt_u32_e32 0x43f00000, v2
	s_xor_b32 s3, exec_lo, s3
	s_cbranch_execz .LBB73_1220
; %bb.1215:
	s_mov_b32 s45, exec_lo
                                        ; implicit-def: $vgpr0
	v_cmpx_lt_u32_e32 0x3c7fffff, v2
	s_xor_b32 s45, exec_lo, s45
; %bb.1216:
	v_bfe_u32 v0, v1, 20, 1
	s_delay_alu instid0(VALU_DEP_1) | instskip(NEXT) | instid1(VALU_DEP_1)
	v_add3_u32 v0, v1, v0, 0x407ffff
	v_and_b32_e32 v2, 0xff00000, v0
	v_lshrrev_b32_e32 v0, 20, v0
	s_delay_alu instid0(VALU_DEP_2) | instskip(NEXT) | instid1(VALU_DEP_2)
	v_cmp_ne_u32_e32 vcc_lo, 0x7f00000, v2
	v_cndmask_b32_e32 v0, 0x7e, v0, vcc_lo
; %bb.1217:
	s_and_not1_saveexec_b32 s45, s45
; %bb.1218:
	v_add_f32_e64 v0, 0x46800000, |v1|
; %bb.1219:
	s_or_b32 exec_lo, exec_lo, s45
                                        ; implicit-def: $vgpr2
.LBB73_1220:
	s_and_not1_saveexec_b32 s3, s3
; %bb.1221:
	v_mov_b32_e32 v0, 0x7f
	v_cmp_lt_u32_e32 vcc_lo, 0x7f800000, v2
	s_delay_alu instid0(VALU_DEP_2)
	v_cndmask_b32_e32 v0, 0x7e, v0, vcc_lo
; %bb.1222:
	s_or_b32 exec_lo, exec_lo, s3
	v_lshrrev_b32_e32 v2, 24, v1
	s_delay_alu instid0(VALU_DEP_1)
	v_and_or_b32 v0, 0x80, v2, v0
	global_store_b8 v[3:4], v0, off
.LBB73_1223:
	s_mov_b32 s3, 0
.LBB73_1224:
	s_delay_alu instid0(SALU_CYCLE_1)
	s_and_not1_b32 vcc_lo, exec_lo, s3
	s_cbranch_vccnz .LBB73_1234
; %bb.1225:
	v_and_b32_e32 v2, 0x7fffffff, v1
	s_mov_b32 s3, exec_lo
                                        ; implicit-def: $vgpr0
	s_delay_alu instid0(VALU_DEP_1)
	v_cmpx_gt_u32_e32 0x47800000, v2
	s_xor_b32 s3, exec_lo, s3
	s_cbranch_execz .LBB73_1231
; %bb.1226:
	s_mov_b32 s45, exec_lo
                                        ; implicit-def: $vgpr0
	v_cmpx_lt_u32_e32 0x387fffff, v2
	s_xor_b32 s45, exec_lo, s45
; %bb.1227:
	v_bfe_u32 v0, v1, 21, 1
	s_delay_alu instid0(VALU_DEP_1) | instskip(NEXT) | instid1(VALU_DEP_1)
	v_add3_u32 v0, v1, v0, 0x80fffff
	v_lshrrev_b32_e32 v0, 21, v0
; %bb.1228:
	s_and_not1_saveexec_b32 s45, s45
; %bb.1229:
	v_add_f32_e64 v0, 0x43000000, |v1|
; %bb.1230:
	s_or_b32 exec_lo, exec_lo, s45
                                        ; implicit-def: $vgpr2
.LBB73_1231:
	s_and_not1_saveexec_b32 s3, s3
; %bb.1232:
	v_mov_b32_e32 v0, 0x7f
	v_cmp_lt_u32_e32 vcc_lo, 0x7f800000, v2
	s_delay_alu instid0(VALU_DEP_2)
	v_cndmask_b32_e32 v0, 0x7c, v0, vcc_lo
; %bb.1233:
	s_or_b32 exec_lo, exec_lo, s3
	v_lshrrev_b32_e32 v2, 24, v1
	s_delay_alu instid0(VALU_DEP_1)
	v_and_or_b32 v0, 0x80, v2, v0
	global_store_b8 v[3:4], v0, off
.LBB73_1234:
	s_mov_b32 s45, 0
	s_mov_b32 s3, -1
.LBB73_1235:
	s_and_not1_b32 vcc_lo, exec_lo, s45
	s_cbranch_vccnz .LBB73_1243
; %bb.1236:
	v_cmp_lt_i16_e32 vcc_lo, 14, v9
	s_mov_b32 s45, -1
	s_cbranch_vccz .LBB73_1240
; %bb.1237:
	v_cmp_eq_u16_e32 vcc_lo, 15, v9
	s_mov_b32 s2, -1
	s_cbranch_vccz .LBB73_1239
; %bb.1238:
	v_bfe_u32 v0, v1, 16, 1
	v_cmp_o_f32_e32 vcc_lo, v1, v1
	s_mov_b32 s3, -1
	s_mov_b32 s2, 0
	s_delay_alu instid0(VALU_DEP_2) | instskip(NEXT) | instid1(VALU_DEP_1)
	v_add3_u32 v0, v1, v0, 0x7fff
	v_lshrrev_b32_e32 v0, 16, v0
	s_delay_alu instid0(VALU_DEP_1)
	v_cndmask_b32_e32 v0, 0x7fc0, v0, vcc_lo
	global_store_b16 v[3:4], v0, off
.LBB73_1239:
	s_mov_b32 s45, 0
.LBB73_1240:
	s_delay_alu instid0(SALU_CYCLE_1)
	s_and_b32 vcc_lo, exec_lo, s45
	s_cbranch_vccz .LBB73_1243
; %bb.1241:
	v_cmp_eq_u16_e32 vcc_lo, 11, v9
	s_mov_b32 s2, -1
	s_cbranch_vccz .LBB73_1243
; %bb.1242:
	v_cmp_neq_f32_e32 vcc_lo, 0, v1
	s_mov_b32 s2, 0
	s_mov_b32 s3, -1
	v_cndmask_b32_e64 v0, 0, 1, vcc_lo
	global_store_b8 v[3:4], v0, off
.LBB73_1243:
.LBB73_1244:
	s_and_not1_b32 vcc_lo, exec_lo, s3
	s_cbranch_vccnz .LBB73_1144
.LBB73_1245:
	v_add_nc_u32_e32 v8, 0x80, v8
	s_mov_b32 s3, -1
	s_branch .LBB73_1146
.LBB73_1246:
	s_mov_b32 s2, -1
.LBB73_1247:
                                        ; implicit-def: $vgpr9
.LBB73_1248:
	s_and_b32 vcc_lo, exec_lo, s7
	s_cbranch_vccz .LBB73_1254
; %bb.1249:
	v_cmp_eq_u16_e32 vcc_lo, 44, v4
	s_cbranch_vccz .LBB73_1253
; %bb.1250:
	global_load_u8 v7, v[2:3], off
	s_mov_b32 s2, 0
	s_mov_b32 s6, -1
	s_waitcnt vmcnt(0)
	v_lshlrev_b32_e32 v8, 23, v7
	v_cmp_ne_u32_e32 vcc_lo, 0xff, v7
	s_delay_alu instid0(VALU_DEP_2) | instskip(SKIP_1) | instid1(VALU_DEP_2)
	v_cndmask_b32_e32 v8, 0x7f800001, v8, vcc_lo
	v_cmp_ne_u32_e32 vcc_lo, 0, v7
	v_cndmask_b32_e32 v9, 0x400000, v8, vcc_lo
	s_branch .LBB73_1254
.LBB73_1251:
	s_or_saveexec_b32 s46, s46
                                        ; implicit-def: $sgpr47
	s_delay_alu instid0(SALU_CYCLE_1)
	s_xor_b32 exec_lo, exec_lo, s46
	s_cbranch_execz .LBB73_1196
.LBB73_1252:
	v_add_f32_e64 v0, 0x46000000, |v1|
	s_and_not1_b32 s45, s45, exec_lo
	s_mov_b32 s47, 0
	s_delay_alu instid0(VALU_DEP_1) | instskip(NEXT) | instid1(VALU_DEP_1)
	v_and_b32_e32 v0, 0xff, v0
	v_cmp_ne_u32_e32 vcc_lo, 0, v0
	s_and_b32 s48, vcc_lo, exec_lo
	s_delay_alu instid0(SALU_CYCLE_1)
	s_or_b32 s45, s45, s48
	s_or_b32 exec_lo, exec_lo, s46
	v_mov_b32_e32 v2, s47
	s_and_saveexec_b32 s46, s45
	s_cbranch_execnz .LBB73_1197
	s_branch .LBB73_1198
.LBB73_1253:
	s_mov_b32 s2, -1
                                        ; implicit-def: $vgpr9
.LBB73_1254:
	s_mov_b32 s7, 0
.LBB73_1255:
	s_delay_alu instid0(SALU_CYCLE_1)
	s_and_b32 vcc_lo, exec_lo, s7
	s_cbranch_vccz .LBB73_1259
; %bb.1256:
	v_cmp_eq_u16_e32 vcc_lo, 29, v4
	s_cbranch_vccz .LBB73_1258
; %bb.1257:
	global_load_b64 v[7:8], v[2:3], off
	s_mov_b32 s2, 0
	s_mov_b32 s6, -1
	s_mov_b32 s7, 0
	s_waitcnt vmcnt(0)
	v_clz_i32_u32_e32 v9, v8
	s_delay_alu instid0(VALU_DEP_1) | instskip(NEXT) | instid1(VALU_DEP_1)
	v_min_u32_e32 v9, 32, v9
	v_lshlrev_b64 v[7:8], v9, v[7:8]
	s_delay_alu instid0(VALU_DEP_1) | instskip(NEXT) | instid1(VALU_DEP_1)
	v_min_u32_e32 v7, 1, v7
	v_or_b32_e32 v7, v8, v7
	v_sub_nc_u32_e32 v8, 32, v9
	s_delay_alu instid0(VALU_DEP_2) | instskip(NEXT) | instid1(VALU_DEP_1)
	v_cvt_f32_u32_e32 v7, v7
	v_ldexp_f32 v9, v7, v8
	s_branch .LBB73_1260
.LBB73_1258:
	s_mov_b32 s2, -1
                                        ; implicit-def: $vgpr9
.LBB73_1259:
	s_mov_b32 s7, 0
.LBB73_1260:
	s_delay_alu instid0(SALU_CYCLE_1)
	s_and_b32 vcc_lo, exec_lo, s7
	s_cbranch_vccz .LBB73_1278
; %bb.1261:
	v_cmp_gt_i16_e32 vcc_lo, 27, v4
	s_cbranch_vccnz .LBB73_1264
; %bb.1262:
	v_cmp_lt_i16_e32 vcc_lo, 27, v4
	s_cbranch_vccz .LBB73_1265
; %bb.1263:
	global_load_b32 v7, v[2:3], off
	s_mov_b32 s6, 0
	s_waitcnt vmcnt(0)
	v_cvt_f32_u32_e32 v9, v7
	s_branch .LBB73_1266
.LBB73_1264:
	s_mov_b32 s6, -1
                                        ; implicit-def: $vgpr9
	s_branch .LBB73_1269
.LBB73_1265:
	s_mov_b32 s6, -1
                                        ; implicit-def: $vgpr9
.LBB73_1266:
	s_delay_alu instid0(SALU_CYCLE_1)
	s_and_not1_b32 vcc_lo, exec_lo, s6
	s_cbranch_vccnz .LBB73_1268
; %bb.1267:
	global_load_u16 v7, v[2:3], off
	s_waitcnt vmcnt(0)
	v_cvt_f32_u32_e32 v9, v7
.LBB73_1268:
	s_mov_b32 s6, 0
.LBB73_1269:
	s_delay_alu instid0(SALU_CYCLE_1)
	s_and_not1_b32 vcc_lo, exec_lo, s6
	s_cbranch_vccnz .LBB73_1277
; %bb.1270:
	global_load_u8 v7, v[2:3], off
	s_mov_b32 s6, 0
	s_mov_b32 s8, exec_lo
                                        ; implicit-def: $sgpr7
	s_waitcnt vmcnt(0)
	v_cmpx_lt_i16_e32 0x7f, v7
	s_xor_b32 s8, exec_lo, s8
	s_cbranch_execz .LBB73_1291
; %bb.1271:
	s_mov_b32 s6, -1
	s_mov_b32 s9, exec_lo
                                        ; implicit-def: $sgpr7
	v_cmpx_eq_u16_e32 0x80, v7
; %bb.1272:
	s_mov_b32 s7, 0x7f800001
	s_xor_b32 s6, exec_lo, -1
; %bb.1273:
	s_or_b32 exec_lo, exec_lo, s9
	s_delay_alu instid0(SALU_CYCLE_1)
	s_and_b32 s6, s6, exec_lo
	s_or_saveexec_b32 s8, s8
	v_mov_b32_e32 v9, s7
	s_xor_b32 exec_lo, exec_lo, s8
	s_cbranch_execnz .LBB73_1292
.LBB73_1274:
	s_or_b32 exec_lo, exec_lo, s8
	s_and_saveexec_b32 s7, s6
	s_cbranch_execz .LBB73_1276
.LBB73_1275:
	v_and_b32_e32 v8, 0xffff, v7
	v_lshlrev_b32_e32 v7, 24, v7
	s_delay_alu instid0(VALU_DEP_2) | instskip(NEXT) | instid1(VALU_DEP_2)
	v_and_b32_e32 v9, 7, v8
	v_and_b32_e32 v7, 0x80000000, v7
	s_delay_alu instid0(VALU_DEP_2) | instskip(NEXT) | instid1(VALU_DEP_1)
	v_clz_i32_u32_e32 v10, v9
	v_min_u32_e32 v10, 32, v10
	s_delay_alu instid0(VALU_DEP_1) | instskip(SKIP_1) | instid1(VALU_DEP_2)
	v_subrev_nc_u32_e32 v11, 28, v10
	v_sub_nc_u32_e32 v10, 29, v10
	v_lshlrev_b32_e32 v11, v11, v8
	v_bfe_u32 v8, v8, 3, 4
	s_delay_alu instid0(VALU_DEP_2) | instskip(NEXT) | instid1(VALU_DEP_2)
	v_and_b32_e32 v11, 7, v11
	v_cmp_eq_u32_e32 vcc_lo, 0, v8
	s_delay_alu instid0(VALU_DEP_2) | instskip(NEXT) | instid1(VALU_DEP_1)
	v_dual_cndmask_b32 v8, v8, v10 :: v_dual_cndmask_b32 v9, v9, v11
	v_lshl_add_u32 v8, v8, 23, 0x3b800000
	s_delay_alu instid0(VALU_DEP_2) | instskip(NEXT) | instid1(VALU_DEP_1)
	v_lshlrev_b32_e32 v9, 20, v9
	v_or3_b32 v9, v7, v8, v9
.LBB73_1276:
	s_or_b32 exec_lo, exec_lo, s7
.LBB73_1277:
	s_mov_b32 s6, -1
.LBB73_1278:
	s_mov_b32 s7, 0
.LBB73_1279:
	s_delay_alu instid0(SALU_CYCLE_1)
	s_and_b32 vcc_lo, exec_lo, s7
	s_cbranch_vccz .LBB73_1312
; %bb.1280:
	v_cmp_lt_i16_e32 vcc_lo, 22, v4
	s_cbranch_vccz .LBB73_1290
; %bb.1281:
	v_cmp_gt_i16_e32 vcc_lo, 24, v4
	s_cbranch_vccnz .LBB73_1293
; %bb.1282:
	v_cmp_lt_i16_e32 vcc_lo, 24, v4
	s_cbranch_vccz .LBB73_1294
; %bb.1283:
	global_load_u8 v7, v[2:3], off
	s_mov_b32 s7, exec_lo
                                        ; implicit-def: $sgpr6
	s_waitcnt vmcnt(0)
	v_cmpx_lt_i16_e32 0x7f, v7
	s_xor_b32 s7, exec_lo, s7
	s_cbranch_execz .LBB73_1306
; %bb.1284:
	s_mov_b32 s3, -1
	s_mov_b32 s8, exec_lo
                                        ; implicit-def: $sgpr6
	v_cmpx_eq_u16_e32 0x80, v7
; %bb.1285:
	s_mov_b32 s6, 0x7f800001
	s_xor_b32 s3, exec_lo, -1
; %bb.1286:
	s_or_b32 exec_lo, exec_lo, s8
	s_delay_alu instid0(SALU_CYCLE_1)
	s_and_b32 s3, s3, exec_lo
	s_or_saveexec_b32 s7, s7
	v_mov_b32_e32 v9, s6
	s_xor_b32 exec_lo, exec_lo, s7
	s_cbranch_execnz .LBB73_1307
.LBB73_1287:
	s_or_b32 exec_lo, exec_lo, s7
	s_and_saveexec_b32 s6, s3
	s_cbranch_execz .LBB73_1289
.LBB73_1288:
	v_and_b32_e32 v8, 0xffff, v7
	v_lshlrev_b32_e32 v7, 24, v7
	s_delay_alu instid0(VALU_DEP_2) | instskip(NEXT) | instid1(VALU_DEP_2)
	v_and_b32_e32 v9, 3, v8
	v_and_b32_e32 v7, 0x80000000, v7
	s_delay_alu instid0(VALU_DEP_2) | instskip(NEXT) | instid1(VALU_DEP_1)
	v_clz_i32_u32_e32 v10, v9
	v_min_u32_e32 v10, 32, v10
	s_delay_alu instid0(VALU_DEP_1) | instskip(SKIP_1) | instid1(VALU_DEP_2)
	v_subrev_nc_u32_e32 v11, 29, v10
	v_sub_nc_u32_e32 v10, 30, v10
	v_lshlrev_b32_e32 v11, v11, v8
	v_bfe_u32 v8, v8, 2, 5
	s_delay_alu instid0(VALU_DEP_2) | instskip(NEXT) | instid1(VALU_DEP_2)
	v_and_b32_e32 v11, 3, v11
	v_cmp_eq_u32_e32 vcc_lo, 0, v8
	s_delay_alu instid0(VALU_DEP_2) | instskip(NEXT) | instid1(VALU_DEP_1)
	v_dual_cndmask_b32 v8, v8, v10 :: v_dual_cndmask_b32 v9, v9, v11
	v_lshl_add_u32 v8, v8, 23, 0x37800000
	s_delay_alu instid0(VALU_DEP_2) | instskip(NEXT) | instid1(VALU_DEP_1)
	v_lshlrev_b32_e32 v9, 21, v9
	v_or3_b32 v9, v7, v8, v9
.LBB73_1289:
	s_or_b32 exec_lo, exec_lo, s6
	s_mov_b32 s3, 0
	s_branch .LBB73_1295
.LBB73_1290:
	s_mov_b32 s3, -1
                                        ; implicit-def: $vgpr9
	s_branch .LBB73_1301
.LBB73_1291:
	s_or_saveexec_b32 s8, s8
	v_mov_b32_e32 v9, s7
	s_xor_b32 exec_lo, exec_lo, s8
	s_cbranch_execz .LBB73_1274
.LBB73_1292:
	v_cmp_ne_u16_e32 vcc_lo, 0, v7
	v_mov_b32_e32 v9, 0
	s_and_not1_b32 s6, s6, exec_lo
	s_and_b32 s7, vcc_lo, exec_lo
	s_delay_alu instid0(SALU_CYCLE_1)
	s_or_b32 s6, s6, s7
	s_or_b32 exec_lo, exec_lo, s8
	s_and_saveexec_b32 s7, s6
	s_cbranch_execnz .LBB73_1275
	s_branch .LBB73_1276
.LBB73_1293:
	s_mov_b32 s3, -1
                                        ; implicit-def: $vgpr9
	s_branch .LBB73_1298
.LBB73_1294:
	s_mov_b32 s3, -1
                                        ; implicit-def: $vgpr9
.LBB73_1295:
	s_delay_alu instid0(SALU_CYCLE_1)
	s_and_b32 vcc_lo, exec_lo, s3
	s_cbranch_vccz .LBB73_1297
; %bb.1296:
	global_load_u8 v7, v[2:3], off
	s_waitcnt vmcnt(0)
	v_lshlrev_b32_e32 v7, 24, v7
	s_delay_alu instid0(VALU_DEP_1) | instskip(NEXT) | instid1(VALU_DEP_1)
	v_and_b32_e32 v8, 0x7f000000, v7
	v_clz_i32_u32_e32 v9, v8
	v_add_nc_u32_e32 v11, 0x1000000, v8
	v_cmp_ne_u32_e32 vcc_lo, 0, v8
	s_delay_alu instid0(VALU_DEP_3) | instskip(NEXT) | instid1(VALU_DEP_1)
	v_min_u32_e32 v9, 32, v9
	v_sub_nc_u32_e64 v9, v9, 4 clamp
	s_delay_alu instid0(VALU_DEP_1) | instskip(SKIP_1) | instid1(VALU_DEP_2)
	v_lshlrev_b32_e32 v10, v9, v8
	v_lshlrev_b32_e32 v9, 23, v9
	v_lshrrev_b32_e32 v10, 4, v10
	s_delay_alu instid0(VALU_DEP_1) | instskip(SKIP_1) | instid1(VALU_DEP_2)
	v_sub_nc_u32_e32 v9, v10, v9
	v_ashrrev_i32_e32 v10, 8, v11
	v_add_nc_u32_e32 v9, 0x3c000000, v9
	s_delay_alu instid0(VALU_DEP_1) | instskip(NEXT) | instid1(VALU_DEP_1)
	v_and_or_b32 v9, 0x7f800000, v10, v9
	v_cndmask_b32_e32 v8, 0, v9, vcc_lo
	s_delay_alu instid0(VALU_DEP_1)
	v_and_or_b32 v9, 0x80000000, v7, v8
.LBB73_1297:
	s_mov_b32 s3, 0
.LBB73_1298:
	s_delay_alu instid0(SALU_CYCLE_1)
	s_and_not1_b32 vcc_lo, exec_lo, s3
	s_cbranch_vccnz .LBB73_1300
; %bb.1299:
	global_load_u8 v7, v[2:3], off
	s_waitcnt vmcnt(0)
	v_lshlrev_b32_e32 v8, 25, v7
	v_lshlrev_b16 v7, 8, v7
	s_delay_alu instid0(VALU_DEP_2) | instskip(NEXT) | instid1(VALU_DEP_2)
	v_lshrrev_b32_e32 v9, 4, v8
	v_and_or_b32 v10, 0x7f00, v7, 0.5
	v_bfe_i32 v7, v7, 0, 16
	s_delay_alu instid0(VALU_DEP_3) | instskip(NEXT) | instid1(VALU_DEP_1)
	v_or_b32_e32 v9, 0x70000000, v9
	v_dual_add_f32 v10, -0.5, v10 :: v_dual_mul_f32 v9, 0x7800000, v9
	v_cmp_gt_u32_e32 vcc_lo, 0x8000000, v8
	s_delay_alu instid0(VALU_DEP_2) | instskip(NEXT) | instid1(VALU_DEP_1)
	v_cndmask_b32_e32 v8, v9, v10, vcc_lo
	v_and_or_b32 v9, 0x80000000, v7, v8
.LBB73_1300:
	s_mov_b32 s3, 0
	s_mov_b32 s6, -1
.LBB73_1301:
	s_and_not1_b32 vcc_lo, exec_lo, s3
	s_mov_b32 s3, 0
	s_cbranch_vccnz .LBB73_1312
; %bb.1302:
	v_cmp_lt_i16_e32 vcc_lo, 14, v4
	s_cbranch_vccz .LBB73_1305
; %bb.1303:
	v_cmp_eq_u16_e32 vcc_lo, 15, v4
	s_cbranch_vccz .LBB73_1308
; %bb.1304:
	global_load_u16 v7, v[2:3], off
	s_mov_b32 s2, 0
	s_mov_b32 s6, -1
	s_waitcnt vmcnt(0)
	v_lshlrev_b32_e32 v9, 16, v7
	s_branch .LBB73_1310
.LBB73_1305:
	s_mov_b32 s3, -1
	s_branch .LBB73_1309
.LBB73_1306:
	s_or_saveexec_b32 s7, s7
	v_mov_b32_e32 v9, s6
	s_xor_b32 exec_lo, exec_lo, s7
	s_cbranch_execz .LBB73_1287
.LBB73_1307:
	v_cmp_ne_u16_e32 vcc_lo, 0, v7
	v_mov_b32_e32 v9, 0
	s_and_not1_b32 s3, s3, exec_lo
	s_and_b32 s6, vcc_lo, exec_lo
	s_delay_alu instid0(SALU_CYCLE_1)
	s_or_b32 s3, s3, s6
	s_or_b32 exec_lo, exec_lo, s7
	s_and_saveexec_b32 s6, s3
	s_cbranch_execnz .LBB73_1288
	s_branch .LBB73_1289
.LBB73_1308:
	s_mov_b32 s2, -1
.LBB73_1309:
                                        ; implicit-def: $vgpr9
.LBB73_1310:
	s_and_b32 vcc_lo, exec_lo, s3
	s_mov_b32 s3, 0
	s_cbranch_vccz .LBB73_1312
; %bb.1311:
	v_cmp_ne_u16_e32 vcc_lo, 11, v4
	s_and_not1_b32 s2, s2, exec_lo
	s_mov_b32 s3, -1
                                        ; implicit-def: $vgpr9
	s_and_b32 s7, vcc_lo, exec_lo
	s_delay_alu instid0(SALU_CYCLE_1)
	s_or_b32 s2, s2, s7
.LBB73_1312:
	s_mov_b32 s7, 0
.LBB73_1313:
	s_and_b32 s48, s6, exec_lo
	s_and_b32 s46, s7, exec_lo
	s_and_not1_b32 s6, s43, exec_lo
	s_and_b32 s7, s2, exec_lo
	s_and_b32 s2, s3, exec_lo
	s_or_b32 s47, s6, s7
.LBB73_1314:
	s_or_b32 exec_lo, exec_lo, s31
	s_waitcnt lgkmcnt(0)
	s_and_not1_b32 s6, s43, exec_lo
	s_and_b32 s7, s47, exec_lo
	s_and_b32 s3, s48, exec_lo
	;; [unrolled: 1-line block ×4, first 2 shown]
	s_or_b32 s43, s6, s7
.LBB73_1315:
	s_or_b32 exec_lo, exec_lo, s42
	s_waitcnt lgkmcnt(0)
	s_and_not1_b32 s6, s39, exec_lo
	s_and_b32 s7, s45, exec_lo
	s_and_not1_b32 s8, s40, exec_lo
	s_and_b32 s9, s44, exec_lo
	s_or_b32 s39, s6, s7
	s_and_not1_b32 s6, s38, exec_lo
	s_and_b32 s7, s43, exec_lo
	s_or_b32 s40, s8, s9
	s_and_b32 s3, s3, exec_lo
	s_and_b32 s42, s46, exec_lo
	;; [unrolled: 1-line block ×3, first 2 shown]
	s_or_b32 s38, s6, s7
.LBB73_1316:
	s_or_b32 exec_lo, exec_lo, s41
	s_waitcnt lgkmcnt(0)
	s_and_not1_b32 s6, s34, exec_lo
	s_and_b32 s7, s39, exec_lo
	s_and_not1_b32 s8, s35, exec_lo
	s_and_b32 s9, s40, exec_lo
	s_or_b32 s34, s6, s7
	s_and_not1_b32 s6, s36, exec_lo
	s_and_b32 s7, s38, exec_lo
	s_or_b32 s35, s8, s9
	s_and_b32 s3, s3, exec_lo
	s_and_b32 s39, s42, exec_lo
	;; [unrolled: 1-line block ×3, first 2 shown]
	s_or_b32 s36, s6, s7
.LBB73_1317:
	s_or_b32 exec_lo, exec_lo, s37
	s_waitcnt lgkmcnt(0)
	s_mov_b32 s6, 0
	s_and_saveexec_b32 s2, s36
	s_cbranch_execnz .LBB73_1329
; %bb.1318:
	s_or_b32 exec_lo, exec_lo, s2
	s_and_saveexec_b32 s2, s38
	s_delay_alu instid0(SALU_CYCLE_1)
	s_xor_b32 s2, exec_lo, s2
	s_cbranch_execz .LBB73_1320
.LBB73_1319:
	global_load_u8 v7, v[2:3], off
	s_or_b32 s3, s3, exec_lo
	s_waitcnt vmcnt(0)
	v_cmp_ne_u16_e32 vcc_lo, 0, v7
	v_cndmask_b32_e64 v9, 0, 1.0, vcc_lo
.LBB73_1320:
	s_or_b32 exec_lo, exec_lo, s2
	s_and_saveexec_b32 s2, s39
	s_cbranch_execz .LBB73_1368
; %bb.1321:
	s_waitcnt vmcnt(0)
	v_cmp_gt_i16_e32 vcc_lo, 5, v4
	s_cbranch_vccnz .LBB73_1326
; %bb.1322:
	v_cmp_gt_i16_e32 vcc_lo, 8, v4
	s_cbranch_vccnz .LBB73_1327
; %bb.1323:
	;; [unrolled: 3-line block ×3, first 2 shown]
	v_cmp_lt_i16_e32 vcc_lo, 9, v4
	s_cbranch_vccz .LBB73_1331
; %bb.1325:
	global_load_b64 v[7:8], v[2:3], off
	s_mov_b32 s7, 0
	s_waitcnt vmcnt(0)
	v_cvt_f32_f64_e32 v9, v[7:8]
	s_branch .LBB73_1332
.LBB73_1326:
                                        ; implicit-def: $vgpr9
	s_branch .LBB73_1349
.LBB73_1327:
                                        ; implicit-def: $vgpr9
	s_branch .LBB73_1338
.LBB73_1328:
	s_mov_b32 s7, -1
                                        ; implicit-def: $vgpr9
	s_branch .LBB73_1335
.LBB73_1329:
	s_cbranch_execnz .LBB73_1380
; %bb.1330:
	s_mov_b32 s6, exec_lo
	s_and_not1_b32 s38, s38, exec_lo
                                        ; implicit-def: $vgpr9
	s_or_b32 exec_lo, exec_lo, s2
	s_and_saveexec_b32 s2, s38
	s_delay_alu instid0(SALU_CYCLE_1)
	s_xor_b32 s2, exec_lo, s2
	s_cbranch_execnz .LBB73_1319
	s_branch .LBB73_1320
.LBB73_1331:
	s_mov_b32 s7, -1
                                        ; implicit-def: $vgpr9
.LBB73_1332:
	s_delay_alu instid0(SALU_CYCLE_1)
	s_and_not1_b32 vcc_lo, exec_lo, s7
	s_cbranch_vccnz .LBB73_1334
; %bb.1333:
	global_load_b32 v9, v[2:3], off
.LBB73_1334:
	s_mov_b32 s7, 0
.LBB73_1335:
	s_delay_alu instid0(SALU_CYCLE_1)
	s_and_not1_b32 vcc_lo, exec_lo, s7
	s_cbranch_vccnz .LBB73_1337
; %bb.1336:
	global_load_b32 v7, v[2:3], off
	s_waitcnt vmcnt(0)
	v_cvt_f32_f16_e32 v9, v7
.LBB73_1337:
	s_cbranch_execnz .LBB73_1348
.LBB73_1338:
	v_cmp_gt_i16_e32 vcc_lo, 6, v4
	s_cbranch_vccnz .LBB73_1341
; %bb.1339:
	v_cmp_lt_i16_e32 vcc_lo, 6, v4
	s_cbranch_vccz .LBB73_1342
; %bb.1340:
	global_load_b64 v[7:8], v[2:3], off
	s_mov_b32 s7, 0
	s_waitcnt vmcnt(0)
	v_cvt_f32_f64_e32 v9, v[7:8]
	s_branch .LBB73_1343
.LBB73_1341:
	s_mov_b32 s7, -1
                                        ; implicit-def: $vgpr9
	s_branch .LBB73_1346
.LBB73_1342:
	s_mov_b32 s7, -1
                                        ; implicit-def: $vgpr9
.LBB73_1343:
	s_delay_alu instid0(SALU_CYCLE_1)
	s_and_not1_b32 vcc_lo, exec_lo, s7
	s_cbranch_vccnz .LBB73_1345
; %bb.1344:
	global_load_b32 v9, v[2:3], off
.LBB73_1345:
	s_mov_b32 s7, 0
.LBB73_1346:
	s_delay_alu instid0(SALU_CYCLE_1)
	s_and_not1_b32 vcc_lo, exec_lo, s7
	s_cbranch_vccnz .LBB73_1348
; %bb.1347:
	global_load_u16 v7, v[2:3], off
	s_waitcnt vmcnt(0)
	v_cvt_f32_f16_e32 v9, v7
.LBB73_1348:
	s_cbranch_execnz .LBB73_1367
.LBB73_1349:
	v_cmp_gt_i16_e32 vcc_lo, 2, v4
	s_cbranch_vccnz .LBB73_1353
; %bb.1350:
	v_cmp_gt_i16_e32 vcc_lo, 3, v4
	s_cbranch_vccnz .LBB73_1354
; %bb.1351:
	v_cmp_lt_i16_e32 vcc_lo, 3, v4
	s_cbranch_vccz .LBB73_1355
; %bb.1352:
	global_load_b64 v[7:8], v[2:3], off
	s_mov_b32 s7, 0
	s_waitcnt vmcnt(0)
	v_xor_b32_e32 v9, v7, v8
	v_cls_i32_e32 v10, v8
	s_delay_alu instid0(VALU_DEP_2) | instskip(NEXT) | instid1(VALU_DEP_2)
	v_ashrrev_i32_e32 v9, 31, v9
	v_add_nc_u32_e32 v10, -1, v10
	s_delay_alu instid0(VALU_DEP_2) | instskip(NEXT) | instid1(VALU_DEP_1)
	v_add_nc_u32_e32 v9, 32, v9
	v_min_u32_e32 v9, v10, v9
	s_delay_alu instid0(VALU_DEP_1) | instskip(NEXT) | instid1(VALU_DEP_1)
	v_lshlrev_b64 v[7:8], v9, v[7:8]
	v_min_u32_e32 v7, 1, v7
	s_delay_alu instid0(VALU_DEP_1) | instskip(SKIP_1) | instid1(VALU_DEP_2)
	v_or_b32_e32 v7, v8, v7
	v_sub_nc_u32_e32 v8, 32, v9
	v_cvt_f32_i32_e32 v7, v7
	s_delay_alu instid0(VALU_DEP_1)
	v_ldexp_f32 v9, v7, v8
	s_branch .LBB73_1356
.LBB73_1353:
                                        ; implicit-def: $vgpr9
	s_branch .LBB73_1362
.LBB73_1354:
	s_mov_b32 s7, -1
                                        ; implicit-def: $vgpr9
	s_branch .LBB73_1359
.LBB73_1355:
	s_mov_b32 s7, -1
                                        ; implicit-def: $vgpr9
.LBB73_1356:
	s_delay_alu instid0(SALU_CYCLE_1)
	s_and_not1_b32 vcc_lo, exec_lo, s7
	s_cbranch_vccnz .LBB73_1358
; %bb.1357:
	global_load_b32 v7, v[2:3], off
	s_waitcnt vmcnt(0)
	v_cvt_f32_i32_e32 v9, v7
.LBB73_1358:
	s_mov_b32 s7, 0
.LBB73_1359:
	s_delay_alu instid0(SALU_CYCLE_1)
	s_and_not1_b32 vcc_lo, exec_lo, s7
	s_cbranch_vccnz .LBB73_1361
; %bb.1360:
	global_load_i16 v7, v[2:3], off
	s_waitcnt vmcnt(0)
	v_cvt_f32_i32_e32 v9, v7
.LBB73_1361:
	s_cbranch_execnz .LBB73_1367
.LBB73_1362:
	v_cmp_lt_i16_e32 vcc_lo, 0, v4
	s_mov_b32 s7, 0
	s_cbranch_vccz .LBB73_1364
; %bb.1363:
	global_load_i8 v4, v[2:3], off
	s_waitcnt vmcnt(0)
	v_cvt_f32_i32_e32 v9, v4
	s_branch .LBB73_1365
.LBB73_1364:
	s_mov_b32 s7, -1
                                        ; implicit-def: $vgpr9
.LBB73_1365:
	s_delay_alu instid0(SALU_CYCLE_1)
	s_and_not1_b32 vcc_lo, exec_lo, s7
	s_cbranch_vccnz .LBB73_1367
; %bb.1366:
	global_load_u8 v2, v[2:3], off
	s_waitcnt vmcnt(0)
	v_cvt_f32_ubyte0_e32 v9, v2
.LBB73_1367:
	s_or_b32 s3, s3, exec_lo
.LBB73_1368:
	s_or_b32 exec_lo, exec_lo, s2
	s_mov_b32 s7, 0
	s_mov_b32 s9, 0
	;; [unrolled: 1-line block ×3, first 2 shown]
                                        ; implicit-def: $vgpr4
                                        ; implicit-def: $vgpr2_vgpr3
                                        ; implicit-def: $vgpr7
	s_and_saveexec_b32 s2, s3
	s_cbranch_execz .LBB73_1448
; %bb.1369:
	s_waitcnt vmcnt(0)
	v_and_b32_e32 v4, 0xff, v6
	v_add_co_u32 v2, s3, s18, v1
	s_delay_alu instid0(VALU_DEP_1) | instskip(NEXT) | instid1(VALU_DEP_3)
	v_add_co_ci_u32_e64 v3, null, s19, 0, s3
	v_cmp_gt_i16_e32 vcc_lo, 11, v4
	s_cbranch_vccnz .LBB73_1376
; %bb.1370:
	v_cmp_lt_i16_e32 vcc_lo, 25, v4
	s_cbranch_vccz .LBB73_1377
; %bb.1371:
	v_cmp_lt_i16_e32 vcc_lo, 28, v4
	s_cbranch_vccz .LBB73_1378
	;; [unrolled: 3-line block ×4, first 2 shown]
; %bb.1374:
	v_cmp_eq_u16_e32 vcc_lo, 46, v4
	s_cbranch_vccz .LBB73_1383
; %bb.1375:
	global_load_b32 v1, v[2:3], off
	s_mov_b32 s3, 0
	s_mov_b32 s8, -1
	s_waitcnt vmcnt(0)
	v_lshlrev_b32_e32 v7, 16, v1
	s_branch .LBB73_1385
.LBB73_1376:
	s_mov_b32 s9, -1
	s_mov_b32 s3, s35
                                        ; implicit-def: $vgpr7
	s_branch .LBB73_1447
.LBB73_1377:
	s_mov_b32 s3, s35
                                        ; implicit-def: $vgpr7
	s_cbranch_execnz .LBB73_1414
	s_branch .LBB73_1446
.LBB73_1378:
	s_mov_b32 s9, -1
	s_mov_b32 s3, s35
                                        ; implicit-def: $vgpr7
	s_branch .LBB73_1395
.LBB73_1379:
	s_mov_b32 s9, -1
	s_mov_b32 s3, s35
                                        ; implicit-def: $vgpr7
	s_branch .LBB73_1390
.LBB73_1380:
	s_trap 2
	s_sendmsg_rtn_b32 s0, sendmsg(MSG_RTN_GET_DOORBELL)
	s_mov_b32 ttmp2, m0
	s_waitcnt lgkmcnt(0)
	s_and_b32 s0, s0, 0x3ff
	s_delay_alu instid0(SALU_CYCLE_1) | instskip(NEXT) | instid1(SALU_CYCLE_1)
	s_bitset1_b32 s0, 10
	s_mov_b32 m0, s0
	s_sendmsg sendmsg(MSG_INTERRUPT)
	s_mov_b32 m0, ttmp2
.LBB73_1381:                            ; =>This Inner Loop Header: Depth=1
	s_sethalt 5
	s_branch .LBB73_1381
.LBB73_1382:
	s_mov_b32 s9, -1
	s_mov_b32 s3, s35
	s_branch .LBB73_1384
.LBB73_1383:
	s_mov_b32 s3, -1
.LBB73_1384:
                                        ; implicit-def: $vgpr7
.LBB73_1385:
	s_and_b32 vcc_lo, exec_lo, s9
	s_cbranch_vccz .LBB73_1389
; %bb.1386:
	v_cmp_eq_u16_e32 vcc_lo, 44, v4
	s_cbranch_vccz .LBB73_1388
; %bb.1387:
	global_load_u8 v1, v[2:3], off
	s_mov_b32 s3, 0
	s_mov_b32 s8, -1
	s_waitcnt vmcnt(0)
	v_lshlrev_b32_e32 v6, 23, v1
	v_cmp_ne_u32_e32 vcc_lo, 0xff, v1
	s_delay_alu instid0(VALU_DEP_2) | instskip(SKIP_1) | instid1(VALU_DEP_2)
	v_cndmask_b32_e32 v6, 0x7f800001, v6, vcc_lo
	v_cmp_ne_u32_e32 vcc_lo, 0, v1
	v_cndmask_b32_e32 v7, 0x400000, v6, vcc_lo
	s_branch .LBB73_1389
.LBB73_1388:
	s_mov_b32 s3, -1
                                        ; implicit-def: $vgpr7
.LBB73_1389:
	s_mov_b32 s9, 0
.LBB73_1390:
	s_delay_alu instid0(SALU_CYCLE_1)
	s_and_b32 vcc_lo, exec_lo, s9
	s_cbranch_vccz .LBB73_1394
; %bb.1391:
	v_cmp_eq_u16_e32 vcc_lo, 29, v4
	s_cbranch_vccz .LBB73_1393
; %bb.1392:
	global_load_b64 v[6:7], v[2:3], off
	s_mov_b32 s3, 0
	s_mov_b32 s8, -1
	s_mov_b32 s9, 0
	s_waitcnt vmcnt(0)
	v_clz_i32_u32_e32 v1, v7
	s_delay_alu instid0(VALU_DEP_1) | instskip(NEXT) | instid1(VALU_DEP_1)
	v_min_u32_e32 v1, 32, v1
	v_lshlrev_b64 v[6:7], v1, v[6:7]
	v_sub_nc_u32_e32 v1, 32, v1
	s_delay_alu instid0(VALU_DEP_2) | instskip(NEXT) | instid1(VALU_DEP_1)
	v_min_u32_e32 v6, 1, v6
	v_or_b32_e32 v6, v7, v6
	s_delay_alu instid0(VALU_DEP_1) | instskip(NEXT) | instid1(VALU_DEP_1)
	v_cvt_f32_u32_e32 v6, v6
	v_ldexp_f32 v7, v6, v1
	s_branch .LBB73_1395
.LBB73_1393:
	s_mov_b32 s3, -1
                                        ; implicit-def: $vgpr7
.LBB73_1394:
	s_mov_b32 s9, 0
.LBB73_1395:
	s_delay_alu instid0(SALU_CYCLE_1)
	s_and_b32 vcc_lo, exec_lo, s9
	s_cbranch_vccz .LBB73_1413
; %bb.1396:
	v_cmp_gt_i16_e32 vcc_lo, 27, v4
	s_cbranch_vccnz .LBB73_1399
; %bb.1397:
	v_cmp_lt_i16_e32 vcc_lo, 27, v4
	s_cbranch_vccz .LBB73_1400
; %bb.1398:
	global_load_b32 v1, v[2:3], off
	s_mov_b32 s8, 0
	s_waitcnt vmcnt(0)
	v_cvt_f32_u32_e32 v7, v1
	s_branch .LBB73_1401
.LBB73_1399:
	s_mov_b32 s8, -1
                                        ; implicit-def: $vgpr7
	s_branch .LBB73_1404
.LBB73_1400:
	s_mov_b32 s8, -1
                                        ; implicit-def: $vgpr7
.LBB73_1401:
	s_delay_alu instid0(SALU_CYCLE_1)
	s_and_not1_b32 vcc_lo, exec_lo, s8
	s_cbranch_vccnz .LBB73_1403
; %bb.1402:
	global_load_u16 v1, v[2:3], off
	s_waitcnt vmcnt(0)
	v_cvt_f32_u32_e32 v7, v1
.LBB73_1403:
	s_mov_b32 s8, 0
.LBB73_1404:
	s_delay_alu instid0(SALU_CYCLE_1)
	s_and_not1_b32 vcc_lo, exec_lo, s8
	s_cbranch_vccnz .LBB73_1412
; %bb.1405:
	global_load_u8 v1, v[2:3], off
	s_mov_b32 s8, 0
	s_mov_b32 s10, exec_lo
                                        ; implicit-def: $sgpr9
	s_waitcnt vmcnt(0)
	v_cmpx_lt_i16_e32 0x7f, v1
	s_xor_b32 s10, exec_lo, s10
	s_cbranch_execz .LBB73_1425
; %bb.1406:
	s_mov_b32 s8, -1
	s_mov_b32 s11, exec_lo
                                        ; implicit-def: $sgpr9
	v_cmpx_eq_u16_e32 0x80, v1
; %bb.1407:
	s_mov_b32 s9, 0x7f800001
	s_xor_b32 s8, exec_lo, -1
; %bb.1408:
	s_or_b32 exec_lo, exec_lo, s11
	s_delay_alu instid0(SALU_CYCLE_1)
	s_and_b32 s8, s8, exec_lo
	s_or_saveexec_b32 s10, s10
	v_mov_b32_e32 v7, s9
	s_xor_b32 exec_lo, exec_lo, s10
	s_cbranch_execnz .LBB73_1426
.LBB73_1409:
	s_or_b32 exec_lo, exec_lo, s10
	s_and_saveexec_b32 s9, s8
	s_cbranch_execz .LBB73_1411
.LBB73_1410:
	v_and_b32_e32 v6, 0xffff, v1
	v_lshlrev_b32_e32 v1, 24, v1
	s_delay_alu instid0(VALU_DEP_2) | instskip(NEXT) | instid1(VALU_DEP_2)
	v_and_b32_e32 v7, 7, v6
	v_and_b32_e32 v1, 0x80000000, v1
	s_delay_alu instid0(VALU_DEP_2) | instskip(NEXT) | instid1(VALU_DEP_1)
	v_clz_i32_u32_e32 v8, v7
	v_min_u32_e32 v8, 32, v8
	s_delay_alu instid0(VALU_DEP_1) | instskip(SKIP_1) | instid1(VALU_DEP_2)
	v_subrev_nc_u32_e32 v10, 28, v8
	v_sub_nc_u32_e32 v8, 29, v8
	v_lshlrev_b32_e32 v10, v10, v6
	v_bfe_u32 v6, v6, 3, 4
	s_delay_alu instid0(VALU_DEP_2) | instskip(NEXT) | instid1(VALU_DEP_2)
	v_and_b32_e32 v10, 7, v10
	v_cmp_eq_u32_e32 vcc_lo, 0, v6
	s_delay_alu instid0(VALU_DEP_2) | instskip(NEXT) | instid1(VALU_DEP_1)
	v_dual_cndmask_b32 v6, v6, v8 :: v_dual_cndmask_b32 v7, v7, v10
	v_lshl_add_u32 v6, v6, 23, 0x3b800000
	s_delay_alu instid0(VALU_DEP_2) | instskip(NEXT) | instid1(VALU_DEP_1)
	v_lshlrev_b32_e32 v7, 20, v7
	v_or3_b32 v7, v1, v6, v7
.LBB73_1411:
	s_or_b32 exec_lo, exec_lo, s9
.LBB73_1412:
	s_mov_b32 s8, -1
.LBB73_1413:
	s_branch .LBB73_1446
.LBB73_1414:
	v_cmp_lt_i16_e32 vcc_lo, 22, v4
	s_cbranch_vccz .LBB73_1424
; %bb.1415:
	v_cmp_gt_i16_e32 vcc_lo, 24, v4
	s_cbranch_vccnz .LBB73_1427
; %bb.1416:
	v_cmp_lt_i16_e32 vcc_lo, 24, v4
	s_cbranch_vccz .LBB73_1428
; %bb.1417:
	global_load_u8 v1, v[2:3], off
	s_mov_b32 s9, exec_lo
                                        ; implicit-def: $sgpr8
	s_waitcnt vmcnt(0)
	v_cmpx_lt_i16_e32 0x7f, v1
	s_xor_b32 s9, exec_lo, s9
	s_cbranch_execz .LBB73_1440
; %bb.1418:
	s_mov_b32 s7, -1
	s_mov_b32 s10, exec_lo
                                        ; implicit-def: $sgpr8
	v_cmpx_eq_u16_e32 0x80, v1
; %bb.1419:
	s_mov_b32 s8, 0x7f800001
	s_xor_b32 s7, exec_lo, -1
; %bb.1420:
	s_or_b32 exec_lo, exec_lo, s10
	s_delay_alu instid0(SALU_CYCLE_1)
	s_and_b32 s7, s7, exec_lo
	s_or_saveexec_b32 s9, s9
	v_mov_b32_e32 v7, s8
	s_xor_b32 exec_lo, exec_lo, s9
	s_cbranch_execnz .LBB73_1441
.LBB73_1421:
	s_or_b32 exec_lo, exec_lo, s9
	s_and_saveexec_b32 s8, s7
	s_cbranch_execz .LBB73_1423
.LBB73_1422:
	v_and_b32_e32 v6, 0xffff, v1
	v_lshlrev_b32_e32 v1, 24, v1
	s_delay_alu instid0(VALU_DEP_2) | instskip(NEXT) | instid1(VALU_DEP_2)
	v_and_b32_e32 v7, 3, v6
	v_and_b32_e32 v1, 0x80000000, v1
	s_delay_alu instid0(VALU_DEP_2) | instskip(NEXT) | instid1(VALU_DEP_1)
	v_clz_i32_u32_e32 v8, v7
	v_min_u32_e32 v8, 32, v8
	s_delay_alu instid0(VALU_DEP_1) | instskip(SKIP_1) | instid1(VALU_DEP_2)
	v_subrev_nc_u32_e32 v10, 29, v8
	v_sub_nc_u32_e32 v8, 30, v8
	v_lshlrev_b32_e32 v10, v10, v6
	v_bfe_u32 v6, v6, 2, 5
	s_delay_alu instid0(VALU_DEP_2) | instskip(NEXT) | instid1(VALU_DEP_2)
	v_and_b32_e32 v10, 3, v10
	v_cmp_eq_u32_e32 vcc_lo, 0, v6
	s_delay_alu instid0(VALU_DEP_2) | instskip(NEXT) | instid1(VALU_DEP_1)
	v_dual_cndmask_b32 v6, v6, v8 :: v_dual_cndmask_b32 v7, v7, v10
	v_lshl_add_u32 v6, v6, 23, 0x37800000
	s_delay_alu instid0(VALU_DEP_2) | instskip(NEXT) | instid1(VALU_DEP_1)
	v_lshlrev_b32_e32 v7, 21, v7
	v_or3_b32 v7, v1, v6, v7
.LBB73_1423:
	s_or_b32 exec_lo, exec_lo, s8
	s_mov_b32 s7, 0
	s_branch .LBB73_1429
.LBB73_1424:
	s_mov_b32 s7, -1
                                        ; implicit-def: $vgpr7
	s_branch .LBB73_1435
.LBB73_1425:
	s_or_saveexec_b32 s10, s10
	v_mov_b32_e32 v7, s9
	s_xor_b32 exec_lo, exec_lo, s10
	s_cbranch_execz .LBB73_1409
.LBB73_1426:
	v_cmp_ne_u16_e32 vcc_lo, 0, v1
	v_mov_b32_e32 v7, 0
	s_and_not1_b32 s8, s8, exec_lo
	s_and_b32 s9, vcc_lo, exec_lo
	s_delay_alu instid0(SALU_CYCLE_1)
	s_or_b32 s8, s8, s9
	s_or_b32 exec_lo, exec_lo, s10
	s_and_saveexec_b32 s9, s8
	s_cbranch_execnz .LBB73_1410
	s_branch .LBB73_1411
.LBB73_1427:
	s_mov_b32 s7, -1
                                        ; implicit-def: $vgpr7
	s_branch .LBB73_1432
.LBB73_1428:
	s_mov_b32 s7, -1
                                        ; implicit-def: $vgpr7
.LBB73_1429:
	s_delay_alu instid0(SALU_CYCLE_1)
	s_and_b32 vcc_lo, exec_lo, s7
	s_cbranch_vccz .LBB73_1431
; %bb.1430:
	global_load_u8 v1, v[2:3], off
	s_waitcnt vmcnt(0)
	v_lshlrev_b32_e32 v1, 24, v1
	s_delay_alu instid0(VALU_DEP_1) | instskip(NEXT) | instid1(VALU_DEP_1)
	v_and_b32_e32 v6, 0x7f000000, v1
	v_clz_i32_u32_e32 v7, v6
	v_add_nc_u32_e32 v10, 0x1000000, v6
	v_cmp_ne_u32_e32 vcc_lo, 0, v6
	s_delay_alu instid0(VALU_DEP_3) | instskip(NEXT) | instid1(VALU_DEP_1)
	v_min_u32_e32 v7, 32, v7
	v_sub_nc_u32_e64 v7, v7, 4 clamp
	s_delay_alu instid0(VALU_DEP_1) | instskip(SKIP_1) | instid1(VALU_DEP_2)
	v_lshlrev_b32_e32 v8, v7, v6
	v_lshlrev_b32_e32 v7, 23, v7
	v_lshrrev_b32_e32 v8, 4, v8
	s_delay_alu instid0(VALU_DEP_1) | instskip(SKIP_1) | instid1(VALU_DEP_2)
	v_sub_nc_u32_e32 v7, v8, v7
	v_ashrrev_i32_e32 v8, 8, v10
	v_add_nc_u32_e32 v7, 0x3c000000, v7
	s_delay_alu instid0(VALU_DEP_1) | instskip(NEXT) | instid1(VALU_DEP_1)
	v_and_or_b32 v7, 0x7f800000, v8, v7
	v_cndmask_b32_e32 v6, 0, v7, vcc_lo
	s_delay_alu instid0(VALU_DEP_1)
	v_and_or_b32 v7, 0x80000000, v1, v6
.LBB73_1431:
	s_mov_b32 s7, 0
.LBB73_1432:
	s_delay_alu instid0(SALU_CYCLE_1)
	s_and_not1_b32 vcc_lo, exec_lo, s7
	s_cbranch_vccnz .LBB73_1434
; %bb.1433:
	global_load_u8 v1, v[2:3], off
	s_waitcnt vmcnt(0)
	v_lshlrev_b32_e32 v6, 25, v1
	v_lshlrev_b16 v1, 8, v1
	s_delay_alu instid0(VALU_DEP_2) | instskip(NEXT) | instid1(VALU_DEP_2)
	v_lshrrev_b32_e32 v7, 4, v6
	v_and_or_b32 v8, 0x7f00, v1, 0.5
	v_bfe_i32 v1, v1, 0, 16
	s_delay_alu instid0(VALU_DEP_3) | instskip(NEXT) | instid1(VALU_DEP_1)
	v_or_b32_e32 v7, 0x70000000, v7
	v_dual_add_f32 v8, -0.5, v8 :: v_dual_mul_f32 v7, 0x7800000, v7
	v_cmp_gt_u32_e32 vcc_lo, 0x8000000, v6
	s_delay_alu instid0(VALU_DEP_2) | instskip(NEXT) | instid1(VALU_DEP_1)
	v_cndmask_b32_e32 v6, v7, v8, vcc_lo
	v_and_or_b32 v7, 0x80000000, v1, v6
.LBB73_1434:
	s_mov_b32 s7, 0
	s_mov_b32 s8, -1
.LBB73_1435:
	s_and_not1_b32 vcc_lo, exec_lo, s7
	s_mov_b32 s7, 0
	s_cbranch_vccnz .LBB73_1446
; %bb.1436:
	v_cmp_lt_i16_e32 vcc_lo, 14, v4
	s_cbranch_vccz .LBB73_1439
; %bb.1437:
	v_cmp_eq_u16_e32 vcc_lo, 15, v4
	s_cbranch_vccz .LBB73_1442
; %bb.1438:
	global_load_u16 v1, v[2:3], off
	s_mov_b32 s3, 0
	s_mov_b32 s8, -1
	s_waitcnt vmcnt(0)
	v_lshlrev_b32_e32 v7, 16, v1
	s_branch .LBB73_1444
.LBB73_1439:
	s_mov_b32 s7, -1
	s_branch .LBB73_1443
.LBB73_1440:
	s_or_saveexec_b32 s9, s9
	v_mov_b32_e32 v7, s8
	s_xor_b32 exec_lo, exec_lo, s9
	s_cbranch_execz .LBB73_1421
.LBB73_1441:
	v_cmp_ne_u16_e32 vcc_lo, 0, v1
	v_mov_b32_e32 v7, 0
	s_and_not1_b32 s7, s7, exec_lo
	s_and_b32 s8, vcc_lo, exec_lo
	s_delay_alu instid0(SALU_CYCLE_1)
	s_or_b32 s7, s7, s8
	s_or_b32 exec_lo, exec_lo, s9
	s_and_saveexec_b32 s8, s7
	s_cbranch_execnz .LBB73_1422
	s_branch .LBB73_1423
.LBB73_1442:
	s_mov_b32 s3, -1
.LBB73_1443:
                                        ; implicit-def: $vgpr7
.LBB73_1444:
	s_and_b32 vcc_lo, exec_lo, s7
	s_mov_b32 s7, 0
	s_cbranch_vccz .LBB73_1446
; %bb.1445:
	v_cmp_ne_u16_e32 vcc_lo, 11, v4
	s_and_not1_b32 s3, s3, exec_lo
	s_mov_b32 s7, -1
                                        ; implicit-def: $vgpr7
	s_and_b32 s9, vcc_lo, exec_lo
	s_delay_alu instid0(SALU_CYCLE_1)
	s_or_b32 s3, s3, s9
.LBB73_1446:
	s_mov_b32 s9, 0
.LBB73_1447:
	s_and_not1_b32 s10, s35, exec_lo
	s_and_b32 s3, s3, exec_lo
	s_and_b32 s8, s8, exec_lo
	;; [unrolled: 1-line block ×4, first 2 shown]
	s_or_b32 s35, s10, s3
.LBB73_1448:
	s_or_b32 exec_lo, exec_lo, s2
	s_and_saveexec_b32 s2, s35
	s_cbranch_execnz .LBB73_1460
; %bb.1449:
	s_or_b32 exec_lo, exec_lo, s2
	s_and_saveexec_b32 s2, s7
	s_delay_alu instid0(SALU_CYCLE_1)
	s_xor_b32 s2, exec_lo, s2
	s_cbranch_execz .LBB73_1451
.LBB73_1450:
	global_load_u8 v1, v[2:3], off
	s_or_b32 s8, s8, exec_lo
	s_waitcnt vmcnt(0)
	v_cmp_ne_u16_e32 vcc_lo, 0, v1
	v_cndmask_b32_e64 v7, 0, 1.0, vcc_lo
.LBB73_1451:
	s_or_b32 exec_lo, exec_lo, s2
	s_and_saveexec_b32 s2, s9
	s_cbranch_execz .LBB73_1499
; %bb.1452:
	s_waitcnt vmcnt(0)
	v_cmp_gt_i16_e32 vcc_lo, 5, v4
	s_cbranch_vccnz .LBB73_1457
; %bb.1453:
	v_cmp_gt_i16_e32 vcc_lo, 8, v4
	s_cbranch_vccnz .LBB73_1458
; %bb.1454:
	;; [unrolled: 3-line block ×3, first 2 shown]
	v_cmp_lt_i16_e32 vcc_lo, 9, v4
	s_cbranch_vccz .LBB73_1462
; %bb.1456:
	global_load_b64 v[6:7], v[2:3], off
	s_mov_b32 s3, 0
	s_waitcnt vmcnt(0)
	v_cvt_f32_f64_e32 v7, v[6:7]
	s_branch .LBB73_1463
.LBB73_1457:
                                        ; implicit-def: $vgpr7
	s_branch .LBB73_1480
.LBB73_1458:
                                        ; implicit-def: $vgpr7
	s_branch .LBB73_1469
.LBB73_1459:
	s_mov_b32 s3, -1
                                        ; implicit-def: $vgpr7
	s_branch .LBB73_1466
.LBB73_1460:
	s_cbranch_execnz .LBB73_1730
; %bb.1461:
	s_or_b32 s6, s6, exec_lo
	s_and_not1_b32 s7, s7, exec_lo
                                        ; implicit-def: $vgpr7
	s_or_b32 exec_lo, exec_lo, s2
	s_and_saveexec_b32 s2, s7
	s_delay_alu instid0(SALU_CYCLE_1)
	s_xor_b32 s2, exec_lo, s2
	s_cbranch_execnz .LBB73_1450
	s_branch .LBB73_1451
.LBB73_1462:
	s_mov_b32 s3, -1
                                        ; implicit-def: $vgpr7
.LBB73_1463:
	s_delay_alu instid0(SALU_CYCLE_1)
	s_and_not1_b32 vcc_lo, exec_lo, s3
	s_cbranch_vccnz .LBB73_1465
; %bb.1464:
	global_load_b32 v7, v[2:3], off
.LBB73_1465:
	s_mov_b32 s3, 0
.LBB73_1466:
	s_delay_alu instid0(SALU_CYCLE_1)
	s_and_not1_b32 vcc_lo, exec_lo, s3
	s_cbranch_vccnz .LBB73_1468
; %bb.1467:
	global_load_b32 v1, v[2:3], off
	s_waitcnt vmcnt(0)
	v_cvt_f32_f16_e32 v7, v1
.LBB73_1468:
	s_cbranch_execnz .LBB73_1479
.LBB73_1469:
	v_cmp_gt_i16_e32 vcc_lo, 6, v4
	s_cbranch_vccnz .LBB73_1472
; %bb.1470:
	v_cmp_lt_i16_e32 vcc_lo, 6, v4
	s_cbranch_vccz .LBB73_1473
; %bb.1471:
	global_load_b64 v[6:7], v[2:3], off
	s_mov_b32 s3, 0
	s_waitcnt vmcnt(0)
	v_cvt_f32_f64_e32 v7, v[6:7]
	s_branch .LBB73_1474
.LBB73_1472:
	s_mov_b32 s3, -1
                                        ; implicit-def: $vgpr7
	s_branch .LBB73_1477
.LBB73_1473:
	s_mov_b32 s3, -1
                                        ; implicit-def: $vgpr7
.LBB73_1474:
	s_delay_alu instid0(SALU_CYCLE_1)
	s_and_not1_b32 vcc_lo, exec_lo, s3
	s_cbranch_vccnz .LBB73_1476
; %bb.1475:
	global_load_b32 v7, v[2:3], off
.LBB73_1476:
	s_mov_b32 s3, 0
.LBB73_1477:
	s_delay_alu instid0(SALU_CYCLE_1)
	s_and_not1_b32 vcc_lo, exec_lo, s3
	s_cbranch_vccnz .LBB73_1479
; %bb.1478:
	global_load_u16 v1, v[2:3], off
	s_waitcnt vmcnt(0)
	v_cvt_f32_f16_e32 v7, v1
.LBB73_1479:
	s_cbranch_execnz .LBB73_1498
.LBB73_1480:
	v_cmp_gt_i16_e32 vcc_lo, 2, v4
	s_cbranch_vccnz .LBB73_1484
; %bb.1481:
	v_cmp_gt_i16_e32 vcc_lo, 3, v4
	s_cbranch_vccnz .LBB73_1485
; %bb.1482:
	v_cmp_lt_i16_e32 vcc_lo, 3, v4
	s_cbranch_vccz .LBB73_1486
; %bb.1483:
	global_load_b64 v[6:7], v[2:3], off
	s_mov_b32 s3, 0
	s_waitcnt vmcnt(0)
	v_xor_b32_e32 v1, v6, v7
	v_cls_i32_e32 v8, v7
	s_delay_alu instid0(VALU_DEP_2) | instskip(NEXT) | instid1(VALU_DEP_2)
	v_ashrrev_i32_e32 v1, 31, v1
	v_add_nc_u32_e32 v8, -1, v8
	s_delay_alu instid0(VALU_DEP_2) | instskip(NEXT) | instid1(VALU_DEP_1)
	v_add_nc_u32_e32 v1, 32, v1
	v_min_u32_e32 v1, v8, v1
	s_delay_alu instid0(VALU_DEP_1) | instskip(SKIP_1) | instid1(VALU_DEP_2)
	v_lshlrev_b64 v[6:7], v1, v[6:7]
	v_sub_nc_u32_e32 v1, 32, v1
	v_min_u32_e32 v6, 1, v6
	s_delay_alu instid0(VALU_DEP_1) | instskip(NEXT) | instid1(VALU_DEP_1)
	v_or_b32_e32 v6, v7, v6
	v_cvt_f32_i32_e32 v6, v6
	s_delay_alu instid0(VALU_DEP_1)
	v_ldexp_f32 v7, v6, v1
	s_branch .LBB73_1487
.LBB73_1484:
                                        ; implicit-def: $vgpr7
	s_branch .LBB73_1493
.LBB73_1485:
	s_mov_b32 s3, -1
                                        ; implicit-def: $vgpr7
	s_branch .LBB73_1490
.LBB73_1486:
	s_mov_b32 s3, -1
                                        ; implicit-def: $vgpr7
.LBB73_1487:
	s_delay_alu instid0(SALU_CYCLE_1)
	s_and_not1_b32 vcc_lo, exec_lo, s3
	s_cbranch_vccnz .LBB73_1489
; %bb.1488:
	global_load_b32 v1, v[2:3], off
	s_waitcnt vmcnt(0)
	v_cvt_f32_i32_e32 v7, v1
.LBB73_1489:
	s_mov_b32 s3, 0
.LBB73_1490:
	s_delay_alu instid0(SALU_CYCLE_1)
	s_and_not1_b32 vcc_lo, exec_lo, s3
	s_cbranch_vccnz .LBB73_1492
; %bb.1491:
	global_load_i16 v1, v[2:3], off
	s_waitcnt vmcnt(0)
	v_cvt_f32_i32_e32 v7, v1
.LBB73_1492:
	s_cbranch_execnz .LBB73_1498
.LBB73_1493:
	v_cmp_lt_i16_e32 vcc_lo, 0, v4
	s_mov_b32 s3, 0
	s_cbranch_vccz .LBB73_1495
; %bb.1494:
	global_load_i8 v1, v[2:3], off
	s_waitcnt vmcnt(0)
	v_cvt_f32_i32_e32 v7, v1
	s_branch .LBB73_1496
.LBB73_1495:
	s_mov_b32 s3, -1
                                        ; implicit-def: $vgpr7
.LBB73_1496:
	s_delay_alu instid0(SALU_CYCLE_1)
	s_and_not1_b32 vcc_lo, exec_lo, s3
	s_cbranch_vccnz .LBB73_1498
; %bb.1497:
	global_load_u8 v1, v[2:3], off
	s_waitcnt vmcnt(0)
	v_cvt_f32_ubyte0_e32 v7, v1
.LBB73_1498:
	s_or_b32 s8, s8, exec_lo
.LBB73_1499:
	s_or_b32 exec_lo, exec_lo, s2
	s_mov_b32 s2, 0
	s_mov_b32 s3, 0
                                        ; implicit-def: $vgpr6
                                        ; implicit-def: $vgpr3_vgpr4
                                        ; implicit-def: $vgpr1
	s_and_saveexec_b32 s7, s8
	s_cbranch_execz .LBB73_1588
; %bb.1500:
	s_waitcnt vmcnt(0)
	s_delay_alu instid0(VALU_DEP_1) | instskip(SKIP_1) | instid1(VALU_DEP_1)
	v_trunc_f32_e32 v1, v7
	s_mov_b32 s8, exec_lo
	v_mul_f32_e64 v2, 0x2f800000, |v1|
	s_delay_alu instid0(VALU_DEP_1) | instskip(NEXT) | instid1(VALU_DEP_1)
	v_floor_f32_e32 v2, v2
	v_fma_f32 v3, 0xcf800000, v2, |v1|
	v_ashrrev_i32_e32 v1, 31, v1
	v_cvt_u32_f32_e32 v2, v2
	s_delay_alu instid0(VALU_DEP_3) | instskip(NEXT) | instid1(VALU_DEP_2)
	v_cvt_u32_f32_e32 v3, v3
	v_xor_b32_e32 v2, v2, v1
	s_delay_alu instid0(VALU_DEP_2) | instskip(NEXT) | instid1(VALU_DEP_1)
	v_xor_b32_e32 v3, v3, v1
	v_sub_co_u32 v4, vcc_lo, v3, v1
	s_delay_alu instid0(VALU_DEP_3) | instskip(SKIP_1) | instid1(VALU_DEP_2)
	v_sub_co_ci_u32_e32 v1, vcc_lo, v2, v1, vcc_lo
	v_cmp_class_f32_e64 vcc_lo, v7, 0x1f8
	v_dual_cndmask_b32 v3, -1, v1 :: v_dual_cndmask_b32 v2, -1, v4
	v_mov_b32_e32 v1, 0
	s_delay_alu instid0(VALU_DEP_2)
	v_cmpx_lt_i64_e32 -1, v[2:3]
	s_cbranch_execz .LBB73_1512
; %bb.1501:
	v_mov_b32_e32 v1, 1.0
	s_mov_b32 s9, exec_lo
	v_cmpx_lt_i64_e32 0, v[2:3]
	s_cbranch_execz .LBB73_1511
; %bb.1502:
                                        ; implicit-def: $vgpr1
	s_mov_b32 s2, exec_lo
	v_cmpx_ne_u64_e32 1, v[2:3]
	s_xor_b32 s10, exec_lo, s2
	s_cbranch_execz .LBB73_1508
; %bb.1503:
	v_mov_b32_e32 v1, 0x7fc00000
	s_mov_b32 s11, exec_lo
	v_cmpx_gt_u64_e32 0x81, v[2:3]
	s_cbranch_execz .LBB73_1507
; %bb.1504:
	v_add_f32_e32 v4, v9, v9
	v_lshlrev_b64 v[2:3], 1, v[2:3]
	v_mov_b32_e32 v6, 1.0
	s_mov_b64 s[2:3], 2
	s_mov_b32 s12, 0
	v_mov_b32_e32 v1, v4
	.p2align	6
.LBB73_1505:                            ; =>This Inner Loop Header: Depth=1
	s_clz_i32_u32 s13, s3
	s_delay_alu instid0(SALU_CYCLE_1) | instskip(NEXT) | instid1(SALU_CYCLE_1)
	s_min_u32 s13, s13, 32
	s_lshl_b64 s[14:15], s[2:3], s13
	s_sub_i32 s13, 32, s13
	s_min_u32 s14, s14, 1
	s_delay_alu instid0(SALU_CYCLE_1) | instskip(SKIP_3) | instid1(SALU_CYCLE_1)
	s_or_b32 s14, s15, s14
	s_add_u32 s2, s2, 2
	v_cvt_f32_u32_e32 v7, s14
	s_addc_u32 s3, s3, 0
	v_cmp_ge_u64_e32 vcc_lo, s[2:3], v[2:3]
	s_delay_alu instid0(VALU_DEP_2) | instskip(SKIP_1) | instid1(VALU_DEP_1)
	v_ldexp_f32 v7, v7, s13
	s_or_b32 s12, vcc_lo, s12
	v_dual_mul_f32 v7, v6, v7 :: v_dual_mov_b32 v6, v1
	s_delay_alu instid0(VALU_DEP_1)
	v_fma_f32 v1, v4, v1, -v7
	s_and_not1_b32 exec_lo, exec_lo, s12
	s_cbranch_execnz .LBB73_1505
; %bb.1506:
	s_or_b32 exec_lo, exec_lo, s12
.LBB73_1507:
	s_delay_alu instid0(SALU_CYCLE_1)
	s_or_b32 exec_lo, exec_lo, s11
                                        ; implicit-def: $vgpr9
.LBB73_1508:
	s_and_not1_saveexec_b32 s2, s10
; %bb.1509:
	v_add_f32_e32 v1, v9, v9
; %bb.1510:
	s_or_b32 exec_lo, exec_lo, s2
.LBB73_1511:
	s_delay_alu instid0(SALU_CYCLE_1)
	s_or_b32 exec_lo, exec_lo, s9
.LBB73_1512:
	s_delay_alu instid0(SALU_CYCLE_1) | instskip(SKIP_2) | instid1(VALU_DEP_1)
	s_or_b32 exec_lo, exec_lo, s8
	v_and_b32_e32 v6, 0xff, v5
	v_add_co_u32 v3, s2, s4, v0
	v_add_co_ci_u32_e64 v4, null, s5, 0, s2
	s_delay_alu instid0(VALU_DEP_3)
	v_cmp_gt_i16_e32 vcc_lo, 11, v6
	s_mov_b32 s8, 0
	s_mov_b32 s3, -1
	s_mov_b32 s2, s34
	s_cbranch_vccnz .LBB73_1587
; %bb.1513:
	v_cmp_lt_i16_e32 vcc_lo, 25, v6
	s_mov_b32 s2, s34
	s_cbranch_vccz .LBB73_1546
; %bb.1514:
	v_cmp_lt_i16_e32 vcc_lo, 28, v6
	s_mov_b32 s2, s34
	s_cbranch_vccz .LBB73_1530
; %bb.1515:
	v_cmp_lt_i16_e32 vcc_lo, 43, v6
	s_mov_b32 s2, s34
	s_cbranch_vccz .LBB73_1526
; %bb.1516:
	v_cmp_lt_i16_e32 vcc_lo, 45, v6
	s_mov_b32 s2, s34
	s_cbranch_vccz .LBB73_1520
; %bb.1517:
	v_cmp_eq_u16_e32 vcc_lo, 46, v6
	s_mov_b32 s2, -1
	s_cbranch_vccz .LBB73_1519
; %bb.1518:
	v_bfe_u32 v0, v1, 16, 1
	v_cmp_o_f32_e32 vcc_lo, v1, v1
	s_mov_b32 s2, 0
	s_delay_alu instid0(VALU_DEP_2) | instskip(NEXT) | instid1(VALU_DEP_1)
	v_add3_u32 v0, v1, v0, 0x7fff
	v_lshrrev_b32_e32 v0, 16, v0
	s_delay_alu instid0(VALU_DEP_1)
	v_cndmask_b32_e32 v0, 0x7fc0, v0, vcc_lo
	global_store_b32 v[3:4], v0, off
.LBB73_1519:
	s_mov_b32 s3, 0
.LBB73_1520:
	s_delay_alu instid0(SALU_CYCLE_1)
	s_and_b32 vcc_lo, exec_lo, s3
	s_cbranch_vccz .LBB73_1525
; %bb.1521:
	v_cmp_eq_u16_e32 vcc_lo, 44, v6
	s_mov_b32 s2, -1
	s_cbranch_vccz .LBB73_1525
; %bb.1522:
	v_bfe_u32 v2, v1, 23, 8
	v_mov_b32_e32 v0, 0xff
	s_mov_b32 s3, exec_lo
	s_delay_alu instid0(VALU_DEP_2)
	v_cmpx_ne_u32_e32 0xff, v2
; %bb.1523:
	v_and_b32_e32 v0, 0x400000, v1
	v_and_or_b32 v2, 0x3fffff, v1, v2
	s_delay_alu instid0(VALU_DEP_2) | instskip(NEXT) | instid1(VALU_DEP_2)
	v_cmp_ne_u32_e32 vcc_lo, 0, v0
	v_cmp_ne_u32_e64 s2, 0, v2
	v_lshrrev_b32_e32 v0, 23, v1
	s_delay_alu instid0(VALU_DEP_2) | instskip(NEXT) | instid1(SALU_CYCLE_1)
	s_and_b32 s2, vcc_lo, s2
	v_cndmask_b32_e64 v2, 0, 1, s2
	s_delay_alu instid0(VALU_DEP_1)
	v_add_nc_u32_e32 v0, v0, v2
; %bb.1524:
	s_or_b32 exec_lo, exec_lo, s3
	s_mov_b32 s2, 0
	global_store_b8 v[3:4], v0, off
.LBB73_1525:
	s_mov_b32 s3, 0
.LBB73_1526:
	s_delay_alu instid0(SALU_CYCLE_1)
	s_and_b32 vcc_lo, exec_lo, s3
	s_cbranch_vccz .LBB73_1529
; %bb.1527:
	v_cmp_eq_u16_e32 vcc_lo, 29, v6
	s_mov_b32 s2, -1
	s_cbranch_vccz .LBB73_1529
; %bb.1528:
	v_trunc_f32_e32 v0, v1
	s_mov_b32 s2, 0
	s_delay_alu instid0(VALU_DEP_1) | instskip(NEXT) | instid1(VALU_DEP_1)
	v_mul_f32_e32 v2, 0x2f800000, v0
	v_floor_f32_e32 v2, v2
	s_delay_alu instid0(VALU_DEP_1) | instskip(SKIP_1) | instid1(VALU_DEP_2)
	v_fmamk_f32 v0, v2, 0xcf800000, v0
	v_cvt_u32_f32_e32 v8, v2
	v_cvt_u32_f32_e32 v7, v0
	global_store_b64 v[3:4], v[7:8], off
.LBB73_1529:
	s_mov_b32 s3, 0
.LBB73_1530:
	s_delay_alu instid0(SALU_CYCLE_1)
	s_and_b32 vcc_lo, exec_lo, s3
	s_cbranch_vccz .LBB73_1545
; %bb.1531:
	v_cmp_gt_i16_e32 vcc_lo, 27, v6
	s_mov_b32 s3, -1
	s_cbranch_vccnz .LBB73_1537
; %bb.1532:
	v_cmp_lt_i16_e32 vcc_lo, 27, v6
	v_cvt_u32_f32_e32 v0, v1
	s_cbranch_vccz .LBB73_1534
; %bb.1533:
	s_mov_b32 s3, 0
	global_store_b32 v[3:4], v0, off
.LBB73_1534:
	s_and_not1_b32 vcc_lo, exec_lo, s3
	s_cbranch_vccnz .LBB73_1536
; %bb.1535:
	global_store_b16 v[3:4], v0, off
.LBB73_1536:
	s_mov_b32 s3, 0
.LBB73_1537:
	s_delay_alu instid0(SALU_CYCLE_1)
	s_and_not1_b32 vcc_lo, exec_lo, s3
	s_cbranch_vccnz .LBB73_1545
; %bb.1538:
	v_and_b32_e32 v0, 0x7fffffff, v1
	v_mov_b32_e32 v2, 0x80
	s_mov_b32 s3, exec_lo
	s_delay_alu instid0(VALU_DEP_2)
	v_cmpx_gt_u32_e32 0x43800000, v0
	s_cbranch_execz .LBB73_1544
; %bb.1539:
	v_cmp_lt_u32_e32 vcc_lo, 0x3bffffff, v0
	s_mov_b32 s4, 0
                                        ; implicit-def: $vgpr0
	s_and_saveexec_b32 s5, vcc_lo
	s_delay_alu instid0(SALU_CYCLE_1)
	s_xor_b32 s5, exec_lo, s5
	s_cbranch_execz .LBB73_1822
; %bb.1540:
	v_bfe_u32 v0, v1, 20, 1
	s_mov_b32 s4, exec_lo
	s_delay_alu instid0(VALU_DEP_1) | instskip(NEXT) | instid1(VALU_DEP_1)
	v_add3_u32 v0, v1, v0, 0x487ffff
	v_lshrrev_b32_e32 v0, 20, v0
	s_or_saveexec_b32 s5, s5
                                        ; implicit-def: $sgpr8
	s_delay_alu instid0(SALU_CYCLE_1)
	s_xor_b32 exec_lo, exec_lo, s5
	s_cbranch_execnz .LBB73_1823
.LBB73_1541:
	s_or_b32 exec_lo, exec_lo, s5
	v_mov_b32_e32 v2, s8
	s_and_saveexec_b32 s5, s4
.LBB73_1542:
	v_lshrrev_b32_e32 v2, 24, v1
	s_delay_alu instid0(VALU_DEP_1)
	v_and_or_b32 v2, 0x80, v2, v0
.LBB73_1543:
	s_or_b32 exec_lo, exec_lo, s5
.LBB73_1544:
	s_delay_alu instid0(SALU_CYCLE_1)
	s_or_b32 exec_lo, exec_lo, s3
	global_store_b8 v[3:4], v2, off
.LBB73_1545:
	s_mov_b32 s3, 0
.LBB73_1546:
	s_delay_alu instid0(SALU_CYCLE_1)
	s_and_b32 vcc_lo, exec_lo, s3
	s_mov_b32 s3, 0
	s_cbranch_vccz .LBB73_1586
; %bb.1547:
	v_cmp_lt_i16_e32 vcc_lo, 22, v6
	s_mov_b32 s4, -1
	s_cbranch_vccz .LBB73_1579
; %bb.1548:
	v_cmp_gt_i16_e32 vcc_lo, 24, v6
	s_cbranch_vccnz .LBB73_1568
; %bb.1549:
	v_cmp_lt_i16_e32 vcc_lo, 24, v6
	s_cbranch_vccz .LBB73_1557
; %bb.1550:
	v_and_b32_e32 v0, 0x7fffffff, v1
	v_mov_b32_e32 v2, 0x80
	s_mov_b32 s4, exec_lo
	s_delay_alu instid0(VALU_DEP_2)
	v_cmpx_gt_u32_e32 0x47800000, v0
	s_cbranch_execz .LBB73_1556
; %bb.1551:
	v_cmp_lt_u32_e32 vcc_lo, 0x37ffffff, v0
	s_mov_b32 s5, 0
                                        ; implicit-def: $vgpr0
	s_and_saveexec_b32 s8, vcc_lo
	s_delay_alu instid0(SALU_CYCLE_1)
	s_xor_b32 s8, exec_lo, s8
	s_cbranch_execz .LBB73_1966
; %bb.1552:
	v_bfe_u32 v0, v1, 21, 1
	s_mov_b32 s5, exec_lo
	s_delay_alu instid0(VALU_DEP_1) | instskip(NEXT) | instid1(VALU_DEP_1)
	v_add3_u32 v0, v1, v0, 0x88fffff
	v_lshrrev_b32_e32 v0, 21, v0
	s_or_saveexec_b32 s8, s8
                                        ; implicit-def: $sgpr9
	s_delay_alu instid0(SALU_CYCLE_1)
	s_xor_b32 exec_lo, exec_lo, s8
	s_cbranch_execnz .LBB73_1967
.LBB73_1553:
	s_or_b32 exec_lo, exec_lo, s8
	v_mov_b32_e32 v2, s9
	s_and_saveexec_b32 s8, s5
.LBB73_1554:
	v_lshrrev_b32_e32 v2, 24, v1
	s_delay_alu instid0(VALU_DEP_1)
	v_and_or_b32 v2, 0x80, v2, v0
.LBB73_1555:
	s_or_b32 exec_lo, exec_lo, s8
.LBB73_1556:
	s_delay_alu instid0(SALU_CYCLE_1)
	s_or_b32 exec_lo, exec_lo, s4
	s_mov_b32 s4, 0
	global_store_b8 v[3:4], v2, off
.LBB73_1557:
	s_and_b32 vcc_lo, exec_lo, s4
	s_cbranch_vccz .LBB73_1567
; %bb.1558:
	v_and_b32_e32 v2, 0x7fffffff, v1
	s_mov_b32 s4, exec_lo
                                        ; implicit-def: $vgpr0
	s_delay_alu instid0(VALU_DEP_1)
	v_cmpx_gt_u32_e32 0x43f00000, v2
	s_xor_b32 s4, exec_lo, s4
	s_cbranch_execz .LBB73_1564
; %bb.1559:
	s_mov_b32 s5, exec_lo
                                        ; implicit-def: $vgpr0
	v_cmpx_lt_u32_e32 0x3c7fffff, v2
	s_xor_b32 s5, exec_lo, s5
; %bb.1560:
	v_bfe_u32 v0, v1, 20, 1
	s_delay_alu instid0(VALU_DEP_1) | instskip(NEXT) | instid1(VALU_DEP_1)
	v_add3_u32 v0, v1, v0, 0x407ffff
	v_and_b32_e32 v2, 0xff00000, v0
	v_lshrrev_b32_e32 v0, 20, v0
	s_delay_alu instid0(VALU_DEP_2) | instskip(NEXT) | instid1(VALU_DEP_2)
	v_cmp_ne_u32_e32 vcc_lo, 0x7f00000, v2
	v_cndmask_b32_e32 v0, 0x7e, v0, vcc_lo
; %bb.1561:
	s_and_not1_saveexec_b32 s5, s5
; %bb.1562:
	v_add_f32_e64 v0, 0x46800000, |v1|
; %bb.1563:
	s_or_b32 exec_lo, exec_lo, s5
                                        ; implicit-def: $vgpr2
.LBB73_1564:
	s_and_not1_saveexec_b32 s4, s4
; %bb.1565:
	v_mov_b32_e32 v0, 0x7f
	v_cmp_lt_u32_e32 vcc_lo, 0x7f800000, v2
	s_delay_alu instid0(VALU_DEP_2)
	v_cndmask_b32_e32 v0, 0x7e, v0, vcc_lo
; %bb.1566:
	s_or_b32 exec_lo, exec_lo, s4
	v_lshrrev_b32_e32 v2, 24, v1
	s_delay_alu instid0(VALU_DEP_1)
	v_and_or_b32 v0, 0x80, v2, v0
	global_store_b8 v[3:4], v0, off
.LBB73_1567:
	s_mov_b32 s4, 0
.LBB73_1568:
	s_delay_alu instid0(SALU_CYCLE_1)
	s_and_not1_b32 vcc_lo, exec_lo, s4
	s_cbranch_vccnz .LBB73_1578
; %bb.1569:
	v_and_b32_e32 v2, 0x7fffffff, v1
	s_mov_b32 s4, exec_lo
                                        ; implicit-def: $vgpr0
	s_delay_alu instid0(VALU_DEP_1)
	v_cmpx_gt_u32_e32 0x47800000, v2
	s_xor_b32 s4, exec_lo, s4
	s_cbranch_execz .LBB73_1575
; %bb.1570:
	s_mov_b32 s5, exec_lo
                                        ; implicit-def: $vgpr0
	v_cmpx_lt_u32_e32 0x387fffff, v2
	s_xor_b32 s5, exec_lo, s5
; %bb.1571:
	v_bfe_u32 v0, v1, 21, 1
	s_delay_alu instid0(VALU_DEP_1) | instskip(NEXT) | instid1(VALU_DEP_1)
	v_add3_u32 v0, v1, v0, 0x80fffff
	v_lshrrev_b32_e32 v0, 21, v0
; %bb.1572:
	s_and_not1_saveexec_b32 s5, s5
; %bb.1573:
	v_add_f32_e64 v0, 0x43000000, |v1|
; %bb.1574:
	s_or_b32 exec_lo, exec_lo, s5
                                        ; implicit-def: $vgpr2
.LBB73_1575:
	s_and_not1_saveexec_b32 s4, s4
; %bb.1576:
	v_mov_b32_e32 v0, 0x7f
	v_cmp_lt_u32_e32 vcc_lo, 0x7f800000, v2
	s_delay_alu instid0(VALU_DEP_2)
	v_cndmask_b32_e32 v0, 0x7c, v0, vcc_lo
; %bb.1577:
	s_or_b32 exec_lo, exec_lo, s4
	v_lshrrev_b32_e32 v2, 24, v1
	s_delay_alu instid0(VALU_DEP_1)
	v_and_or_b32 v0, 0x80, v2, v0
	global_store_b8 v[3:4], v0, off
.LBB73_1578:
	s_mov_b32 s4, 0
.LBB73_1579:
	s_delay_alu instid0(SALU_CYCLE_1)
	s_and_not1_b32 vcc_lo, exec_lo, s4
	s_mov_b32 s8, 0
	s_cbranch_vccnz .LBB73_1587
; %bb.1580:
	v_cmp_lt_i16_e32 vcc_lo, 14, v6
	s_mov_b32 s4, -1
	s_cbranch_vccz .LBB73_1584
; %bb.1581:
	v_cmp_eq_u16_e32 vcc_lo, 15, v6
	s_mov_b32 s2, -1
	s_cbranch_vccz .LBB73_1583
; %bb.1582:
	v_bfe_u32 v0, v1, 16, 1
	v_cmp_o_f32_e32 vcc_lo, v1, v1
	s_mov_b32 s2, 0
	s_delay_alu instid0(VALU_DEP_2) | instskip(NEXT) | instid1(VALU_DEP_1)
	v_add3_u32 v0, v1, v0, 0x7fff
	v_lshrrev_b32_e32 v0, 16, v0
	s_delay_alu instid0(VALU_DEP_1)
	v_cndmask_b32_e32 v0, 0x7fc0, v0, vcc_lo
	global_store_b16 v[3:4], v0, off
.LBB73_1583:
	s_mov_b32 s4, 0
.LBB73_1584:
	s_delay_alu instid0(SALU_CYCLE_1)
	s_and_b32 vcc_lo, exec_lo, s4
	s_cbranch_vccz .LBB73_1587
; %bb.1585:
	v_cmp_ne_u16_e32 vcc_lo, 11, v6
	s_and_not1_b32 s2, s2, exec_lo
	s_mov_b32 s8, -1
	s_and_b32 s4, vcc_lo, exec_lo
	s_delay_alu instid0(SALU_CYCLE_1)
	s_or_b32 s2, s2, s4
	s_branch .LBB73_1587
.LBB73_1586:
	s_mov_b32 s8, 0
.LBB73_1587:
	s_and_not1_b32 s4, s34, exec_lo
	s_and_b32 s5, s2, exec_lo
	s_and_b32 s3, s3, exec_lo
	;; [unrolled: 1-line block ×3, first 2 shown]
	s_or_b32 s34, s4, s5
.LBB73_1588:
	s_or_b32 exec_lo, exec_lo, s7
	s_and_saveexec_b32 s4, s34
	s_cbranch_execnz .LBB73_1690
; %bb.1589:
	s_or_b32 exec_lo, exec_lo, s4
	s_and_saveexec_b32 s4, s2
	s_delay_alu instid0(SALU_CYCLE_1)
	s_xor_b32 s2, exec_lo, s4
	s_cbranch_execz .LBB73_1591
.LBB73_1590:
	v_cmp_neq_f32_e32 vcc_lo, 0, v1
	v_cndmask_b32_e64 v0, 0, 1, vcc_lo
	s_waitcnt vmcnt(0)
	global_store_b8 v[3:4], v0, off
.LBB73_1591:
	s_or_b32 exec_lo, exec_lo, s2
	s_and_saveexec_b32 s2, s3
	s_delay_alu instid0(SALU_CYCLE_1)
	s_xor_b32 s2, exec_lo, s2
	s_cbranch_execz .LBB73_1629
; %bb.1592:
	s_waitcnt vmcnt(0)
	v_cmp_gt_i16_e32 vcc_lo, 5, v6
	s_mov_b32 s3, -1
	s_cbranch_vccnz .LBB73_1613
; %bb.1593:
	v_cmp_gt_i16_e32 vcc_lo, 8, v6
	s_cbranch_vccnz .LBB73_1603
; %bb.1594:
	v_cmp_gt_i16_e32 vcc_lo, 9, v6
	s_cbranch_vccnz .LBB73_1600
; %bb.1595:
	v_cmp_lt_i16_e32 vcc_lo, 9, v6
	s_cbranch_vccz .LBB73_1597
; %bb.1596:
	v_cvt_f64_f32_e32 v[7:8], v1
	v_mov_b32_e32 v9, 0
	s_mov_b32 s3, 0
	s_delay_alu instid0(VALU_DEP_1)
	v_mov_b32_e32 v10, v9
	global_store_b128 v[3:4], v[7:10], off
.LBB73_1597:
	s_and_not1_b32 vcc_lo, exec_lo, s3
	s_cbranch_vccnz .LBB73_1599
; %bb.1598:
	v_mov_b32_e32 v2, 0
	global_store_b64 v[3:4], v[1:2], off
.LBB73_1599:
	s_mov_b32 s3, 0
.LBB73_1600:
	s_delay_alu instid0(SALU_CYCLE_1)
	s_and_not1_b32 vcc_lo, exec_lo, s3
	s_cbranch_vccnz .LBB73_1602
; %bb.1601:
	v_cvt_f16_f32_e32 v0, v1
	s_delay_alu instid0(VALU_DEP_1)
	v_and_b32_e32 v0, 0xffff, v0
	global_store_b32 v[3:4], v0, off
.LBB73_1602:
	s_mov_b32 s3, 0
.LBB73_1603:
	s_delay_alu instid0(SALU_CYCLE_1)
	s_and_not1_b32 vcc_lo, exec_lo, s3
	s_cbranch_vccnz .LBB73_1612
; %bb.1604:
	v_cmp_gt_i16_e32 vcc_lo, 6, v6
	s_mov_b32 s3, -1
	s_cbranch_vccnz .LBB73_1610
; %bb.1605:
	v_cmp_lt_i16_e32 vcc_lo, 6, v6
	s_cbranch_vccz .LBB73_1607
; %bb.1606:
	v_cvt_f64_f32_e32 v[7:8], v1
	s_mov_b32 s3, 0
	global_store_b64 v[3:4], v[7:8], off
.LBB73_1607:
	s_and_not1_b32 vcc_lo, exec_lo, s3
	s_cbranch_vccnz .LBB73_1609
; %bb.1608:
	global_store_b32 v[3:4], v1, off
.LBB73_1609:
	s_mov_b32 s3, 0
.LBB73_1610:
	s_delay_alu instid0(SALU_CYCLE_1)
	s_and_not1_b32 vcc_lo, exec_lo, s3
	s_cbranch_vccnz .LBB73_1612
; %bb.1611:
	v_cvt_f16_f32_e32 v0, v1
	global_store_b16 v[3:4], v0, off
.LBB73_1612:
	s_mov_b32 s3, 0
.LBB73_1613:
	s_delay_alu instid0(SALU_CYCLE_1)
	s_and_not1_b32 vcc_lo, exec_lo, s3
	s_cbranch_vccnz .LBB73_1629
; %bb.1614:
	v_cmp_gt_i16_e32 vcc_lo, 2, v6
	s_mov_b32 s3, -1
	s_cbranch_vccnz .LBB73_1624
; %bb.1615:
	v_cmp_gt_i16_e32 vcc_lo, 3, v6
	s_cbranch_vccnz .LBB73_1621
; %bb.1616:
	v_cmp_lt_i16_e32 vcc_lo, 3, v6
	s_cbranch_vccz .LBB73_1618
; %bb.1617:
	v_trunc_f32_e32 v0, v1
	s_mov_b32 s3, 0
	s_delay_alu instid0(VALU_DEP_1) | instskip(NEXT) | instid1(VALU_DEP_1)
	v_mul_f32_e64 v2, 0x2f800000, |v0|
	v_floor_f32_e32 v2, v2
	s_delay_alu instid0(VALU_DEP_1) | instskip(SKIP_2) | instid1(VALU_DEP_3)
	v_fma_f32 v5, 0xcf800000, v2, |v0|
	v_ashrrev_i32_e32 v0, 31, v0
	v_cvt_u32_f32_e32 v2, v2
	v_cvt_u32_f32_e32 v5, v5
	s_delay_alu instid0(VALU_DEP_2) | instskip(NEXT) | instid1(VALU_DEP_2)
	v_xor_b32_e32 v2, v2, v0
	v_xor_b32_e32 v5, v5, v0
	s_delay_alu instid0(VALU_DEP_1) | instskip(NEXT) | instid1(VALU_DEP_3)
	v_sub_co_u32 v7, vcc_lo, v5, v0
	v_sub_co_ci_u32_e32 v8, vcc_lo, v2, v0, vcc_lo
	global_store_b64 v[3:4], v[7:8], off
.LBB73_1618:
	s_and_not1_b32 vcc_lo, exec_lo, s3
	s_cbranch_vccnz .LBB73_1620
; %bb.1619:
	v_cvt_i32_f32_e32 v0, v1
	global_store_b32 v[3:4], v0, off
.LBB73_1620:
	s_mov_b32 s3, 0
.LBB73_1621:
	s_delay_alu instid0(SALU_CYCLE_1)
	s_and_not1_b32 vcc_lo, exec_lo, s3
	s_cbranch_vccnz .LBB73_1623
; %bb.1622:
	v_cvt_i32_f32_e32 v0, v1
	global_store_b16 v[3:4], v0, off
.LBB73_1623:
	s_mov_b32 s3, 0
.LBB73_1624:
	s_delay_alu instid0(SALU_CYCLE_1)
	s_and_not1_b32 vcc_lo, exec_lo, s3
	s_cbranch_vccnz .LBB73_1629
; %bb.1625:
	v_cmp_lt_i16_e32 vcc_lo, 0, v6
	s_mov_b32 s3, -1
	s_cbranch_vccz .LBB73_1627
; %bb.1626:
	v_cvt_i32_f32_e32 v0, v1
	s_mov_b32 s3, 0
	global_store_b8 v[3:4], v0, off
.LBB73_1627:
	s_and_not1_b32 vcc_lo, exec_lo, s3
	s_cbranch_vccnz .LBB73_1629
; %bb.1628:
	v_trunc_f32_e32 v0, v1
	s_delay_alu instid0(VALU_DEP_1) | instskip(NEXT) | instid1(VALU_DEP_1)
	v_mul_f32_e64 v1, 0x2f800000, |v0|
	v_floor_f32_e32 v1, v1
	s_delay_alu instid0(VALU_DEP_1) | instskip(SKIP_1) | instid1(VALU_DEP_2)
	v_fma_f32 v1, 0xcf800000, v1, |v0|
	v_ashrrev_i32_e32 v0, 31, v0
	v_cvt_u32_f32_e32 v1, v1
	s_delay_alu instid0(VALU_DEP_1) | instskip(NEXT) | instid1(VALU_DEP_1)
	v_xor_b32_e32 v1, v1, v0
	v_sub_nc_u32_e32 v0, v1, v0
	global_store_b8 v[3:4], v0, off
.LBB73_1629:
	s_or_b32 exec_lo, exec_lo, s2
	s_delay_alu instid0(SALU_CYCLE_1)
	s_and_b32 s8, s6, exec_lo
                                        ; implicit-def: $vgpr13
                                        ; implicit-def: $vgpr8
.LBB73_1630:
	s_or_saveexec_b32 s9, s28
	s_mov_b32 s2, 0
                                        ; implicit-def: $vgpr0_vgpr1
                                        ; implicit-def: $vgpr12
                                        ; implicit-def: $vgpr4
	s_xor_b32 exec_lo, exec_lo, s9
	s_cbranch_execz .LBB73_3220
; %bb.1631:
	v_cndmask_b32_e64 v0, 0, 1, s27
	s_and_not1_b32 vcc_lo, exec_lo, s27
	s_cbranch_vccnz .LBB73_1637
; %bb.1632:
	v_mov_b32_e32 v3, 0
	v_mov_b32_e32 v11, 0
	;; [unrolled: 1-line block ×3, first 2 shown]
	s_cmp_lg_u32 s24, 0
	s_mov_b32 s4, 0
	s_cbranch_scc0 .LBB73_1638
; %bb.1633:
	s_min_u32 s5, s25, 15
	v_mov_b32_e32 v5, 0
	s_add_i32 s2, s5, 1
	v_mov_b32_e32 v11, 0
	v_mov_b32_e32 v3, 0
	;; [unrolled: 1-line block ×3, first 2 shown]
	s_and_b32 s6, s2, 30
	s_add_u32 s2, s16, 0xffffffec
	s_addc_u32 s3, s17, -1
	s_set_inst_prefetch_distance 0x1
	.p2align	6
.LBB73_1634:                            ; =>This Inner Loop Header: Depth=1
	s_clause 0x2
	s_load_b128 s[12:15], s[2:3], 0x18
	s_load_b64 s[10:11], s[2:3], 0x28
	s_load_b128 s[20:23], s[2:3], 0xd8
	s_waitcnt lgkmcnt(0)
	v_mul_hi_u32 v2, s13, v1
	s_delay_alu instid0(VALU_DEP_1) | instskip(NEXT) | instid1(VALU_DEP_1)
	v_add_nc_u32_e32 v2, v1, v2
	v_lshrrev_b32_e32 v2, s14, v2
	s_waitcnt vmcnt(0)
	s_delay_alu instid0(VALU_DEP_1)
	v_mul_hi_u32 v4, s10, v2
	v_mul_lo_u32 v6, v2, s12
	s_load_b64 s[12:13], s[2:3], 0xe8
	s_add_u32 s2, s2, 24
	s_addc_u32 s3, s3, 0
	s_add_i32 s6, s6, -2
	s_delay_alu instid0(SALU_CYCLE_1) | instskip(NEXT) | instid1(VALU_DEP_2)
	s_cmp_lg_u32 s6, 0
	v_add_nc_u32_e32 v4, v2, v4
	s_delay_alu instid0(VALU_DEP_2) | instskip(NEXT) | instid1(VALU_DEP_2)
	v_sub_nc_u32_e32 v6, v1, v6
	v_lshrrev_b32_e32 v1, s11, v4
	s_delay_alu instid0(VALU_DEP_2) | instskip(NEXT) | instid1(VALU_DEP_2)
	v_mul_lo_u32 v7, v6, s20
	v_mul_lo_u32 v4, v1, s15
	s_delay_alu instid0(VALU_DEP_1) | instskip(SKIP_2) | instid1(VALU_DEP_3)
	v_sub_nc_u32_e32 v2, v2, v4
	v_mul_lo_u32 v4, v6, s21
	v_mul_lo_u32 v6, v6, s22
	;; [unrolled: 1-line block ×3, first 2 shown]
	s_waitcnt lgkmcnt(0)
	v_mul_lo_u32 v10, v2, s12
	v_mul_lo_u32 v2, v2, s13
	s_delay_alu instid0(VALU_DEP_3) | instskip(NEXT) | instid1(VALU_DEP_3)
	v_add3_u32 v3, v7, v3, v9
	v_add3_u32 v11, v4, v11, v10
	s_delay_alu instid0(VALU_DEP_3)
	v_add3_u32 v5, v6, v5, v2
	s_cbranch_scc1 .LBB73_1634
; %bb.1635:
	s_set_inst_prefetch_distance 0x2
	s_bitcmp1_b32 s5, 0
	s_cselect_b32 s5, -1, 0
	s_delay_alu instid0(SALU_CYCLE_1)
	s_and_b32 vcc_lo, exec_lo, s5
	s_cbranch_vccnz .LBB73_1638
; %bb.1636:
	s_clause 0x3
	s_load_b64 s[6:7], s[2:3], 0x18
	s_load_b32 s5, s[2:3], 0x20
	s_load_b64 s[10:11], s[2:3], 0xd8
	s_load_b32 s2, s[2:3], 0xe0
	s_waitcnt lgkmcnt(0)
	v_mul_hi_u32 v2, s7, v1
	s_delay_alu instid0(VALU_DEP_1) | instskip(NEXT) | instid1(VALU_DEP_1)
	v_add_nc_u32_e32 v2, v1, v2
	v_lshrrev_b32_e32 v2, s5, v2
	s_delay_alu instid0(VALU_DEP_1) | instskip(NEXT) | instid1(VALU_DEP_1)
	v_mul_lo_u32 v2, v2, s6
	v_sub_nc_u32_e32 v4, v1, v2
	s_delay_alu instid0(VALU_DEP_1) | instskip(SKIP_2) | instid1(VALU_DEP_3)
	v_mad_u64_u32 v[1:2], null, v4, s10, v[3:4]
	v_mad_u64_u32 v[2:3], null, v4, s11, v[11:12]
	;; [unrolled: 1-line block ×3, first 2 shown]
	v_mov_b32_e32 v3, v1
	s_delay_alu instid0(VALU_DEP_3) | instskip(NEXT) | instid1(VALU_DEP_3)
	v_mov_b32_e32 v11, v2
	v_mov_b32_e32 v5, v6
	s_branch .LBB73_1638
.LBB73_1637:
	s_mov_b32 s4, -1
                                        ; implicit-def: $vgpr3
                                        ; implicit-def: $vgpr11
                                        ; implicit-def: $vgpr5
.LBB73_1638:
	s_delay_alu instid0(SALU_CYCLE_1)
	s_and_not1_b32 vcc_lo, exec_lo, s4
	s_cbranch_vccnz .LBB73_1641
; %bb.1639:
	s_clause 0x1
	s_load_b128 s[4:7], s[16:17], 0x4
	s_load_b128 s[12:15], s[16:17], 0xc4
	s_cmp_lt_u32 s24, 2
	s_waitcnt lgkmcnt(0)
	v_mul_hi_u32 v1, s5, v8
	s_delay_alu instid0(VALU_DEP_1) | instskip(NEXT) | instid1(VALU_DEP_1)
	v_add_nc_u32_e32 v1, v8, v1
	v_lshrrev_b32_e32 v1, s6, v1
	s_delay_alu instid0(VALU_DEP_1) | instskip(NEXT) | instid1(VALU_DEP_1)
	v_mul_lo_u32 v2, v1, s4
	v_sub_nc_u32_e32 v2, v8, v2
	s_delay_alu instid0(VALU_DEP_1)
	v_mul_lo_u32 v3, v2, s12
	v_mul_lo_u32 v11, v2, s13
	;; [unrolled: 1-line block ×3, first 2 shown]
	s_cbranch_scc1 .LBB73_1641
; %bb.1640:
	s_clause 0x1
	s_load_b128 s[4:7], s[16:17], 0x10
	s_load_b128 s[12:15], s[16:17], 0xd0
	s_waitcnt lgkmcnt(0)
	v_mul_hi_u32 v2, s5, v1
	s_delay_alu instid0(VALU_DEP_1) | instskip(NEXT) | instid1(VALU_DEP_1)
	v_add_nc_u32_e32 v2, v1, v2
	v_lshrrev_b32_e32 v2, s6, v2
	s_delay_alu instid0(VALU_DEP_1) | instskip(SKIP_1) | instid1(VALU_DEP_1)
	v_mul_lo_u32 v2, v2, s4
	s_waitcnt vmcnt(0)
	v_sub_nc_u32_e32 v4, v1, v2
	s_delay_alu instid0(VALU_DEP_1) | instskip(SKIP_2) | instid1(VALU_DEP_3)
	v_mad_u64_u32 v[1:2], null, v4, s12, v[3:4]
	v_mad_u64_u32 v[2:3], null, v4, s13, v[11:12]
	;; [unrolled: 1-line block ×3, first 2 shown]
	v_mov_b32_e32 v3, v1
	s_delay_alu instid0(VALU_DEP_3) | instskip(NEXT) | instid1(VALU_DEP_3)
	v_mov_b32_e32 v11, v2
	v_mov_b32_e32 v5, v6
.LBB73_1641:
	v_cmp_ne_u32_e32 vcc_lo, 1, v0
	v_add_nc_u32_e32 v1, 0x80, v8
	s_cbranch_vccnz .LBB73_1647
; %bb.1642:
	s_waitcnt vmcnt(0)
	v_dual_mov_b32 v2, 0 :: v_dual_mov_b32 v7, 0
	v_mov_b32_e32 v10, 0
	s_cmp_lg_u32 s24, 0
	s_mov_b32 s4, 0
	s_cbranch_scc0 .LBB73_1648
; %bb.1643:
	s_min_u32 s5, s25, 15
	v_dual_mov_b32 v7, 0 :: v_dual_mov_b32 v10, 0
	s_add_i32 s2, s5, 1
	v_mov_b32_e32 v2, 0
	v_mov_b32_e32 v4, v1
	s_and_b32 s6, s2, 30
	s_add_u32 s2, s16, 0xffffffec
	s_addc_u32 s3, s17, -1
	s_set_inst_prefetch_distance 0x1
	.p2align	6
.LBB73_1644:                            ; =>This Inner Loop Header: Depth=1
	s_clause 0x2
	s_load_b128 s[12:15], s[2:3], 0x18
	s_load_b64 s[10:11], s[2:3], 0x28
	s_load_b128 s[20:23], s[2:3], 0xd8
	s_waitcnt lgkmcnt(0)
	v_mul_hi_u32 v6, s13, v4
	s_delay_alu instid0(VALU_DEP_1) | instskip(NEXT) | instid1(VALU_DEP_1)
	v_add_nc_u32_e32 v6, v4, v6
	v_lshrrev_b32_e32 v6, s14, v6
	s_delay_alu instid0(VALU_DEP_1)
	v_mul_hi_u32 v9, s10, v6
	v_mul_lo_u32 v12, v6, s12
	s_load_b64 s[12:13], s[2:3], 0xe8
	s_add_u32 s2, s2, 24
	s_addc_u32 s3, s3, 0
	s_add_i32 s6, s6, -2
	s_delay_alu instid0(SALU_CYCLE_1) | instskip(NEXT) | instid1(VALU_DEP_2)
	s_cmp_lg_u32 s6, 0
	v_add_nc_u32_e32 v9, v6, v9
	s_delay_alu instid0(VALU_DEP_2) | instskip(NEXT) | instid1(VALU_DEP_2)
	v_sub_nc_u32_e32 v12, v4, v12
	v_lshrrev_b32_e32 v4, s11, v9
	s_delay_alu instid0(VALU_DEP_2) | instskip(NEXT) | instid1(VALU_DEP_2)
	v_mul_lo_u32 v14, v12, s20
	v_mul_lo_u32 v9, v4, s15
	s_delay_alu instid0(VALU_DEP_1) | instskip(SKIP_2) | instid1(VALU_DEP_3)
	v_sub_nc_u32_e32 v6, v6, v9
	v_mul_lo_u32 v9, v12, s21
	v_mul_lo_u32 v12, v12, s22
	;; [unrolled: 1-line block ×3, first 2 shown]
	s_waitcnt lgkmcnt(0)
	v_mul_lo_u32 v16, v6, s12
	v_mul_lo_u32 v6, v6, s13
	s_delay_alu instid0(VALU_DEP_3) | instskip(NEXT) | instid1(VALU_DEP_3)
	v_add3_u32 v2, v14, v2, v15
	v_add3_u32 v10, v9, v10, v16
	s_delay_alu instid0(VALU_DEP_3)
	v_add3_u32 v7, v12, v7, v6
	s_cbranch_scc1 .LBB73_1644
; %bb.1645:
	s_set_inst_prefetch_distance 0x2
	s_bitcmp1_b32 s5, 0
	s_cselect_b32 s5, -1, 0
	s_delay_alu instid0(SALU_CYCLE_1)
	s_and_b32 vcc_lo, exec_lo, s5
	s_cbranch_vccnz .LBB73_1648
; %bb.1646:
	s_clause 0x3
	s_load_b64 s[6:7], s[2:3], 0x18
	s_load_b32 s5, s[2:3], 0x20
	s_load_b64 s[10:11], s[2:3], 0xd8
	s_load_b32 s2, s[2:3], 0xe0
	s_waitcnt lgkmcnt(0)
	v_mul_hi_u32 v6, s7, v4
	s_delay_alu instid0(VALU_DEP_1) | instskip(NEXT) | instid1(VALU_DEP_1)
	v_add_nc_u32_e32 v6, v4, v6
	v_lshrrev_b32_e32 v6, s5, v6
	s_delay_alu instid0(VALU_DEP_1) | instskip(NEXT) | instid1(VALU_DEP_1)
	v_mul_lo_u32 v6, v6, s6
	v_sub_nc_u32_e32 v4, v4, v6
	s_delay_alu instid0(VALU_DEP_1) | instskip(SKIP_2) | instid1(VALU_DEP_3)
	v_mad_u64_u32 v[14:15], null, v4, s10, v[2:3]
	v_mad_u64_u32 v[15:16], null, v4, s11, v[10:11]
	;; [unrolled: 1-line block ×3, first 2 shown]
	v_mov_b32_e32 v2, v14
	s_delay_alu instid0(VALU_DEP_2)
	v_dual_mov_b32 v10, v15 :: v_dual_mov_b32 v7, v9
	s_branch .LBB73_1648
.LBB73_1647:
	s_mov_b32 s4, -1
                                        ; implicit-def: $vgpr2
                                        ; implicit-def: $vgpr10
                                        ; implicit-def: $vgpr7
.LBB73_1648:
	s_delay_alu instid0(SALU_CYCLE_1)
	s_and_not1_b32 vcc_lo, exec_lo, s4
	s_cbranch_vccnz .LBB73_1651
; %bb.1649:
	s_clause 0x1
	s_load_b128 s[4:7], s[16:17], 0x4
	s_load_b128 s[12:15], s[16:17], 0xc4
	s_cmp_lt_u32 s24, 2
	s_waitcnt lgkmcnt(0)
	v_mul_hi_u32 v2, s5, v1
	s_delay_alu instid0(VALU_DEP_1) | instskip(SKIP_1) | instid1(VALU_DEP_1)
	v_add_nc_u32_e32 v2, v1, v2
	s_waitcnt vmcnt(0)
	v_lshrrev_b32_e32 v4, s6, v2
	s_delay_alu instid0(VALU_DEP_1) | instskip(NEXT) | instid1(VALU_DEP_1)
	v_mul_lo_u32 v2, v4, s4
	v_sub_nc_u32_e32 v1, v1, v2
	s_delay_alu instid0(VALU_DEP_1)
	v_mul_lo_u32 v2, v1, s12
	v_mul_lo_u32 v10, v1, s13
	;; [unrolled: 1-line block ×3, first 2 shown]
	s_cbranch_scc1 .LBB73_1651
; %bb.1650:
	s_clause 0x1
	s_load_b128 s[4:7], s[16:17], 0x10
	s_load_b128 s[12:15], s[16:17], 0xd0
	s_waitcnt lgkmcnt(0)
	v_mul_hi_u32 v1, s5, v4
	s_delay_alu instid0(VALU_DEP_1) | instskip(NEXT) | instid1(VALU_DEP_1)
	v_add_nc_u32_e32 v1, v4, v1
	v_lshrrev_b32_e32 v1, s6, v1
	s_delay_alu instid0(VALU_DEP_1) | instskip(NEXT) | instid1(VALU_DEP_1)
	v_mul_lo_u32 v1, v1, s4
	v_sub_nc_u32_e32 v4, v4, v1
	s_delay_alu instid0(VALU_DEP_1) | instskip(SKIP_2) | instid1(VALU_DEP_3)
	v_mad_u64_u32 v[14:15], null, v4, s12, v[2:3]
	v_mad_u64_u32 v[1:2], null, v4, s13, v[10:11]
	;; [unrolled: 1-line block ×3, first 2 shown]
	v_mov_b32_e32 v2, v14
	s_delay_alu instid0(VALU_DEP_3) | instskip(NEXT) | instid1(VALU_DEP_3)
	v_mov_b32_e32 v10, v1
	v_mov_b32_e32 v7, v9
.LBB73_1651:
	v_cmp_ne_u32_e32 vcc_lo, 1, v0
	s_waitcnt vmcnt(0)
	v_add_nc_u32_e32 v4, 0x100, v8
	s_cbranch_vccnz .LBB73_1657
; %bb.1652:
	v_dual_mov_b32 v1, 0 :: v_dual_mov_b32 v8, 0
	v_mov_b32_e32 v9, 0
	s_cmp_lg_u32 s24, 0
	s_mov_b32 s4, 0
	s_cbranch_scc0 .LBB73_1658
; %bb.1653:
	s_min_u32 s5, s25, 15
	v_dual_mov_b32 v8, 0 :: v_dual_mov_b32 v9, 0
	s_add_i32 s2, s5, 1
	v_dual_mov_b32 v1, 0 :: v_dual_mov_b32 v6, v4
	s_and_b32 s6, s2, 30
	s_add_u32 s2, s16, 0xffffffec
	s_addc_u32 s3, s17, -1
	s_set_inst_prefetch_distance 0x1
	.p2align	6
.LBB73_1654:                            ; =>This Inner Loop Header: Depth=1
	s_clause 0x2
	s_load_b128 s[12:15], s[2:3], 0x18
	s_load_b64 s[10:11], s[2:3], 0x28
	s_load_b128 s[20:23], s[2:3], 0xd8
	s_waitcnt lgkmcnt(0)
	v_mul_hi_u32 v12, s13, v6
	s_delay_alu instid0(VALU_DEP_1) | instskip(NEXT) | instid1(VALU_DEP_1)
	v_add_nc_u32_e32 v12, v6, v12
	v_lshrrev_b32_e32 v12, s14, v12
	s_delay_alu instid0(VALU_DEP_1)
	v_mul_hi_u32 v14, s10, v12
	v_mul_lo_u32 v15, v12, s12
	s_load_b64 s[12:13], s[2:3], 0xe8
	s_add_u32 s2, s2, 24
	s_addc_u32 s3, s3, 0
	s_add_i32 s6, s6, -2
	s_delay_alu instid0(SALU_CYCLE_1) | instskip(NEXT) | instid1(VALU_DEP_2)
	s_cmp_lg_u32 s6, 0
	v_add_nc_u32_e32 v14, v12, v14
	s_delay_alu instid0(VALU_DEP_2) | instskip(NEXT) | instid1(VALU_DEP_2)
	v_sub_nc_u32_e32 v15, v6, v15
	v_lshrrev_b32_e32 v6, s11, v14
	s_delay_alu instid0(VALU_DEP_2) | instskip(NEXT) | instid1(VALU_DEP_2)
	v_mul_lo_u32 v16, v15, s20
	v_mul_lo_u32 v14, v6, s15
	s_delay_alu instid0(VALU_DEP_1) | instskip(SKIP_2) | instid1(VALU_DEP_3)
	v_sub_nc_u32_e32 v12, v12, v14
	v_mul_lo_u32 v14, v15, s21
	v_mul_lo_u32 v15, v15, s22
	;; [unrolled: 1-line block ×3, first 2 shown]
	s_waitcnt lgkmcnt(0)
	v_mul_lo_u32 v18, v12, s12
	v_mul_lo_u32 v12, v12, s13
	s_delay_alu instid0(VALU_DEP_3) | instskip(NEXT) | instid1(VALU_DEP_3)
	v_add3_u32 v1, v16, v1, v17
	v_add3_u32 v9, v14, v9, v18
	s_delay_alu instid0(VALU_DEP_3)
	v_add3_u32 v8, v15, v8, v12
	s_cbranch_scc1 .LBB73_1654
; %bb.1655:
	s_set_inst_prefetch_distance 0x2
	s_bitcmp1_b32 s5, 0
	s_cselect_b32 s5, -1, 0
	s_delay_alu instid0(SALU_CYCLE_1)
	s_and_b32 vcc_lo, exec_lo, s5
	s_cbranch_vccnz .LBB73_1658
; %bb.1656:
	s_clause 0x3
	s_load_b64 s[6:7], s[2:3], 0x18
	s_load_b32 s5, s[2:3], 0x20
	s_load_b64 s[10:11], s[2:3], 0xd8
	s_load_b32 s2, s[2:3], 0xe0
	s_waitcnt lgkmcnt(0)
	v_mul_hi_u32 v12, s7, v6
	s_delay_alu instid0(VALU_DEP_1) | instskip(NEXT) | instid1(VALU_DEP_1)
	v_add_nc_u32_e32 v12, v6, v12
	v_lshrrev_b32_e32 v12, s5, v12
	s_delay_alu instid0(VALU_DEP_1) | instskip(NEXT) | instid1(VALU_DEP_1)
	v_mul_lo_u32 v12, v12, s6
	v_sub_nc_u32_e32 v6, v6, v12
	s_delay_alu instid0(VALU_DEP_1) | instskip(SKIP_2) | instid1(VALU_DEP_3)
	v_mad_u64_u32 v[14:15], null, v6, s10, v[1:2]
	v_mad_u64_u32 v[15:16], null, v6, s11, v[9:10]
	;; [unrolled: 1-line block ×3, first 2 shown]
	v_mov_b32_e32 v1, v14
	s_delay_alu instid0(VALU_DEP_2)
	v_dual_mov_b32 v9, v15 :: v_dual_mov_b32 v8, v16
	s_branch .LBB73_1658
.LBB73_1657:
	s_mov_b32 s4, -1
                                        ; implicit-def: $vgpr1
                                        ; implicit-def: $vgpr9
                                        ; implicit-def: $vgpr8
.LBB73_1658:
	s_delay_alu instid0(SALU_CYCLE_1)
	s_and_not1_b32 vcc_lo, exec_lo, s4
	s_cbranch_vccnz .LBB73_1661
; %bb.1659:
	s_clause 0x1
	s_load_b128 s[4:7], s[16:17], 0x4
	s_load_b128 s[12:15], s[16:17], 0xc4
	s_cmp_lt_u32 s24, 2
	s_waitcnt lgkmcnt(0)
	v_mul_hi_u32 v1, s5, v4
	s_delay_alu instid0(VALU_DEP_1) | instskip(NEXT) | instid1(VALU_DEP_1)
	v_add_nc_u32_e32 v1, v4, v1
	v_lshrrev_b32_e32 v6, s6, v1
	s_delay_alu instid0(VALU_DEP_1) | instskip(NEXT) | instid1(VALU_DEP_1)
	v_mul_lo_u32 v1, v6, s4
	v_sub_nc_u32_e32 v4, v4, v1
	s_delay_alu instid0(VALU_DEP_1)
	v_mul_lo_u32 v1, v4, s12
	v_mul_lo_u32 v9, v4, s13
	;; [unrolled: 1-line block ×3, first 2 shown]
	s_cbranch_scc1 .LBB73_1661
; %bb.1660:
	s_clause 0x1
	s_load_b128 s[4:7], s[16:17], 0x10
	s_load_b128 s[12:15], s[16:17], 0xd0
	s_waitcnt lgkmcnt(0)
	v_mul_hi_u32 v4, s5, v6
	s_delay_alu instid0(VALU_DEP_1) | instskip(NEXT) | instid1(VALU_DEP_1)
	v_add_nc_u32_e32 v4, v6, v4
	v_lshrrev_b32_e32 v4, s6, v4
	s_delay_alu instid0(VALU_DEP_1) | instskip(NEXT) | instid1(VALU_DEP_1)
	v_mul_lo_u32 v4, v4, s4
	v_sub_nc_u32_e32 v4, v6, v4
	s_delay_alu instid0(VALU_DEP_1) | instskip(SKIP_2) | instid1(VALU_DEP_3)
	v_mad_u64_u32 v[14:15], null, v4, s12, v[1:2]
	v_mad_u64_u32 v[15:16], null, v4, s13, v[9:10]
	;; [unrolled: 1-line block ×3, first 2 shown]
	v_mov_b32_e32 v1, v14
	s_delay_alu instid0(VALU_DEP_2)
	v_dual_mov_b32 v9, v15 :: v_dual_mov_b32 v8, v16
.LBB73_1661:
	v_cmp_ne_u32_e32 vcc_lo, 1, v0
	s_cbranch_vccnz .LBB73_1667
; %bb.1662:
	v_mov_b32_e32 v0, 0
	v_mov_b32_e32 v6, 0
	;; [unrolled: 1-line block ×3, first 2 shown]
	s_cmp_lg_u32 s24, 0
	s_mov_b32 s4, 0
	s_cbranch_scc0 .LBB73_1668
; %bb.1663:
	s_min_u32 s5, s25, 15
	v_mov_b32_e32 v4, 0
	s_add_i32 s2, s5, 1
	v_mov_b32_e32 v6, 0
	v_mov_b32_e32 v0, 0
	;; [unrolled: 1-line block ×3, first 2 shown]
	s_and_b32 s6, s2, 30
	s_add_u32 s2, s16, 0xffffffec
	s_addc_u32 s3, s17, -1
	s_set_inst_prefetch_distance 0x1
	.p2align	6
.LBB73_1664:                            ; =>This Inner Loop Header: Depth=1
	s_clause 0x2
	s_load_b128 s[12:15], s[2:3], 0x18
	s_load_b64 s[10:11], s[2:3], 0x28
	s_load_b128 s[20:23], s[2:3], 0xd8
	s_waitcnt lgkmcnt(0)
	v_mul_hi_u32 v14, s13, v12
	s_delay_alu instid0(VALU_DEP_1) | instskip(NEXT) | instid1(VALU_DEP_1)
	v_add_nc_u32_e32 v14, v12, v14
	v_lshrrev_b32_e32 v14, s14, v14
	s_delay_alu instid0(VALU_DEP_1)
	v_mul_hi_u32 v15, s10, v14
	v_mul_lo_u32 v16, v14, s12
	s_load_b64 s[12:13], s[2:3], 0xe8
	s_add_u32 s2, s2, 24
	s_addc_u32 s3, s3, 0
	s_add_i32 s6, s6, -2
	s_delay_alu instid0(SALU_CYCLE_1) | instskip(NEXT) | instid1(VALU_DEP_2)
	s_cmp_lg_u32 s6, 0
	v_add_nc_u32_e32 v15, v14, v15
	s_delay_alu instid0(VALU_DEP_2) | instskip(NEXT) | instid1(VALU_DEP_2)
	v_sub_nc_u32_e32 v16, v12, v16
	v_lshrrev_b32_e32 v12, s11, v15
	s_delay_alu instid0(VALU_DEP_2) | instskip(NEXT) | instid1(VALU_DEP_2)
	v_mul_lo_u32 v17, v16, s20
	v_mul_lo_u32 v15, v12, s15
	s_delay_alu instid0(VALU_DEP_1) | instskip(SKIP_2) | instid1(VALU_DEP_3)
	v_sub_nc_u32_e32 v14, v14, v15
	v_mul_lo_u32 v15, v16, s21
	v_mul_lo_u32 v16, v16, s22
	;; [unrolled: 1-line block ×3, first 2 shown]
	s_waitcnt lgkmcnt(0)
	v_mul_lo_u32 v19, v14, s12
	v_mul_lo_u32 v14, v14, s13
	s_delay_alu instid0(VALU_DEP_3) | instskip(NEXT) | instid1(VALU_DEP_3)
	v_add3_u32 v0, v17, v0, v18
	v_add3_u32 v6, v15, v6, v19
	s_delay_alu instid0(VALU_DEP_3)
	v_add3_u32 v4, v16, v4, v14
	s_cbranch_scc1 .LBB73_1664
; %bb.1665:
	s_set_inst_prefetch_distance 0x2
	s_bitcmp1_b32 s5, 0
	s_cselect_b32 s5, -1, 0
	s_delay_alu instid0(SALU_CYCLE_1)
	s_and_b32 vcc_lo, exec_lo, s5
	s_cbranch_vccnz .LBB73_1668
; %bb.1666:
	s_clause 0x3
	s_load_b64 s[6:7], s[2:3], 0x18
	s_load_b32 s5, s[2:3], 0x20
	s_load_b64 s[10:11], s[2:3], 0xd8
	s_load_b32 s2, s[2:3], 0xe0
	s_waitcnt lgkmcnt(0)
	v_mul_hi_u32 v14, s7, v12
	s_delay_alu instid0(VALU_DEP_1) | instskip(NEXT) | instid1(VALU_DEP_1)
	v_add_nc_u32_e32 v14, v12, v14
	v_lshrrev_b32_e32 v14, s5, v14
	s_delay_alu instid0(VALU_DEP_1) | instskip(NEXT) | instid1(VALU_DEP_1)
	v_mul_lo_u32 v14, v14, s6
	v_sub_nc_u32_e32 v12, v12, v14
	s_delay_alu instid0(VALU_DEP_1) | instskip(SKIP_2) | instid1(VALU_DEP_3)
	v_mad_u64_u32 v[14:15], null, v12, s10, v[0:1]
	v_mad_u64_u32 v[15:16], null, v12, s11, v[6:7]
	v_mad_u64_u32 v[16:17], null, v12, s2, v[4:5]
	v_mov_b32_e32 v0, v14
	s_delay_alu instid0(VALU_DEP_3) | instskip(NEXT) | instid1(VALU_DEP_3)
	v_mov_b32_e32 v6, v15
	v_mov_b32_e32 v4, v16
	s_branch .LBB73_1668
.LBB73_1667:
	s_mov_b32 s4, -1
                                        ; implicit-def: $vgpr0
                                        ; implicit-def: $vgpr6
                                        ; implicit-def: $vgpr4
.LBB73_1668:
	s_delay_alu instid0(SALU_CYCLE_1)
	s_and_not1_b32 vcc_lo, exec_lo, s4
	s_cbranch_vccnz .LBB73_1671
; %bb.1669:
	s_clause 0x1
	s_load_b128 s[4:7], s[16:17], 0x4
	s_load_b128 s[12:15], s[16:17], 0xc4
	s_cmp_lt_u32 s24, 2
	s_waitcnt lgkmcnt(0)
	v_mul_hi_u32 v0, s5, v13
	s_delay_alu instid0(VALU_DEP_1) | instskip(NEXT) | instid1(VALU_DEP_1)
	v_add_nc_u32_e32 v0, v13, v0
	v_lshrrev_b32_e32 v12, s6, v0
	s_delay_alu instid0(VALU_DEP_1) | instskip(NEXT) | instid1(VALU_DEP_1)
	v_mul_lo_u32 v0, v12, s4
	v_sub_nc_u32_e32 v4, v13, v0
	s_delay_alu instid0(VALU_DEP_1)
	v_mul_lo_u32 v0, v4, s12
	v_mul_lo_u32 v6, v4, s13
	;; [unrolled: 1-line block ×3, first 2 shown]
	s_cbranch_scc1 .LBB73_1671
; %bb.1670:
	s_clause 0x1
	s_load_b128 s[4:7], s[16:17], 0x10
	s_load_b128 s[12:15], s[16:17], 0xd0
	s_waitcnt lgkmcnt(0)
	v_mul_hi_u32 v13, s5, v12
	s_delay_alu instid0(VALU_DEP_1) | instskip(NEXT) | instid1(VALU_DEP_1)
	v_add_nc_u32_e32 v13, v12, v13
	v_lshrrev_b32_e32 v13, s6, v13
	s_delay_alu instid0(VALU_DEP_1) | instskip(NEXT) | instid1(VALU_DEP_1)
	v_mul_lo_u32 v13, v13, s4
	v_sub_nc_u32_e32 v16, v12, v13
	s_delay_alu instid0(VALU_DEP_1) | instskip(SKIP_2) | instid1(VALU_DEP_3)
	v_mad_u64_u32 v[12:13], null, v16, s12, v[0:1]
	v_mad_u64_u32 v[13:14], null, v16, s13, v[6:7]
	;; [unrolled: 1-line block ×3, first 2 shown]
	v_mov_b32_e32 v0, v12
	s_delay_alu instid0(VALU_DEP_3) | instskip(NEXT) | instid1(VALU_DEP_3)
	v_mov_b32_e32 v6, v13
	v_mov_b32_e32 v4, v14
.LBB73_1671:
	s_clause 0x1
	s_load_b32 s11, s[0:1], 0x1a8
	s_load_b128 s[4:7], s[16:17], 0x188
	s_mov_b32 s2, 0
	s_waitcnt lgkmcnt(0)
	s_lshr_b32 s0, s11, 16
	s_delay_alu instid0(SALU_CYCLE_1) | instskip(SKIP_1) | instid1(VALU_DEP_1)
	v_and_b32_e64 v13, 0xff, s0
	v_add_co_u32 v11, s0, s6, v11
	v_add_co_ci_u32_e64 v12, null, s7, 0, s0
	s_delay_alu instid0(VALU_DEP_3)
	v_cmp_gt_i16_e32 vcc_lo, 11, v13
	s_cbranch_vccnz .LBB73_1678
; %bb.1672:
	v_cmp_lt_i16_e32 vcc_lo, 25, v13
	s_mov_b32 s1, 0
	s_cbranch_vccz .LBB73_1684
; %bb.1673:
	v_cmp_lt_i16_e32 vcc_lo, 28, v13
	s_cbranch_vccz .LBB73_1686
; %bb.1674:
	v_cmp_lt_i16_e32 vcc_lo, 43, v13
	;; [unrolled: 3-line block ×3, first 2 shown]
	s_cbranch_vccz .LBB73_1692
; %bb.1676:
	v_cmp_eq_u16_e32 vcc_lo, 46, v13
	s_mov_b32 s3, 0
	s_cbranch_vccz .LBB73_1734
; %bb.1677:
	global_load_b32 v14, v[11:12], off
	s_mov_b32 s0, 0
	s_mov_b32 s2, -1
	s_waitcnt vmcnt(0)
	v_lshlrev_b32_e32 v14, 16, v14
	s_branch .LBB73_1736
.LBB73_1678:
	s_mov_b32 s10, s8
                                        ; implicit-def: $vgpr14
	s_cbranch_execz .LBB73_1799
; %bb.1679:
	v_cmp_gt_i16_e32 vcc_lo, 5, v13
	s_cbranch_vccnz .LBB73_1685
; %bb.1680:
	v_cmp_gt_i16_e32 vcc_lo, 8, v13
	s_cbranch_vccnz .LBB73_1687
	;; [unrolled: 3-line block ×3, first 2 shown]
; %bb.1682:
	v_cmp_lt_i16_e32 vcc_lo, 9, v13
	s_cbranch_vccz .LBB73_1693
; %bb.1683:
	global_load_b64 v[14:15], v[11:12], off
	s_mov_b32 s0, 0
	s_waitcnt vmcnt(0)
	v_cvt_f32_f64_e32 v14, v[14:15]
	s_branch .LBB73_1694
.LBB73_1684:
	s_mov_b32 s0, 0
                                        ; implicit-def: $vgpr14
	s_cbranch_execnz .LBB73_1764
	s_branch .LBB73_1795
.LBB73_1685:
                                        ; implicit-def: $vgpr14
	s_branch .LBB73_1711
.LBB73_1686:
	s_mov_b32 s3, -1
	s_mov_b32 s0, 0
                                        ; implicit-def: $vgpr14
	s_branch .LBB73_1745
.LBB73_1687:
                                        ; implicit-def: $vgpr14
	s_branch .LBB73_1700
.LBB73_1688:
	s_mov_b32 s0, 0
                                        ; implicit-def: $vgpr14
	s_cbranch_execnz .LBB73_1741
	s_branch .LBB73_1744
.LBB73_1689:
	s_mov_b32 s0, -1
                                        ; implicit-def: $vgpr14
	s_branch .LBB73_1697
.LBB73_1690:
	s_cbranch_execnz .LBB73_1732
; %bb.1691:
	s_or_b32 s6, s6, exec_lo
	s_and_not1_b32 s2, s2, exec_lo
	s_or_b32 exec_lo, exec_lo, s4
	s_and_saveexec_b32 s4, s2
	s_delay_alu instid0(SALU_CYCLE_1)
	s_xor_b32 s2, exec_lo, s4
	s_cbranch_execnz .LBB73_1590
	s_branch .LBB73_1591
.LBB73_1692:
	s_mov_b32 s3, -1
	s_mov_b32 s0, 0
	s_branch .LBB73_1735
.LBB73_1693:
	s_mov_b32 s0, -1
                                        ; implicit-def: $vgpr14
.LBB73_1694:
	s_delay_alu instid0(SALU_CYCLE_1)
	s_and_not1_b32 vcc_lo, exec_lo, s0
	s_cbranch_vccnz .LBB73_1696
; %bb.1695:
	global_load_b32 v14, v[11:12], off
.LBB73_1696:
	s_mov_b32 s0, 0
.LBB73_1697:
	s_delay_alu instid0(SALU_CYCLE_1)
	s_and_not1_b32 vcc_lo, exec_lo, s0
	s_cbranch_vccnz .LBB73_1699
; %bb.1698:
	global_load_b32 v14, v[11:12], off
	s_waitcnt vmcnt(0)
	v_cvt_f32_f16_e32 v14, v14
.LBB73_1699:
	s_cbranch_execnz .LBB73_1710
.LBB73_1700:
	v_cmp_gt_i16_e32 vcc_lo, 6, v13
	s_cbranch_vccnz .LBB73_1703
; %bb.1701:
	v_cmp_lt_i16_e32 vcc_lo, 6, v13
	s_cbranch_vccz .LBB73_1704
; %bb.1702:
	global_load_b64 v[14:15], v[11:12], off
	s_mov_b32 s0, 0
	s_waitcnt vmcnt(0)
	v_cvt_f32_f64_e32 v14, v[14:15]
	s_branch .LBB73_1705
.LBB73_1703:
	s_mov_b32 s0, -1
                                        ; implicit-def: $vgpr14
	s_branch .LBB73_1708
.LBB73_1704:
	s_mov_b32 s0, -1
                                        ; implicit-def: $vgpr14
.LBB73_1705:
	s_delay_alu instid0(SALU_CYCLE_1)
	s_and_not1_b32 vcc_lo, exec_lo, s0
	s_cbranch_vccnz .LBB73_1707
; %bb.1706:
	global_load_b32 v14, v[11:12], off
.LBB73_1707:
	s_mov_b32 s0, 0
.LBB73_1708:
	s_delay_alu instid0(SALU_CYCLE_1)
	s_and_not1_b32 vcc_lo, exec_lo, s0
	s_cbranch_vccnz .LBB73_1710
; %bb.1709:
	global_load_u16 v14, v[11:12], off
	s_waitcnt vmcnt(0)
	v_cvt_f32_f16_e32 v14, v14
.LBB73_1710:
	s_cbranch_execnz .LBB73_1729
.LBB73_1711:
	v_cmp_gt_i16_e32 vcc_lo, 2, v13
	s_cbranch_vccnz .LBB73_1715
; %bb.1712:
	v_cmp_gt_i16_e32 vcc_lo, 3, v13
	s_cbranch_vccnz .LBB73_1716
; %bb.1713:
	v_cmp_lt_i16_e32 vcc_lo, 3, v13
	s_cbranch_vccz .LBB73_1717
; %bb.1714:
	global_load_b64 v[14:15], v[11:12], off
	s_mov_b32 s0, 0
	s_waitcnt vmcnt(0)
	v_xor_b32_e32 v16, v14, v15
	v_cls_i32_e32 v17, v15
	s_delay_alu instid0(VALU_DEP_2) | instskip(NEXT) | instid1(VALU_DEP_2)
	v_ashrrev_i32_e32 v16, 31, v16
	v_add_nc_u32_e32 v17, -1, v17
	s_delay_alu instid0(VALU_DEP_2) | instskip(NEXT) | instid1(VALU_DEP_1)
	v_add_nc_u32_e32 v16, 32, v16
	v_min_u32_e32 v16, v17, v16
	s_delay_alu instid0(VALU_DEP_1) | instskip(NEXT) | instid1(VALU_DEP_1)
	v_lshlrev_b64 v[14:15], v16, v[14:15]
	v_min_u32_e32 v14, 1, v14
	s_delay_alu instid0(VALU_DEP_1) | instskip(SKIP_1) | instid1(VALU_DEP_2)
	v_or_b32_e32 v14, v15, v14
	v_sub_nc_u32_e32 v15, 32, v16
	v_cvt_f32_i32_e32 v14, v14
	s_delay_alu instid0(VALU_DEP_1)
	v_ldexp_f32 v14, v14, v15
	s_branch .LBB73_1718
.LBB73_1715:
                                        ; implicit-def: $vgpr14
	s_branch .LBB73_1724
.LBB73_1716:
	s_mov_b32 s0, -1
                                        ; implicit-def: $vgpr14
	s_branch .LBB73_1721
.LBB73_1717:
	s_mov_b32 s0, -1
                                        ; implicit-def: $vgpr14
.LBB73_1718:
	s_delay_alu instid0(SALU_CYCLE_1)
	s_and_not1_b32 vcc_lo, exec_lo, s0
	s_cbranch_vccnz .LBB73_1720
; %bb.1719:
	global_load_b32 v14, v[11:12], off
	s_waitcnt vmcnt(0)
	v_cvt_f32_i32_e32 v14, v14
.LBB73_1720:
	s_mov_b32 s0, 0
.LBB73_1721:
	s_delay_alu instid0(SALU_CYCLE_1)
	s_and_not1_b32 vcc_lo, exec_lo, s0
	s_cbranch_vccnz .LBB73_1723
; %bb.1722:
	global_load_i16 v14, v[11:12], off
	s_waitcnt vmcnt(0)
	v_cvt_f32_i32_e32 v14, v14
.LBB73_1723:
	s_cbranch_execnz .LBB73_1729
.LBB73_1724:
	v_cmp_lt_i16_e32 vcc_lo, 0, v13
	s_mov_b32 s0, 0
	s_cbranch_vccz .LBB73_1726
; %bb.1725:
	global_load_i8 v14, v[11:12], off
	s_waitcnt vmcnt(0)
	v_cvt_f32_i32_e32 v14, v14
	s_branch .LBB73_1727
.LBB73_1726:
	s_mov_b32 s0, -1
                                        ; implicit-def: $vgpr14
.LBB73_1727:
	s_delay_alu instid0(SALU_CYCLE_1)
	s_and_not1_b32 vcc_lo, exec_lo, s0
	s_cbranch_vccnz .LBB73_1729
; %bb.1728:
	global_load_u8 v11, v[11:12], off
	s_waitcnt vmcnt(0)
	v_cvt_f32_ubyte0_e32 v14, v11
.LBB73_1729:
	s_branch .LBB73_1800
.LBB73_1730:
	s_trap 2
	s_sendmsg_rtn_b32 s0, sendmsg(MSG_RTN_GET_DOORBELL)
	s_mov_b32 ttmp2, m0
	s_waitcnt lgkmcnt(0)
	s_and_b32 s0, s0, 0x3ff
	s_delay_alu instid0(SALU_CYCLE_1) | instskip(NEXT) | instid1(SALU_CYCLE_1)
	s_bitset1_b32 s0, 10
	s_mov_b32 m0, s0
	s_sendmsg sendmsg(MSG_INTERRUPT)
	s_mov_b32 m0, ttmp2
.LBB73_1731:                            ; =>This Inner Loop Header: Depth=1
	s_sethalt 5
	s_branch .LBB73_1731
.LBB73_1732:
	s_trap 2
	s_sendmsg_rtn_b32 s0, sendmsg(MSG_RTN_GET_DOORBELL)
	s_mov_b32 ttmp2, m0
	s_waitcnt lgkmcnt(0)
	s_and_b32 s0, s0, 0x3ff
	s_delay_alu instid0(SALU_CYCLE_1) | instskip(NEXT) | instid1(SALU_CYCLE_1)
	s_bitset1_b32 s0, 10
	s_mov_b32 m0, s0
	s_sendmsg sendmsg(MSG_INTERRUPT)
	s_mov_b32 m0, ttmp2
.LBB73_1733:                            ; =>This Inner Loop Header: Depth=1
	s_sethalt 5
	s_branch .LBB73_1733
.LBB73_1734:
	s_mov_b32 s0, -1
.LBB73_1735:
                                        ; implicit-def: $vgpr14
.LBB73_1736:
	s_and_b32 vcc_lo, exec_lo, s3
	s_cbranch_vccz .LBB73_1739
; %bb.1737:
	v_cmp_eq_u16_e32 vcc_lo, 44, v13
	s_cbranch_vccz .LBB73_1740
; %bb.1738:
	global_load_u8 v14, v[11:12], off
	s_mov_b32 s0, 0
	s_mov_b32 s2, -1
	s_waitcnt vmcnt(0)
	v_lshlrev_b32_e32 v15, 23, v14
	v_cmp_ne_u32_e32 vcc_lo, 0xff, v14
	s_delay_alu instid0(VALU_DEP_2) | instskip(SKIP_1) | instid1(VALU_DEP_2)
	v_cndmask_b32_e32 v15, 0x7f800001, v15, vcc_lo
	v_cmp_ne_u32_e32 vcc_lo, 0, v14
	v_cndmask_b32_e32 v14, 0x400000, v15, vcc_lo
.LBB73_1739:
	s_branch .LBB73_1744
.LBB73_1740:
	s_mov_b32 s0, -1
                                        ; implicit-def: $vgpr14
	s_branch .LBB73_1744
.LBB73_1741:
	v_cmp_eq_u16_e32 vcc_lo, 29, v13
	s_cbranch_vccz .LBB73_1743
; %bb.1742:
	global_load_b64 v[14:15], v[11:12], off
	s_mov_b32 s0, 0
	s_mov_b32 s2, -1
	s_mov_b32 s3, 0
	s_waitcnt vmcnt(0)
	v_clz_i32_u32_e32 v16, v15
	s_delay_alu instid0(VALU_DEP_1) | instskip(NEXT) | instid1(VALU_DEP_1)
	v_min_u32_e32 v16, 32, v16
	v_lshlrev_b64 v[14:15], v16, v[14:15]
	s_delay_alu instid0(VALU_DEP_1) | instskip(NEXT) | instid1(VALU_DEP_1)
	v_min_u32_e32 v14, 1, v14
	v_or_b32_e32 v14, v15, v14
	v_sub_nc_u32_e32 v15, 32, v16
	s_delay_alu instid0(VALU_DEP_2) | instskip(NEXT) | instid1(VALU_DEP_1)
	v_cvt_f32_u32_e32 v14, v14
	v_ldexp_f32 v14, v14, v15
	s_branch .LBB73_1745
.LBB73_1743:
	s_mov_b32 s0, -1
                                        ; implicit-def: $vgpr14
.LBB73_1744:
	s_mov_b32 s3, 0
.LBB73_1745:
	s_delay_alu instid0(SALU_CYCLE_1)
	s_and_b32 vcc_lo, exec_lo, s3
	s_cbranch_vccz .LBB73_1763
; %bb.1746:
	v_cmp_gt_i16_e32 vcc_lo, 27, v13
	s_cbranch_vccnz .LBB73_1749
; %bb.1747:
	v_cmp_lt_i16_e32 vcc_lo, 27, v13
	s_cbranch_vccz .LBB73_1750
; %bb.1748:
	global_load_b32 v14, v[11:12], off
	s_mov_b32 s2, 0
	s_waitcnt vmcnt(0)
	v_cvt_f32_u32_e32 v14, v14
	s_branch .LBB73_1751
.LBB73_1749:
	s_mov_b32 s2, -1
                                        ; implicit-def: $vgpr14
	s_branch .LBB73_1754
.LBB73_1750:
	s_mov_b32 s2, -1
                                        ; implicit-def: $vgpr14
.LBB73_1751:
	s_delay_alu instid0(SALU_CYCLE_1)
	s_and_not1_b32 vcc_lo, exec_lo, s2
	s_cbranch_vccnz .LBB73_1753
; %bb.1752:
	global_load_u16 v14, v[11:12], off
	s_waitcnt vmcnt(0)
	v_cvt_f32_u32_e32 v14, v14
.LBB73_1753:
	s_mov_b32 s2, 0
.LBB73_1754:
	s_delay_alu instid0(SALU_CYCLE_1)
	s_and_not1_b32 vcc_lo, exec_lo, s2
	s_cbranch_vccnz .LBB73_1762
; %bb.1755:
	global_load_u8 v15, v[11:12], off
	s_mov_b32 s2, 0
	s_mov_b32 s10, exec_lo
                                        ; implicit-def: $sgpr3
	s_waitcnt vmcnt(0)
	v_cmpx_lt_i16_e32 0x7f, v15
	s_xor_b32 s10, exec_lo, s10
	s_cbranch_execz .LBB73_1775
; %bb.1756:
	s_mov_b32 s2, -1
	s_mov_b32 s12, exec_lo
                                        ; implicit-def: $sgpr3
	v_cmpx_eq_u16_e32 0x80, v15
; %bb.1757:
	s_mov_b32 s3, 0x7f800001
	s_xor_b32 s2, exec_lo, -1
; %bb.1758:
	s_or_b32 exec_lo, exec_lo, s12
	s_delay_alu instid0(SALU_CYCLE_1)
	s_and_b32 s2, s2, exec_lo
	s_or_saveexec_b32 s10, s10
	v_mov_b32_e32 v14, s3
	s_xor_b32 exec_lo, exec_lo, s10
	s_cbranch_execnz .LBB73_1776
.LBB73_1759:
	s_or_b32 exec_lo, exec_lo, s10
	s_and_saveexec_b32 s3, s2
	s_cbranch_execz .LBB73_1761
.LBB73_1760:
	v_and_b32_e32 v14, 0xffff, v15
	s_delay_alu instid0(VALU_DEP_1) | instskip(NEXT) | instid1(VALU_DEP_1)
	v_and_b32_e32 v16, 7, v14
	v_clz_i32_u32_e32 v17, v16
	s_delay_alu instid0(VALU_DEP_1) | instskip(NEXT) | instid1(VALU_DEP_1)
	v_min_u32_e32 v17, 32, v17
	v_subrev_nc_u32_e32 v18, 28, v17
	v_sub_nc_u32_e32 v17, 29, v17
	s_delay_alu instid0(VALU_DEP_2) | instskip(SKIP_1) | instid1(VALU_DEP_2)
	v_lshlrev_b32_e32 v18, v18, v14
	v_bfe_u32 v14, v14, 3, 4
	v_and_b32_e32 v18, 7, v18
	s_delay_alu instid0(VALU_DEP_2) | instskip(SKIP_1) | instid1(VALU_DEP_1)
	v_cmp_eq_u32_e32 vcc_lo, 0, v14
	v_dual_cndmask_b32 v14, v14, v17 :: v_dual_lshlrev_b32 v15, 24, v15
	v_dual_cndmask_b32 v16, v16, v18 :: v_dual_and_b32 v15, 0x80000000, v15
	s_delay_alu instid0(VALU_DEP_2) | instskip(NEXT) | instid1(VALU_DEP_2)
	v_lshl_add_u32 v14, v14, 23, 0x3b800000
	v_lshlrev_b32_e32 v16, 20, v16
	s_delay_alu instid0(VALU_DEP_1)
	v_or3_b32 v14, v15, v14, v16
.LBB73_1761:
	s_or_b32 exec_lo, exec_lo, s3
.LBB73_1762:
	s_mov_b32 s2, -1
.LBB73_1763:
	s_branch .LBB73_1795
.LBB73_1764:
	v_cmp_lt_i16_e32 vcc_lo, 22, v13
	s_cbranch_vccz .LBB73_1774
; %bb.1765:
	v_cmp_gt_i16_e32 vcc_lo, 24, v13
	s_cbranch_vccnz .LBB73_1777
; %bb.1766:
	v_cmp_lt_i16_e32 vcc_lo, 24, v13
	s_cbranch_vccz .LBB73_1778
; %bb.1767:
	global_load_u8 v15, v[11:12], off
	s_mov_b32 s3, exec_lo
                                        ; implicit-def: $sgpr2
	s_waitcnt vmcnt(0)
	v_cmpx_lt_i16_e32 0x7f, v15
	s_xor_b32 s3, exec_lo, s3
	s_cbranch_execz .LBB73_1789
; %bb.1768:
	s_mov_b32 s1, -1
	s_mov_b32 s10, exec_lo
                                        ; implicit-def: $sgpr2
	v_cmpx_eq_u16_e32 0x80, v15
; %bb.1769:
	s_mov_b32 s2, 0x7f800001
	s_xor_b32 s1, exec_lo, -1
; %bb.1770:
	s_or_b32 exec_lo, exec_lo, s10
	s_delay_alu instid0(SALU_CYCLE_1)
	s_and_b32 s1, s1, exec_lo
	s_or_saveexec_b32 s3, s3
	v_mov_b32_e32 v14, s2
	s_xor_b32 exec_lo, exec_lo, s3
	s_cbranch_execnz .LBB73_1790
.LBB73_1771:
	s_or_b32 exec_lo, exec_lo, s3
	s_and_saveexec_b32 s2, s1
	s_cbranch_execz .LBB73_1773
.LBB73_1772:
	v_and_b32_e32 v14, 0xffff, v15
	s_delay_alu instid0(VALU_DEP_1) | instskip(NEXT) | instid1(VALU_DEP_1)
	v_and_b32_e32 v16, 3, v14
	v_clz_i32_u32_e32 v17, v16
	s_delay_alu instid0(VALU_DEP_1) | instskip(NEXT) | instid1(VALU_DEP_1)
	v_min_u32_e32 v17, 32, v17
	v_subrev_nc_u32_e32 v18, 29, v17
	v_sub_nc_u32_e32 v17, 30, v17
	s_delay_alu instid0(VALU_DEP_2) | instskip(SKIP_1) | instid1(VALU_DEP_2)
	v_lshlrev_b32_e32 v18, v18, v14
	v_bfe_u32 v14, v14, 2, 5
	v_and_b32_e32 v18, 3, v18
	s_delay_alu instid0(VALU_DEP_2) | instskip(SKIP_1) | instid1(VALU_DEP_1)
	v_cmp_eq_u32_e32 vcc_lo, 0, v14
	v_dual_cndmask_b32 v14, v14, v17 :: v_dual_lshlrev_b32 v15, 24, v15
	v_dual_cndmask_b32 v16, v16, v18 :: v_dual_and_b32 v15, 0x80000000, v15
	s_delay_alu instid0(VALU_DEP_2) | instskip(NEXT) | instid1(VALU_DEP_2)
	v_lshl_add_u32 v14, v14, 23, 0x37800000
	v_lshlrev_b32_e32 v16, 21, v16
	s_delay_alu instid0(VALU_DEP_1)
	v_or3_b32 v14, v15, v14, v16
.LBB73_1773:
	s_or_b32 exec_lo, exec_lo, s2
	s_mov_b32 s1, 0
	s_branch .LBB73_1779
.LBB73_1774:
                                        ; implicit-def: $vgpr14
	s_mov_b32 s1, 0
	s_branch .LBB73_1785
.LBB73_1775:
	s_or_saveexec_b32 s10, s10
	v_mov_b32_e32 v14, s3
	s_xor_b32 exec_lo, exec_lo, s10
	s_cbranch_execz .LBB73_1759
.LBB73_1776:
	v_cmp_ne_u16_e32 vcc_lo, 0, v15
	v_mov_b32_e32 v14, 0
	s_and_not1_b32 s2, s2, exec_lo
	s_and_b32 s3, vcc_lo, exec_lo
	s_delay_alu instid0(SALU_CYCLE_1)
	s_or_b32 s2, s2, s3
	s_or_b32 exec_lo, exec_lo, s10
	s_and_saveexec_b32 s3, s2
	s_cbranch_execnz .LBB73_1760
	s_branch .LBB73_1761
.LBB73_1777:
	s_mov_b32 s1, -1
                                        ; implicit-def: $vgpr14
	s_branch .LBB73_1782
.LBB73_1778:
	s_mov_b32 s1, -1
                                        ; implicit-def: $vgpr14
.LBB73_1779:
	s_delay_alu instid0(SALU_CYCLE_1)
	s_and_b32 vcc_lo, exec_lo, s1
	s_cbranch_vccz .LBB73_1781
; %bb.1780:
	global_load_u8 v14, v[11:12], off
	s_waitcnt vmcnt(0)
	v_lshlrev_b32_e32 v14, 24, v14
	s_delay_alu instid0(VALU_DEP_1) | instskip(NEXT) | instid1(VALU_DEP_1)
	v_and_b32_e32 v15, 0x7f000000, v14
	v_clz_i32_u32_e32 v16, v15
	v_add_nc_u32_e32 v18, 0x1000000, v15
	v_cmp_ne_u32_e32 vcc_lo, 0, v15
	s_delay_alu instid0(VALU_DEP_3) | instskip(NEXT) | instid1(VALU_DEP_1)
	v_min_u32_e32 v16, 32, v16
	v_sub_nc_u32_e64 v16, v16, 4 clamp
	s_delay_alu instid0(VALU_DEP_1) | instskip(SKIP_1) | instid1(VALU_DEP_2)
	v_lshlrev_b32_e32 v17, v16, v15
	v_lshlrev_b32_e32 v16, 23, v16
	v_lshrrev_b32_e32 v17, 4, v17
	s_delay_alu instid0(VALU_DEP_1) | instskip(SKIP_1) | instid1(VALU_DEP_2)
	v_sub_nc_u32_e32 v16, v17, v16
	v_ashrrev_i32_e32 v17, 8, v18
	v_add_nc_u32_e32 v16, 0x3c000000, v16
	s_delay_alu instid0(VALU_DEP_1) | instskip(NEXT) | instid1(VALU_DEP_1)
	v_and_or_b32 v16, 0x7f800000, v17, v16
	v_cndmask_b32_e32 v15, 0, v16, vcc_lo
	s_delay_alu instid0(VALU_DEP_1)
	v_and_or_b32 v14, 0x80000000, v14, v15
.LBB73_1781:
	s_mov_b32 s1, 0
.LBB73_1782:
	s_delay_alu instid0(SALU_CYCLE_1)
	s_and_not1_b32 vcc_lo, exec_lo, s1
	s_cbranch_vccnz .LBB73_1784
; %bb.1783:
	global_load_u8 v14, v[11:12], off
	s_waitcnt vmcnt(0)
	v_lshlrev_b32_e32 v15, 25, v14
	v_lshlrev_b16 v14, 8, v14
	s_delay_alu instid0(VALU_DEP_2) | instskip(NEXT) | instid1(VALU_DEP_2)
	v_lshrrev_b32_e32 v16, 4, v15
	v_and_or_b32 v17, 0x7f00, v14, 0.5
	v_bfe_i32 v14, v14, 0, 16
	s_delay_alu instid0(VALU_DEP_3) | instskip(NEXT) | instid1(VALU_DEP_1)
	v_or_b32_e32 v16, 0x70000000, v16
	v_dual_add_f32 v17, -0.5, v17 :: v_dual_mul_f32 v16, 0x7800000, v16
	v_cmp_gt_u32_e32 vcc_lo, 0x8000000, v15
	s_delay_alu instid0(VALU_DEP_2) | instskip(NEXT) | instid1(VALU_DEP_1)
	v_cndmask_b32_e32 v15, v16, v17, vcc_lo
	v_and_or_b32 v14, 0x80000000, v14, v15
.LBB73_1784:
	s_mov_b32 s2, -1
	s_mov_b32 s1, 0
	s_cbranch_execnz .LBB73_1795
.LBB73_1785:
	v_cmp_lt_i16_e32 vcc_lo, 14, v13
	s_cbranch_vccz .LBB73_1788
; %bb.1786:
	v_cmp_eq_u16_e32 vcc_lo, 15, v13
	s_cbranch_vccz .LBB73_1791
; %bb.1787:
	global_load_u16 v14, v[11:12], off
	s_mov_b32 s0, 0
	s_mov_b32 s2, -1
	s_waitcnt vmcnt(0)
	v_lshlrev_b32_e32 v14, 16, v14
	s_branch .LBB73_1793
.LBB73_1788:
	s_mov_b32 s1, -1
	s_branch .LBB73_1792
.LBB73_1789:
	s_or_saveexec_b32 s3, s3
	v_mov_b32_e32 v14, s2
	s_xor_b32 exec_lo, exec_lo, s3
	s_cbranch_execz .LBB73_1771
.LBB73_1790:
	v_cmp_ne_u16_e32 vcc_lo, 0, v15
	v_mov_b32_e32 v14, 0
	s_and_not1_b32 s1, s1, exec_lo
	s_and_b32 s2, vcc_lo, exec_lo
	s_delay_alu instid0(SALU_CYCLE_1)
	s_or_b32 s1, s1, s2
	s_or_b32 exec_lo, exec_lo, s3
	s_and_saveexec_b32 s2, s1
	s_cbranch_execnz .LBB73_1772
	s_branch .LBB73_1773
.LBB73_1791:
	s_mov_b32 s0, -1
.LBB73_1792:
                                        ; implicit-def: $vgpr14
.LBB73_1793:
	s_and_b32 vcc_lo, exec_lo, s1
	s_mov_b32 s1, 0
	s_cbranch_vccz .LBB73_1795
; %bb.1794:
	v_cmp_ne_u16_e64 s0, 11, v13
	s_mov_b32 s1, -1
                                        ; implicit-def: $vgpr14
.LBB73_1795:
	s_delay_alu instid0(VALU_DEP_1)
	s_and_b32 vcc_lo, exec_lo, s0
	s_mov_b32 s10, s8
	s_cbranch_vccnz .LBB73_1819
; %bb.1796:
	s_and_not1_b32 vcc_lo, exec_lo, s1
	s_cbranch_vccnz .LBB73_1798
.LBB73_1797:
	global_load_u8 v14, v[11:12], off
	s_mov_b32 s2, -1
	s_waitcnt vmcnt(0)
	v_cmp_ne_u16_e32 vcc_lo, 0, v14
	v_cndmask_b32_e64 v14, 0, 1.0, vcc_lo
.LBB73_1798:
.LBB73_1799:
	s_and_not1_b32 vcc_lo, exec_lo, s2
	s_cbranch_vccnz .LBB73_3218
.LBB73_1800:
	s_load_b64 s[0:1], s[16:17], 0x198
	s_lshr_b32 s12, s11, 24
	s_mov_b32 s13, 0
	v_cmp_lt_i16_e64 s2, s12, 11
	s_delay_alu instid0(VALU_DEP_1) | instskip(SKIP_2) | instid1(VALU_DEP_1)
	s_and_b32 vcc_lo, exec_lo, s2
	s_waitcnt lgkmcnt(0)
	v_add_co_u32 v11, s3, s0, v5
	v_add_co_ci_u32_e64 v12, null, s1, 0, s3
	s_cbranch_vccnz .LBB73_1807
; %bb.1801:
	v_cmp_gt_i16_e64 s2, s12, 25
	s_mov_b32 s3, 0
	s_delay_alu instid0(VALU_DEP_1)
	s_and_b32 vcc_lo, exec_lo, s2
	s_cbranch_vccz .LBB73_1813
; %bb.1802:
	v_cmp_gt_i16_e64 s2, s12, 28
	s_delay_alu instid0(VALU_DEP_1)
	s_and_b32 vcc_lo, exec_lo, s2
	s_cbranch_vccz .LBB73_1815
; %bb.1803:
	v_cmp_gt_i16_e64 s2, s12, 43
	;; [unrolled: 5-line block ×3, first 2 shown]
	s_delay_alu instid0(VALU_DEP_1)
	s_and_b32 vcc_lo, exec_lo, s2
	s_cbranch_vccz .LBB73_1821
; %bb.1805:
	v_cmp_eq_u16_e64 s2, s12, 46
	s_mov_b32 s14, 0
	s_delay_alu instid0(VALU_DEP_1)
	s_and_b32 vcc_lo, exec_lo, s2
	s_cbranch_vccz .LBB73_1865
; %bb.1806:
	global_load_b32 v5, v[11:12], off
	s_mov_b32 s2, 0
	s_mov_b32 s13, -1
	s_waitcnt vmcnt(0)
	v_lshlrev_b32_e32 v5, 16, v5
	s_branch .LBB73_1867
.LBB73_1807:
                                        ; implicit-def: $vgpr5
	s_cbranch_execz .LBB73_1932
; %bb.1808:
	v_cmp_lt_i16_e64 s2, s12, 5
	s_delay_alu instid0(VALU_DEP_1)
	s_and_b32 vcc_lo, exec_lo, s2
	s_cbranch_vccnz .LBB73_1814
; %bb.1809:
	v_cmp_lt_i16_e64 s2, s12, 8
	s_delay_alu instid0(VALU_DEP_1)
	s_and_b32 vcc_lo, exec_lo, s2
	s_cbranch_vccnz .LBB73_1816
	;; [unrolled: 5-line block ×3, first 2 shown]
; %bb.1811:
	v_cmp_gt_i16_e64 s2, s12, 9
	s_delay_alu instid0(VALU_DEP_1)
	s_and_b32 vcc_lo, exec_lo, s2
	s_cbranch_vccz .LBB73_1824
; %bb.1812:
	global_load_b64 v[15:16], v[11:12], off
	s_mov_b32 s2, 0
	s_waitcnt vmcnt(0)
	v_cvt_f32_f64_e32 v5, v[15:16]
	s_branch .LBB73_1825
.LBB73_1813:
	s_mov_b32 s2, 0
                                        ; implicit-def: $vgpr5
	s_cbranch_execnz .LBB73_1896
	s_branch .LBB73_1928
.LBB73_1814:
                                        ; implicit-def: $vgpr5
	s_branch .LBB73_1843
.LBB73_1815:
	s_mov_b32 s14, -1
	s_mov_b32 s2, 0
                                        ; implicit-def: $vgpr5
	s_branch .LBB73_1877
.LBB73_1816:
	s_mov_b32 s2, -1
                                        ; implicit-def: $vgpr5
	s_branch .LBB73_1831
.LBB73_1817:
	s_mov_b32 s14, -1
	s_mov_b32 s2, 0
                                        ; implicit-def: $vgpr5
	s_branch .LBB73_1872
.LBB73_1818:
	s_mov_b32 s2, -1
                                        ; implicit-def: $vgpr5
	s_branch .LBB73_1828
.LBB73_1819:
	s_cbranch_execnz .LBB73_1863
; %bb.1820:
	s_or_b32 s10, s8, exec_lo
                                        ; implicit-def: $vgpr14
	s_cbranch_execz .LBB73_1797
	s_branch .LBB73_1798
.LBB73_1821:
	s_mov_b32 s14, -1
	s_mov_b32 s2, 0
	s_branch .LBB73_1866
.LBB73_1822:
	s_or_saveexec_b32 s5, s5
                                        ; implicit-def: $sgpr8
	s_delay_alu instid0(SALU_CYCLE_1)
	s_xor_b32 exec_lo, exec_lo, s5
	s_cbranch_execz .LBB73_1541
.LBB73_1823:
	v_add_f32_e64 v0, 0x46000000, |v1|
	s_and_not1_b32 s4, s4, exec_lo
	s_mov_b32 s8, 0
	s_delay_alu instid0(VALU_DEP_1) | instskip(NEXT) | instid1(VALU_DEP_1)
	v_and_b32_e32 v0, 0xff, v0
	v_cmp_ne_u32_e32 vcc_lo, 0, v0
	s_and_b32 s9, vcc_lo, exec_lo
	s_delay_alu instid0(SALU_CYCLE_1)
	s_or_b32 s4, s4, s9
	s_or_b32 exec_lo, exec_lo, s5
	v_mov_b32_e32 v2, s8
	s_and_saveexec_b32 s5, s4
	s_cbranch_execnz .LBB73_1542
	s_branch .LBB73_1543
.LBB73_1824:
	s_mov_b32 s2, -1
                                        ; implicit-def: $vgpr5
.LBB73_1825:
	s_delay_alu instid0(SALU_CYCLE_1)
	s_and_not1_b32 vcc_lo, exec_lo, s2
	s_cbranch_vccnz .LBB73_1827
; %bb.1826:
	global_load_b32 v5, v[11:12], off
.LBB73_1827:
	s_mov_b32 s2, 0
.LBB73_1828:
	s_delay_alu instid0(SALU_CYCLE_1)
	s_and_not1_b32 vcc_lo, exec_lo, s2
	s_cbranch_vccnz .LBB73_1830
; %bb.1829:
	global_load_b32 v5, v[11:12], off
	s_waitcnt vmcnt(0)
	v_cvt_f32_f16_e32 v5, v5
.LBB73_1830:
	s_mov_b32 s2, 0
.LBB73_1831:
	s_delay_alu instid0(SALU_CYCLE_1)
	s_and_not1_b32 vcc_lo, exec_lo, s2
	s_cbranch_vccnz .LBB73_1842
; %bb.1832:
	v_cmp_lt_i16_e64 s2, s12, 6
	s_delay_alu instid0(VALU_DEP_1)
	s_and_b32 vcc_lo, exec_lo, s2
	s_cbranch_vccnz .LBB73_1835
; %bb.1833:
	v_cmp_gt_i16_e64 s2, s12, 6
	s_delay_alu instid0(VALU_DEP_1)
	s_and_b32 vcc_lo, exec_lo, s2
	s_cbranch_vccz .LBB73_1836
; %bb.1834:
	global_load_b64 v[15:16], v[11:12], off
	s_mov_b32 s2, 0
	s_waitcnt vmcnt(0)
	v_cvt_f32_f64_e32 v5, v[15:16]
	s_branch .LBB73_1837
.LBB73_1835:
	s_mov_b32 s2, -1
                                        ; implicit-def: $vgpr5
	s_branch .LBB73_1840
.LBB73_1836:
	s_mov_b32 s2, -1
                                        ; implicit-def: $vgpr5
.LBB73_1837:
	s_delay_alu instid0(SALU_CYCLE_1)
	s_and_not1_b32 vcc_lo, exec_lo, s2
	s_cbranch_vccnz .LBB73_1839
; %bb.1838:
	global_load_b32 v5, v[11:12], off
.LBB73_1839:
	s_mov_b32 s2, 0
.LBB73_1840:
	s_delay_alu instid0(SALU_CYCLE_1)
	s_and_not1_b32 vcc_lo, exec_lo, s2
	s_cbranch_vccnz .LBB73_1842
; %bb.1841:
	global_load_u16 v5, v[11:12], off
	s_waitcnt vmcnt(0)
	v_cvt_f32_f16_e32 v5, v5
.LBB73_1842:
	s_cbranch_execnz .LBB73_1862
.LBB73_1843:
	v_cmp_lt_i16_e64 s2, s12, 2
	s_delay_alu instid0(VALU_DEP_1)
	s_and_b32 vcc_lo, exec_lo, s2
	s_cbranch_vccnz .LBB73_1847
; %bb.1844:
	v_cmp_lt_i16_e64 s2, s12, 3
	s_delay_alu instid0(VALU_DEP_1)
	s_and_b32 vcc_lo, exec_lo, s2
	s_cbranch_vccnz .LBB73_1848
; %bb.1845:
	v_cmp_gt_i16_e64 s2, s12, 3
	s_delay_alu instid0(VALU_DEP_1)
	s_and_b32 vcc_lo, exec_lo, s2
	s_cbranch_vccz .LBB73_1849
; %bb.1846:
	global_load_b64 v[15:16], v[11:12], off
	s_mov_b32 s2, 0
	s_waitcnt vmcnt(0)
	v_xor_b32_e32 v5, v15, v16
	v_cls_i32_e32 v17, v16
	s_delay_alu instid0(VALU_DEP_2) | instskip(NEXT) | instid1(VALU_DEP_2)
	v_ashrrev_i32_e32 v5, 31, v5
	v_add_nc_u32_e32 v17, -1, v17
	s_delay_alu instid0(VALU_DEP_2) | instskip(NEXT) | instid1(VALU_DEP_1)
	v_add_nc_u32_e32 v5, 32, v5
	v_min_u32_e32 v5, v17, v5
	s_delay_alu instid0(VALU_DEP_1) | instskip(SKIP_1) | instid1(VALU_DEP_2)
	v_lshlrev_b64 v[15:16], v5, v[15:16]
	v_sub_nc_u32_e32 v5, 32, v5
	v_min_u32_e32 v15, 1, v15
	s_delay_alu instid0(VALU_DEP_1) | instskip(NEXT) | instid1(VALU_DEP_1)
	v_or_b32_e32 v15, v16, v15
	v_cvt_f32_i32_e32 v15, v15
	s_delay_alu instid0(VALU_DEP_1)
	v_ldexp_f32 v5, v15, v5
	s_branch .LBB73_1850
.LBB73_1847:
	s_mov_b32 s2, -1
                                        ; implicit-def: $vgpr5
	s_branch .LBB73_1856
.LBB73_1848:
	s_mov_b32 s2, -1
                                        ; implicit-def: $vgpr5
	s_branch .LBB73_1853
.LBB73_1849:
	s_mov_b32 s2, -1
                                        ; implicit-def: $vgpr5
.LBB73_1850:
	s_delay_alu instid0(SALU_CYCLE_1)
	s_and_not1_b32 vcc_lo, exec_lo, s2
	s_cbranch_vccnz .LBB73_1852
; %bb.1851:
	global_load_b32 v5, v[11:12], off
	s_waitcnt vmcnt(0)
	v_cvt_f32_i32_e32 v5, v5
.LBB73_1852:
	s_mov_b32 s2, 0
.LBB73_1853:
	s_delay_alu instid0(SALU_CYCLE_1)
	s_and_not1_b32 vcc_lo, exec_lo, s2
	s_cbranch_vccnz .LBB73_1855
; %bb.1854:
	global_load_i16 v5, v[11:12], off
	s_waitcnt vmcnt(0)
	v_cvt_f32_i32_e32 v5, v5
.LBB73_1855:
	s_mov_b32 s2, 0
.LBB73_1856:
	s_delay_alu instid0(SALU_CYCLE_1)
	s_and_not1_b32 vcc_lo, exec_lo, s2
	s_cbranch_vccnz .LBB73_1862
; %bb.1857:
	v_cmp_gt_i16_e64 s2, s12, 0
	s_delay_alu instid0(VALU_DEP_1)
	s_and_b32 vcc_lo, exec_lo, s2
	s_mov_b32 s2, 0
	s_cbranch_vccz .LBB73_1859
; %bb.1858:
	global_load_i8 v5, v[11:12], off
	s_waitcnt vmcnt(0)
	v_cvt_f32_i32_e32 v5, v5
	s_branch .LBB73_1860
.LBB73_1859:
	s_mov_b32 s2, -1
                                        ; implicit-def: $vgpr5
.LBB73_1860:
	s_delay_alu instid0(SALU_CYCLE_1)
	s_and_not1_b32 vcc_lo, exec_lo, s2
	s_cbranch_vccnz .LBB73_1862
; %bb.1861:
	global_load_u8 v5, v[11:12], off
	s_waitcnt vmcnt(0)
	v_cvt_f32_ubyte0_e32 v5, v5
.LBB73_1862:
	s_branch .LBB73_1933
.LBB73_1863:
	s_trap 2
	s_sendmsg_rtn_b32 s0, sendmsg(MSG_RTN_GET_DOORBELL)
	s_mov_b32 ttmp2, m0
	s_waitcnt lgkmcnt(0)
	s_and_b32 s0, s0, 0x3ff
	s_delay_alu instid0(SALU_CYCLE_1) | instskip(NEXT) | instid1(SALU_CYCLE_1)
	s_bitset1_b32 s0, 10
	s_mov_b32 m0, s0
	s_sendmsg sendmsg(MSG_INTERRUPT)
	s_mov_b32 m0, ttmp2
.LBB73_1864:                            ; =>This Inner Loop Header: Depth=1
	s_sethalt 5
	s_branch .LBB73_1864
.LBB73_1865:
	s_mov_b32 s2, -1
.LBB73_1866:
                                        ; implicit-def: $vgpr5
.LBB73_1867:
	s_and_b32 vcc_lo, exec_lo, s14
	s_cbranch_vccz .LBB73_1871
; %bb.1868:
	v_cmp_eq_u16_e64 s2, s12, 44
	s_delay_alu instid0(VALU_DEP_1)
	s_and_b32 vcc_lo, exec_lo, s2
	s_cbranch_vccz .LBB73_1870
; %bb.1869:
	global_load_u8 v5, v[11:12], off
	s_mov_b32 s2, 0
	s_mov_b32 s13, -1
	s_waitcnt vmcnt(0)
	v_lshlrev_b32_e32 v15, 23, v5
	v_cmp_ne_u32_e32 vcc_lo, 0xff, v5
	s_delay_alu instid0(VALU_DEP_2) | instskip(SKIP_1) | instid1(VALU_DEP_2)
	v_cndmask_b32_e32 v15, 0x7f800001, v15, vcc_lo
	v_cmp_ne_u32_e32 vcc_lo, 0, v5
	v_cndmask_b32_e32 v5, 0x400000, v15, vcc_lo
	s_branch .LBB73_1871
.LBB73_1870:
	s_mov_b32 s2, -1
                                        ; implicit-def: $vgpr5
.LBB73_1871:
	s_mov_b32 s14, 0
.LBB73_1872:
	s_delay_alu instid0(SALU_CYCLE_1)
	s_and_b32 vcc_lo, exec_lo, s14
	s_cbranch_vccz .LBB73_1876
; %bb.1873:
	v_cmp_eq_u16_e64 s2, s12, 29
	s_delay_alu instid0(VALU_DEP_1)
	s_and_b32 vcc_lo, exec_lo, s2
	s_cbranch_vccz .LBB73_1875
; %bb.1874:
	global_load_b64 v[15:16], v[11:12], off
	s_mov_b32 s2, 0
	s_mov_b32 s13, -1
	s_mov_b32 s14, 0
	s_waitcnt vmcnt(0)
	v_clz_i32_u32_e32 v5, v16
	s_delay_alu instid0(VALU_DEP_1) | instskip(NEXT) | instid1(VALU_DEP_1)
	v_min_u32_e32 v5, 32, v5
	v_lshlrev_b64 v[15:16], v5, v[15:16]
	v_sub_nc_u32_e32 v5, 32, v5
	s_delay_alu instid0(VALU_DEP_2) | instskip(NEXT) | instid1(VALU_DEP_1)
	v_min_u32_e32 v15, 1, v15
	v_or_b32_e32 v15, v16, v15
	s_delay_alu instid0(VALU_DEP_1) | instskip(NEXT) | instid1(VALU_DEP_1)
	v_cvt_f32_u32_e32 v15, v15
	v_ldexp_f32 v5, v15, v5
	s_branch .LBB73_1877
.LBB73_1875:
	s_mov_b32 s2, -1
                                        ; implicit-def: $vgpr5
.LBB73_1876:
	s_mov_b32 s14, 0
.LBB73_1877:
	s_delay_alu instid0(SALU_CYCLE_1)
	s_and_b32 vcc_lo, exec_lo, s14
	s_cbranch_vccz .LBB73_1895
; %bb.1878:
	v_cmp_lt_i16_e64 s13, s12, 27
	s_delay_alu instid0(VALU_DEP_1)
	s_and_b32 vcc_lo, exec_lo, s13
	s_cbranch_vccnz .LBB73_1881
; %bb.1879:
	v_cmp_gt_i16_e64 s13, s12, 27
	s_delay_alu instid0(VALU_DEP_1)
	s_and_b32 vcc_lo, exec_lo, s13
	s_cbranch_vccz .LBB73_1882
; %bb.1880:
	global_load_b32 v5, v[11:12], off
	s_mov_b32 s13, 0
	s_waitcnt vmcnt(0)
	v_cvt_f32_u32_e32 v5, v5
	s_branch .LBB73_1883
.LBB73_1881:
	s_mov_b32 s13, -1
                                        ; implicit-def: $vgpr5
	s_branch .LBB73_1886
.LBB73_1882:
	s_mov_b32 s13, -1
                                        ; implicit-def: $vgpr5
.LBB73_1883:
	s_delay_alu instid0(SALU_CYCLE_1)
	s_and_not1_b32 vcc_lo, exec_lo, s13
	s_cbranch_vccnz .LBB73_1885
; %bb.1884:
	global_load_u16 v5, v[11:12], off
	s_waitcnt vmcnt(0)
	v_cvt_f32_u32_e32 v5, v5
.LBB73_1885:
	s_mov_b32 s13, 0
.LBB73_1886:
	s_delay_alu instid0(SALU_CYCLE_1)
	s_and_not1_b32 vcc_lo, exec_lo, s13
	s_cbranch_vccnz .LBB73_1894
; %bb.1887:
	global_load_u8 v15, v[11:12], off
	s_mov_b32 s13, 0
	s_mov_b32 s15, exec_lo
                                        ; implicit-def: $sgpr14
	s_waitcnt vmcnt(0)
	v_cmpx_lt_i16_e32 0x7f, v15
	s_xor_b32 s15, exec_lo, s15
	s_cbranch_execz .LBB73_1907
; %bb.1888:
	s_mov_b32 s13, -1
	s_mov_b32 s16, exec_lo
                                        ; implicit-def: $sgpr14
	v_cmpx_eq_u16_e32 0x80, v15
; %bb.1889:
	s_mov_b32 s14, 0x7f800001
	s_xor_b32 s13, exec_lo, -1
; %bb.1890:
	s_or_b32 exec_lo, exec_lo, s16
	s_delay_alu instid0(SALU_CYCLE_1)
	s_and_b32 s13, s13, exec_lo
	s_or_saveexec_b32 s15, s15
	v_mov_b32_e32 v5, s14
	s_xor_b32 exec_lo, exec_lo, s15
	s_cbranch_execnz .LBB73_1908
.LBB73_1891:
	s_or_b32 exec_lo, exec_lo, s15
	s_and_saveexec_b32 s14, s13
	s_cbranch_execz .LBB73_1893
.LBB73_1892:
	v_and_b32_e32 v5, 0xffff, v15
	v_lshlrev_b32_e32 v15, 24, v15
	s_delay_alu instid0(VALU_DEP_2) | instskip(NEXT) | instid1(VALU_DEP_2)
	v_and_b32_e32 v16, 7, v5
	v_and_b32_e32 v15, 0x80000000, v15
	s_delay_alu instid0(VALU_DEP_2) | instskip(NEXT) | instid1(VALU_DEP_1)
	v_clz_i32_u32_e32 v17, v16
	v_min_u32_e32 v17, 32, v17
	s_delay_alu instid0(VALU_DEP_1) | instskip(SKIP_1) | instid1(VALU_DEP_2)
	v_subrev_nc_u32_e32 v18, 28, v17
	v_sub_nc_u32_e32 v17, 29, v17
	v_lshlrev_b32_e32 v18, v18, v5
	v_bfe_u32 v5, v5, 3, 4
	s_delay_alu instid0(VALU_DEP_1) | instskip(NEXT) | instid1(VALU_DEP_3)
	v_cmp_eq_u32_e32 vcc_lo, 0, v5
	v_dual_cndmask_b32 v5, v5, v17 :: v_dual_and_b32 v18, 7, v18
	s_delay_alu instid0(VALU_DEP_1) | instskip(NEXT) | instid1(VALU_DEP_2)
	v_cndmask_b32_e32 v16, v16, v18, vcc_lo
	v_lshl_add_u32 v5, v5, 23, 0x3b800000
	s_delay_alu instid0(VALU_DEP_2) | instskip(NEXT) | instid1(VALU_DEP_1)
	v_lshlrev_b32_e32 v16, 20, v16
	v_or3_b32 v5, v15, v5, v16
.LBB73_1893:
	s_or_b32 exec_lo, exec_lo, s14
.LBB73_1894:
	s_mov_b32 s13, -1
.LBB73_1895:
	s_branch .LBB73_1928
.LBB73_1896:
	v_cmp_gt_i16_e64 s3, s12, 22
	s_delay_alu instid0(VALU_DEP_1)
	s_and_b32 vcc_lo, exec_lo, s3
	s_cbranch_vccz .LBB73_1906
; %bb.1897:
	v_cmp_lt_i16_e64 s3, s12, 24
	s_delay_alu instid0(VALU_DEP_1)
	s_and_b32 vcc_lo, exec_lo, s3
	s_cbranch_vccnz .LBB73_1909
; %bb.1898:
	v_cmp_gt_i16_e64 s3, s12, 24
	s_delay_alu instid0(VALU_DEP_1)
	s_and_b32 vcc_lo, exec_lo, s3
	s_cbranch_vccz .LBB73_1910
; %bb.1899:
	global_load_u8 v15, v[11:12], off
	s_mov_b32 s3, 0
	s_mov_b32 s14, exec_lo
                                        ; implicit-def: $sgpr13
	s_waitcnt vmcnt(0)
	v_cmpx_lt_i16_e32 0x7f, v15
	s_xor_b32 s14, exec_lo, s14
	s_cbranch_execz .LBB73_1922
; %bb.1900:
	s_mov_b32 s3, -1
	s_mov_b32 s15, exec_lo
                                        ; implicit-def: $sgpr13
	v_cmpx_eq_u16_e32 0x80, v15
; %bb.1901:
	s_mov_b32 s13, 0x7f800001
	s_xor_b32 s3, exec_lo, -1
; %bb.1902:
	s_or_b32 exec_lo, exec_lo, s15
	s_delay_alu instid0(SALU_CYCLE_1)
	s_and_b32 s3, s3, exec_lo
	s_or_saveexec_b32 s14, s14
	v_mov_b32_e32 v5, s13
	s_xor_b32 exec_lo, exec_lo, s14
	s_cbranch_execnz .LBB73_1923
.LBB73_1903:
	s_or_b32 exec_lo, exec_lo, s14
	s_and_saveexec_b32 s13, s3
	s_cbranch_execz .LBB73_1905
.LBB73_1904:
	v_and_b32_e32 v5, 0xffff, v15
	v_lshlrev_b32_e32 v15, 24, v15
	s_delay_alu instid0(VALU_DEP_2) | instskip(NEXT) | instid1(VALU_DEP_2)
	v_and_b32_e32 v16, 3, v5
	v_and_b32_e32 v15, 0x80000000, v15
	s_delay_alu instid0(VALU_DEP_2) | instskip(NEXT) | instid1(VALU_DEP_1)
	v_clz_i32_u32_e32 v17, v16
	v_min_u32_e32 v17, 32, v17
	s_delay_alu instid0(VALU_DEP_1) | instskip(SKIP_1) | instid1(VALU_DEP_2)
	v_subrev_nc_u32_e32 v18, 29, v17
	v_sub_nc_u32_e32 v17, 30, v17
	v_lshlrev_b32_e32 v18, v18, v5
	v_bfe_u32 v5, v5, 2, 5
	s_delay_alu instid0(VALU_DEP_1) | instskip(NEXT) | instid1(VALU_DEP_3)
	v_cmp_eq_u32_e32 vcc_lo, 0, v5
	v_dual_cndmask_b32 v5, v5, v17 :: v_dual_and_b32 v18, 3, v18
	s_delay_alu instid0(VALU_DEP_1) | instskip(NEXT) | instid1(VALU_DEP_2)
	v_cndmask_b32_e32 v16, v16, v18, vcc_lo
	v_lshl_add_u32 v5, v5, 23, 0x37800000
	s_delay_alu instid0(VALU_DEP_2) | instskip(NEXT) | instid1(VALU_DEP_1)
	v_lshlrev_b32_e32 v16, 21, v16
	v_or3_b32 v5, v15, v5, v16
.LBB73_1905:
	s_or_b32 exec_lo, exec_lo, s13
	s_mov_b32 s3, 0
	s_branch .LBB73_1911
.LBB73_1906:
	s_mov_b32 s3, -1
                                        ; implicit-def: $vgpr5
	s_branch .LBB73_1917
.LBB73_1907:
	s_or_saveexec_b32 s15, s15
	v_mov_b32_e32 v5, s14
	s_xor_b32 exec_lo, exec_lo, s15
	s_cbranch_execz .LBB73_1891
.LBB73_1908:
	v_cmp_ne_u16_e32 vcc_lo, 0, v15
	v_mov_b32_e32 v5, 0
	s_and_not1_b32 s13, s13, exec_lo
	s_and_b32 s14, vcc_lo, exec_lo
	s_delay_alu instid0(SALU_CYCLE_1)
	s_or_b32 s13, s13, s14
	s_or_b32 exec_lo, exec_lo, s15
	s_and_saveexec_b32 s14, s13
	s_cbranch_execnz .LBB73_1892
	s_branch .LBB73_1893
.LBB73_1909:
	s_mov_b32 s3, -1
                                        ; implicit-def: $vgpr5
	s_branch .LBB73_1914
.LBB73_1910:
	s_mov_b32 s3, -1
                                        ; implicit-def: $vgpr5
.LBB73_1911:
	s_delay_alu instid0(SALU_CYCLE_1)
	s_and_b32 vcc_lo, exec_lo, s3
	s_cbranch_vccz .LBB73_1913
; %bb.1912:
	global_load_u8 v5, v[11:12], off
	s_waitcnt vmcnt(0)
	v_lshlrev_b32_e32 v5, 24, v5
	s_delay_alu instid0(VALU_DEP_1) | instskip(NEXT) | instid1(VALU_DEP_1)
	v_and_b32_e32 v15, 0x7f000000, v5
	v_clz_i32_u32_e32 v16, v15
	v_cmp_ne_u32_e32 vcc_lo, 0, v15
	v_add_nc_u32_e32 v18, 0x1000000, v15
	s_delay_alu instid0(VALU_DEP_3) | instskip(NEXT) | instid1(VALU_DEP_1)
	v_min_u32_e32 v16, 32, v16
	v_sub_nc_u32_e64 v16, v16, 4 clamp
	s_delay_alu instid0(VALU_DEP_1) | instskip(SKIP_1) | instid1(VALU_DEP_2)
	v_lshlrev_b32_e32 v17, v16, v15
	v_lshlrev_b32_e32 v16, 23, v16
	v_lshrrev_b32_e32 v17, 4, v17
	s_delay_alu instid0(VALU_DEP_1) | instskip(SKIP_1) | instid1(VALU_DEP_2)
	v_sub_nc_u32_e32 v16, v17, v16
	v_ashrrev_i32_e32 v17, 8, v18
	v_add_nc_u32_e32 v16, 0x3c000000, v16
	s_delay_alu instid0(VALU_DEP_1) | instskip(NEXT) | instid1(VALU_DEP_1)
	v_and_or_b32 v16, 0x7f800000, v17, v16
	v_cndmask_b32_e32 v15, 0, v16, vcc_lo
	s_delay_alu instid0(VALU_DEP_1)
	v_and_or_b32 v5, 0x80000000, v5, v15
.LBB73_1913:
	s_mov_b32 s3, 0
.LBB73_1914:
	s_delay_alu instid0(SALU_CYCLE_1)
	s_and_not1_b32 vcc_lo, exec_lo, s3
	s_cbranch_vccnz .LBB73_1916
; %bb.1915:
	global_load_u8 v5, v[11:12], off
	s_waitcnt vmcnt(0)
	v_lshlrev_b32_e32 v15, 25, v5
	v_lshlrev_b16 v5, 8, v5
	s_delay_alu instid0(VALU_DEP_2) | instskip(NEXT) | instid1(VALU_DEP_2)
	v_lshrrev_b32_e32 v16, 4, v15
	v_and_or_b32 v17, 0x7f00, v5, 0.5
	v_bfe_i32 v5, v5, 0, 16
	s_delay_alu instid0(VALU_DEP_3) | instskip(NEXT) | instid1(VALU_DEP_1)
	v_or_b32_e32 v16, 0x70000000, v16
	v_dual_add_f32 v17, -0.5, v17 :: v_dual_mul_f32 v16, 0x7800000, v16
	v_cmp_gt_u32_e32 vcc_lo, 0x8000000, v15
	s_delay_alu instid0(VALU_DEP_2) | instskip(NEXT) | instid1(VALU_DEP_1)
	v_cndmask_b32_e32 v15, v16, v17, vcc_lo
	v_and_or_b32 v5, 0x80000000, v5, v15
.LBB73_1916:
	s_mov_b32 s3, 0
	s_mov_b32 s13, -1
.LBB73_1917:
	s_and_not1_b32 vcc_lo, exec_lo, s3
	s_mov_b32 s3, 0
	s_cbranch_vccnz .LBB73_1928
; %bb.1918:
	v_cmp_gt_i16_e64 s3, s12, 14
	s_delay_alu instid0(VALU_DEP_1)
	s_and_b32 vcc_lo, exec_lo, s3
	s_cbranch_vccz .LBB73_1921
; %bb.1919:
	v_cmp_eq_u16_e64 s2, s12, 15
	s_delay_alu instid0(VALU_DEP_1)
	s_and_b32 vcc_lo, exec_lo, s2
	s_cbranch_vccz .LBB73_1924
; %bb.1920:
	global_load_u16 v5, v[11:12], off
	s_mov_b32 s2, 0
	s_mov_b32 s13, -1
	s_waitcnt vmcnt(0)
	v_lshlrev_b32_e32 v5, 16, v5
	s_branch .LBB73_1925
.LBB73_1921:
	s_mov_b32 s3, -1
                                        ; implicit-def: $vgpr5
	s_branch .LBB73_1926
.LBB73_1922:
	s_or_saveexec_b32 s14, s14
	v_mov_b32_e32 v5, s13
	s_xor_b32 exec_lo, exec_lo, s14
	s_cbranch_execz .LBB73_1903
.LBB73_1923:
	v_cmp_ne_u16_e32 vcc_lo, 0, v15
	v_mov_b32_e32 v5, 0
	s_and_not1_b32 s3, s3, exec_lo
	s_and_b32 s13, vcc_lo, exec_lo
	s_delay_alu instid0(SALU_CYCLE_1)
	s_or_b32 s3, s3, s13
	s_or_b32 exec_lo, exec_lo, s14
	s_and_saveexec_b32 s13, s3
	s_cbranch_execnz .LBB73_1904
	s_branch .LBB73_1905
.LBB73_1924:
	s_mov_b32 s2, -1
                                        ; implicit-def: $vgpr5
.LBB73_1925:
	s_mov_b32 s3, 0
.LBB73_1926:
	s_delay_alu instid0(SALU_CYCLE_1)
	s_and_b32 vcc_lo, exec_lo, s3
	s_mov_b32 s3, 0
	s_cbranch_vccz .LBB73_1928
; %bb.1927:
	v_cmp_ne_u16_e64 s2, s12, 11
	s_mov_b32 s3, -1
                                        ; implicit-def: $vgpr5
.LBB73_1928:
	s_delay_alu instid0(VALU_DEP_1)
	s_and_b32 vcc_lo, exec_lo, s2
	s_cbranch_vccnz .LBB73_1964
; %bb.1929:
	s_and_not1_b32 vcc_lo, exec_lo, s3
	s_cbranch_vccnz .LBB73_1931
.LBB73_1930:
	global_load_u8 v5, v[11:12], off
	s_mov_b32 s13, -1
	s_waitcnt vmcnt(0)
	v_cmp_ne_u16_e32 vcc_lo, 0, v5
	v_cndmask_b32_e64 v5, 0, 1.0, vcc_lo
.LBB73_1931:
.LBB73_1932:
	s_and_not1_b32 vcc_lo, exec_lo, s13
	s_cbranch_vccnz .LBB73_3218
.LBB73_1933:
	s_waitcnt vmcnt(0)
	s_delay_alu instid0(VALU_DEP_1) | instskip(SKIP_1) | instid1(VALU_DEP_1)
	v_trunc_f32_e32 v11, v5
	s_mov_b32 s13, exec_lo
	v_mul_f32_e64 v12, 0x2f800000, |v11|
	s_delay_alu instid0(VALU_DEP_1) | instskip(NEXT) | instid1(VALU_DEP_1)
	v_floor_f32_e32 v12, v12
	v_fma_f32 v15, 0xcf800000, v12, |v11|
	v_ashrrev_i32_e32 v11, 31, v11
	v_cvt_u32_f32_e32 v12, v12
	s_delay_alu instid0(VALU_DEP_3) | instskip(NEXT) | instid1(VALU_DEP_2)
	v_cvt_u32_f32_e32 v15, v15
	v_xor_b32_e32 v12, v12, v11
	s_delay_alu instid0(VALU_DEP_2) | instskip(NEXT) | instid1(VALU_DEP_1)
	v_xor_b32_e32 v15, v15, v11
	v_sub_co_u32 v15, vcc_lo, v15, v11
	s_delay_alu instid0(VALU_DEP_3) | instskip(SKIP_1) | instid1(VALU_DEP_2)
	v_sub_co_ci_u32_e32 v11, vcc_lo, v12, v11, vcc_lo
	v_cmp_class_f32_e64 vcc_lo, v5, 0x1f8
	v_dual_mov_b32 v5, 0 :: v_dual_cndmask_b32 v12, -1, v11
	s_delay_alu instid0(VALU_DEP_4) | instskip(NEXT) | instid1(VALU_DEP_1)
	v_cndmask_b32_e32 v11, -1, v15, vcc_lo
	v_cmpx_lt_i64_e32 -1, v[11:12]
	s_cbranch_execz .LBB73_1945
; %bb.1934:
	v_mov_b32_e32 v5, 1.0
	s_mov_b32 s14, exec_lo
	v_cmpx_lt_i64_e32 0, v[11:12]
	s_cbranch_execz .LBB73_1944
; %bb.1935:
                                        ; implicit-def: $vgpr5
	s_mov_b32 s2, exec_lo
	v_cmpx_ne_u64_e32 1, v[11:12]
	s_xor_b32 s15, exec_lo, s2
	s_cbranch_execz .LBB73_1941
; %bb.1936:
	v_mov_b32_e32 v5, 0x7fc00000
	s_mov_b32 s16, exec_lo
	v_cmpx_gt_u64_e32 0x81, v[11:12]
	s_cbranch_execz .LBB73_1940
; %bb.1937:
	v_dual_add_f32 v14, v14, v14 :: v_dual_mov_b32 v15, 1.0
	v_lshlrev_b64 v[11:12], 1, v[11:12]
	s_mov_b64 s[2:3], 2
	s_mov_b32 s17, 0
	s_delay_alu instid0(VALU_DEP_2)
	v_mov_b32_e32 v5, v14
	.p2align	6
.LBB73_1938:                            ; =>This Inner Loop Header: Depth=1
	s_clz_i32_u32 s18, s3
	s_delay_alu instid0(SALU_CYCLE_1) | instskip(NEXT) | instid1(SALU_CYCLE_1)
	s_min_u32 s20, s18, 32
	s_lshl_b64 s[18:19], s[2:3], s20
	s_delay_alu instid0(SALU_CYCLE_1) | instskip(NEXT) | instid1(SALU_CYCLE_1)
	s_min_u32 s18, s18, 1
	s_or_b32 s18, s19, s18
	s_delay_alu instid0(SALU_CYCLE_1) | instskip(SKIP_3) | instid1(SALU_CYCLE_1)
	v_cvt_f32_u32_e32 v16, s18
	s_sub_i32 s18, 32, s20
	s_add_u32 s2, s2, 2
	s_addc_u32 s3, s3, 0
	v_cmp_ge_u64_e32 vcc_lo, s[2:3], v[11:12]
	v_ldexp_f32 v16, v16, s18
	s_delay_alu instid0(VALU_DEP_1) | instskip(SKIP_1) | instid1(VALU_DEP_1)
	v_dual_mul_f32 v16, v15, v16 :: v_dual_mov_b32 v15, v5
	s_or_b32 s17, vcc_lo, s17
	v_fma_f32 v5, v14, v5, -v16
	s_and_not1_b32 exec_lo, exec_lo, s17
	s_cbranch_execnz .LBB73_1938
; %bb.1939:
	s_or_b32 exec_lo, exec_lo, s17
.LBB73_1940:
	s_delay_alu instid0(SALU_CYCLE_1)
	s_or_b32 exec_lo, exec_lo, s16
                                        ; implicit-def: $vgpr14
.LBB73_1941:
	s_and_not1_saveexec_b32 s2, s15
; %bb.1942:
	v_add_f32_e32 v5, v14, v14
; %bb.1943:
	s_or_b32 exec_lo, exec_lo, s2
.LBB73_1944:
	s_delay_alu instid0(SALU_CYCLE_1)
	s_or_b32 exec_lo, exec_lo, s14
.LBB73_1945:
	s_delay_alu instid0(SALU_CYCLE_1) | instskip(SKIP_2) | instid1(VALU_DEP_1)
	s_or_b32 exec_lo, exec_lo, s13
	v_cmp_gt_i16_e32 vcc_lo, 11, v13
	v_add_co_u32 v10, s2, s6, v10
	v_add_co_ci_u32_e64 v11, null, s7, 0, s2
	s_mov_b32 s13, 0
	s_cbranch_vccnz .LBB73_1952
; %bb.1946:
	v_cmp_lt_i16_e32 vcc_lo, 25, v13
	s_mov_b32 s3, 0
	s_cbranch_vccz .LBB73_1958
; %bb.1947:
	v_cmp_lt_i16_e32 vcc_lo, 28, v13
	s_cbranch_vccz .LBB73_1960
; %bb.1948:
	v_cmp_lt_i16_e32 vcc_lo, 43, v13
	;; [unrolled: 3-line block ×3, first 2 shown]
	s_cbranch_vccz .LBB73_1968
; %bb.1950:
	v_cmp_eq_u16_e32 vcc_lo, 46, v13
	s_mov_b32 s14, 0
	s_cbranch_vccz .LBB73_2011
; %bb.1951:
	global_load_b32 v12, v[10:11], off
	s_mov_b32 s2, 0
	s_mov_b32 s13, -1
	s_waitcnt vmcnt(0)
	v_lshlrev_b32_e32 v12, 16, v12
	s_branch .LBB73_2013
.LBB73_1952:
                                        ; implicit-def: $vgpr12
	s_cbranch_execz .LBB73_2079
; %bb.1953:
	v_cmp_gt_i16_e32 vcc_lo, 5, v13
	s_cbranch_vccnz .LBB73_1959
; %bb.1954:
	v_cmp_gt_i16_e32 vcc_lo, 8, v13
	s_cbranch_vccnz .LBB73_1961
	;; [unrolled: 3-line block ×3, first 2 shown]
; %bb.1956:
	v_cmp_lt_i16_e32 vcc_lo, 9, v13
	s_cbranch_vccz .LBB73_1969
; %bb.1957:
	global_load_b64 v[14:15], v[10:11], off
	s_mov_b32 s2, 0
	s_waitcnt vmcnt(0)
	v_cvt_f32_f64_e32 v12, v[14:15]
	s_branch .LBB73_1970
.LBB73_1958:
	s_mov_b32 s14, -1
	s_mov_b32 s2, 0
                                        ; implicit-def: $vgpr12
	s_branch .LBB73_2042
.LBB73_1959:
	s_mov_b32 s2, -1
                                        ; implicit-def: $vgpr12
	s_branch .LBB73_1988
.LBB73_1960:
	s_mov_b32 s14, -1
	s_mov_b32 s2, 0
                                        ; implicit-def: $vgpr12
	s_branch .LBB73_2023
.LBB73_1961:
	s_mov_b32 s2, -1
                                        ; implicit-def: $vgpr12
	s_branch .LBB73_1976
.LBB73_1962:
	s_mov_b32 s14, -1
	s_mov_b32 s2, 0
                                        ; implicit-def: $vgpr12
	s_branch .LBB73_2018
.LBB73_1963:
	s_mov_b32 s2, -1
                                        ; implicit-def: $vgpr12
	s_branch .LBB73_1973
.LBB73_1964:
	s_cbranch_execnz .LBB73_2009
; %bb.1965:
	s_or_b32 s10, s10, exec_lo
                                        ; implicit-def: $vgpr5
	s_cbranch_execz .LBB73_1930
	s_branch .LBB73_1931
.LBB73_1966:
	s_or_saveexec_b32 s8, s8
                                        ; implicit-def: $sgpr9
	s_delay_alu instid0(SALU_CYCLE_1)
	s_xor_b32 exec_lo, exec_lo, s8
	s_cbranch_execz .LBB73_1553
.LBB73_1967:
	v_add_f32_e64 v0, 0x42800000, |v1|
	s_and_not1_b32 s5, s5, exec_lo
	s_mov_b32 s9, 0
	s_delay_alu instid0(VALU_DEP_1) | instskip(NEXT) | instid1(VALU_DEP_1)
	v_and_b32_e32 v0, 0xff, v0
	v_cmp_ne_u32_e32 vcc_lo, 0, v0
	s_and_b32 s10, vcc_lo, exec_lo
	s_delay_alu instid0(SALU_CYCLE_1)
	s_or_b32 s5, s5, s10
	s_or_b32 exec_lo, exec_lo, s8
	v_mov_b32_e32 v2, s9
	s_and_saveexec_b32 s8, s5
	s_cbranch_execnz .LBB73_1554
	s_branch .LBB73_1555
.LBB73_1968:
	s_mov_b32 s14, -1
	s_mov_b32 s2, 0
	s_branch .LBB73_2012
.LBB73_1969:
	s_mov_b32 s2, -1
                                        ; implicit-def: $vgpr12
.LBB73_1970:
	s_delay_alu instid0(SALU_CYCLE_1)
	s_and_not1_b32 vcc_lo, exec_lo, s2
	s_cbranch_vccnz .LBB73_1972
; %bb.1971:
	global_load_b32 v12, v[10:11], off
.LBB73_1972:
	s_mov_b32 s2, 0
.LBB73_1973:
	s_delay_alu instid0(SALU_CYCLE_1)
	s_and_not1_b32 vcc_lo, exec_lo, s2
	s_cbranch_vccnz .LBB73_1975
; %bb.1974:
	global_load_b32 v12, v[10:11], off
	s_waitcnt vmcnt(0)
	v_cvt_f32_f16_e32 v12, v12
.LBB73_1975:
	s_mov_b32 s2, 0
.LBB73_1976:
	s_delay_alu instid0(SALU_CYCLE_1)
	s_and_not1_b32 vcc_lo, exec_lo, s2
	s_cbranch_vccnz .LBB73_1987
; %bb.1977:
	v_cmp_gt_i16_e32 vcc_lo, 6, v13
	s_cbranch_vccnz .LBB73_1980
; %bb.1978:
	v_cmp_lt_i16_e32 vcc_lo, 6, v13
	s_cbranch_vccz .LBB73_1981
; %bb.1979:
	global_load_b64 v[14:15], v[10:11], off
	s_mov_b32 s2, 0
	s_waitcnt vmcnt(0)
	v_cvt_f32_f64_e32 v12, v[14:15]
	s_branch .LBB73_1982
.LBB73_1980:
	s_mov_b32 s2, -1
                                        ; implicit-def: $vgpr12
	s_branch .LBB73_1985
.LBB73_1981:
	s_mov_b32 s2, -1
                                        ; implicit-def: $vgpr12
.LBB73_1982:
	s_delay_alu instid0(SALU_CYCLE_1)
	s_and_not1_b32 vcc_lo, exec_lo, s2
	s_cbranch_vccnz .LBB73_1984
; %bb.1983:
	global_load_b32 v12, v[10:11], off
.LBB73_1984:
	s_mov_b32 s2, 0
.LBB73_1985:
	s_delay_alu instid0(SALU_CYCLE_1)
	s_and_not1_b32 vcc_lo, exec_lo, s2
	s_cbranch_vccnz .LBB73_1987
; %bb.1986:
	global_load_u16 v12, v[10:11], off
	s_waitcnt vmcnt(0)
	v_cvt_f32_f16_e32 v12, v12
.LBB73_1987:
	s_mov_b32 s2, 0
.LBB73_1988:
	s_delay_alu instid0(SALU_CYCLE_1)
	s_and_not1_b32 vcc_lo, exec_lo, s2
	s_cbranch_vccnz .LBB73_2008
; %bb.1989:
	v_cmp_gt_i16_e32 vcc_lo, 2, v13
	s_cbranch_vccnz .LBB73_1993
; %bb.1990:
	v_cmp_gt_i16_e32 vcc_lo, 3, v13
	s_cbranch_vccnz .LBB73_1994
; %bb.1991:
	v_cmp_lt_i16_e32 vcc_lo, 3, v13
	s_cbranch_vccz .LBB73_1995
; %bb.1992:
	global_load_b64 v[14:15], v[10:11], off
	s_mov_b32 s2, 0
	s_waitcnt vmcnt(0)
	v_xor_b32_e32 v12, v14, v15
	v_cls_i32_e32 v16, v15
	s_delay_alu instid0(VALU_DEP_2) | instskip(NEXT) | instid1(VALU_DEP_2)
	v_ashrrev_i32_e32 v12, 31, v12
	v_add_nc_u32_e32 v16, -1, v16
	s_delay_alu instid0(VALU_DEP_2) | instskip(NEXT) | instid1(VALU_DEP_1)
	v_add_nc_u32_e32 v12, 32, v12
	v_min_u32_e32 v12, v16, v12
	s_delay_alu instid0(VALU_DEP_1) | instskip(SKIP_1) | instid1(VALU_DEP_2)
	v_lshlrev_b64 v[14:15], v12, v[14:15]
	v_sub_nc_u32_e32 v12, 32, v12
	v_min_u32_e32 v14, 1, v14
	s_delay_alu instid0(VALU_DEP_1) | instskip(NEXT) | instid1(VALU_DEP_1)
	v_or_b32_e32 v14, v15, v14
	v_cvt_f32_i32_e32 v14, v14
	s_delay_alu instid0(VALU_DEP_1)
	v_ldexp_f32 v12, v14, v12
	s_branch .LBB73_1996
.LBB73_1993:
	s_mov_b32 s2, -1
                                        ; implicit-def: $vgpr12
	s_branch .LBB73_2002
.LBB73_1994:
	s_mov_b32 s2, -1
                                        ; implicit-def: $vgpr12
	s_branch .LBB73_1999
.LBB73_1995:
	s_mov_b32 s2, -1
                                        ; implicit-def: $vgpr12
.LBB73_1996:
	s_delay_alu instid0(SALU_CYCLE_1)
	s_and_not1_b32 vcc_lo, exec_lo, s2
	s_cbranch_vccnz .LBB73_1998
; %bb.1997:
	global_load_b32 v12, v[10:11], off
	s_waitcnt vmcnt(0)
	v_cvt_f32_i32_e32 v12, v12
.LBB73_1998:
	s_mov_b32 s2, 0
.LBB73_1999:
	s_delay_alu instid0(SALU_CYCLE_1)
	s_and_not1_b32 vcc_lo, exec_lo, s2
	s_cbranch_vccnz .LBB73_2001
; %bb.2000:
	global_load_i16 v12, v[10:11], off
	s_waitcnt vmcnt(0)
	v_cvt_f32_i32_e32 v12, v12
.LBB73_2001:
	s_mov_b32 s2, 0
.LBB73_2002:
	s_delay_alu instid0(SALU_CYCLE_1)
	s_and_not1_b32 vcc_lo, exec_lo, s2
	s_cbranch_vccnz .LBB73_2008
; %bb.2003:
	v_cmp_lt_i16_e32 vcc_lo, 0, v13
	s_mov_b32 s2, 0
	s_cbranch_vccz .LBB73_2005
; %bb.2004:
	global_load_i8 v12, v[10:11], off
	s_waitcnt vmcnt(0)
	v_cvt_f32_i32_e32 v12, v12
	s_branch .LBB73_2006
.LBB73_2005:
	s_mov_b32 s2, -1
                                        ; implicit-def: $vgpr12
.LBB73_2006:
	s_delay_alu instid0(SALU_CYCLE_1)
	s_and_not1_b32 vcc_lo, exec_lo, s2
	s_cbranch_vccnz .LBB73_2008
; %bb.2007:
	global_load_u8 v10, v[10:11], off
	s_waitcnt vmcnt(0)
	v_cvt_f32_ubyte0_e32 v12, v10
.LBB73_2008:
	s_branch .LBB73_2080
.LBB73_2009:
	s_trap 2
	s_sendmsg_rtn_b32 s0, sendmsg(MSG_RTN_GET_DOORBELL)
	s_mov_b32 ttmp2, m0
	s_waitcnt lgkmcnt(0)
	s_and_b32 s0, s0, 0x3ff
	s_delay_alu instid0(SALU_CYCLE_1) | instskip(NEXT) | instid1(SALU_CYCLE_1)
	s_bitset1_b32 s0, 10
	s_mov_b32 m0, s0
	s_sendmsg sendmsg(MSG_INTERRUPT)
	s_mov_b32 m0, ttmp2
.LBB73_2010:                            ; =>This Inner Loop Header: Depth=1
	s_sethalt 5
	s_branch .LBB73_2010
.LBB73_2011:
	s_mov_b32 s2, -1
.LBB73_2012:
                                        ; implicit-def: $vgpr12
.LBB73_2013:
	s_and_b32 vcc_lo, exec_lo, s14
	s_cbranch_vccz .LBB73_2017
; %bb.2014:
	v_cmp_eq_u16_e32 vcc_lo, 44, v13
	s_cbranch_vccz .LBB73_2016
; %bb.2015:
	global_load_u8 v12, v[10:11], off
	s_mov_b32 s2, 0
	s_mov_b32 s13, -1
	s_waitcnt vmcnt(0)
	v_lshlrev_b32_e32 v14, 23, v12
	v_cmp_ne_u32_e32 vcc_lo, 0xff, v12
	s_delay_alu instid0(VALU_DEP_2) | instskip(SKIP_1) | instid1(VALU_DEP_2)
	v_cndmask_b32_e32 v14, 0x7f800001, v14, vcc_lo
	v_cmp_ne_u32_e32 vcc_lo, 0, v12
	v_cndmask_b32_e32 v12, 0x400000, v14, vcc_lo
	s_branch .LBB73_2017
.LBB73_2016:
	s_mov_b32 s2, -1
                                        ; implicit-def: $vgpr12
.LBB73_2017:
	s_mov_b32 s14, 0
.LBB73_2018:
	s_delay_alu instid0(SALU_CYCLE_1)
	s_and_b32 vcc_lo, exec_lo, s14
	s_cbranch_vccz .LBB73_2022
; %bb.2019:
	v_cmp_eq_u16_e32 vcc_lo, 29, v13
	s_cbranch_vccz .LBB73_2021
; %bb.2020:
	global_load_b64 v[14:15], v[10:11], off
	s_mov_b32 s2, 0
	s_mov_b32 s13, -1
	s_mov_b32 s14, 0
	s_waitcnt vmcnt(0)
	v_clz_i32_u32_e32 v12, v15
	s_delay_alu instid0(VALU_DEP_1) | instskip(NEXT) | instid1(VALU_DEP_1)
	v_min_u32_e32 v12, 32, v12
	v_lshlrev_b64 v[14:15], v12, v[14:15]
	v_sub_nc_u32_e32 v12, 32, v12
	s_delay_alu instid0(VALU_DEP_2) | instskip(NEXT) | instid1(VALU_DEP_1)
	v_min_u32_e32 v14, 1, v14
	v_or_b32_e32 v14, v15, v14
	s_delay_alu instid0(VALU_DEP_1) | instskip(NEXT) | instid1(VALU_DEP_1)
	v_cvt_f32_u32_e32 v14, v14
	v_ldexp_f32 v12, v14, v12
	s_branch .LBB73_2023
.LBB73_2021:
	s_mov_b32 s2, -1
                                        ; implicit-def: $vgpr12
.LBB73_2022:
	s_mov_b32 s14, 0
.LBB73_2023:
	s_delay_alu instid0(SALU_CYCLE_1)
	s_and_b32 vcc_lo, exec_lo, s14
	s_cbranch_vccz .LBB73_2041
; %bb.2024:
	v_cmp_gt_i16_e32 vcc_lo, 27, v13
	s_cbranch_vccnz .LBB73_2027
; %bb.2025:
	v_cmp_lt_i16_e32 vcc_lo, 27, v13
	s_cbranch_vccz .LBB73_2028
; %bb.2026:
	global_load_b32 v12, v[10:11], off
	s_mov_b32 s13, 0
	s_waitcnt vmcnt(0)
	v_cvt_f32_u32_e32 v12, v12
	s_branch .LBB73_2029
.LBB73_2027:
	s_mov_b32 s13, -1
                                        ; implicit-def: $vgpr12
	s_branch .LBB73_2032
.LBB73_2028:
	s_mov_b32 s13, -1
                                        ; implicit-def: $vgpr12
.LBB73_2029:
	s_delay_alu instid0(SALU_CYCLE_1)
	s_and_not1_b32 vcc_lo, exec_lo, s13
	s_cbranch_vccnz .LBB73_2031
; %bb.2030:
	global_load_u16 v12, v[10:11], off
	s_waitcnt vmcnt(0)
	v_cvt_f32_u32_e32 v12, v12
.LBB73_2031:
	s_mov_b32 s13, 0
.LBB73_2032:
	s_delay_alu instid0(SALU_CYCLE_1)
	s_and_not1_b32 vcc_lo, exec_lo, s13
	s_cbranch_vccnz .LBB73_2040
; %bb.2033:
	global_load_u8 v14, v[10:11], off
	s_mov_b32 s13, 0
	s_mov_b32 s15, exec_lo
                                        ; implicit-def: $sgpr14
	s_waitcnt vmcnt(0)
	v_cmpx_lt_i16_e32 0x7f, v14
	s_xor_b32 s15, exec_lo, s15
	s_cbranch_execz .LBB73_2054
; %bb.2034:
	s_mov_b32 s13, -1
	s_mov_b32 s16, exec_lo
                                        ; implicit-def: $sgpr14
	v_cmpx_eq_u16_e32 0x80, v14
; %bb.2035:
	s_mov_b32 s14, 0x7f800001
	s_xor_b32 s13, exec_lo, -1
; %bb.2036:
	s_or_b32 exec_lo, exec_lo, s16
	s_delay_alu instid0(SALU_CYCLE_1)
	s_and_b32 s13, s13, exec_lo
	s_or_saveexec_b32 s15, s15
	v_mov_b32_e32 v12, s14
	s_xor_b32 exec_lo, exec_lo, s15
	s_cbranch_execnz .LBB73_2055
.LBB73_2037:
	s_or_b32 exec_lo, exec_lo, s15
	s_and_saveexec_b32 s14, s13
	s_cbranch_execz .LBB73_2039
.LBB73_2038:
	v_and_b32_e32 v12, 0xffff, v14
	v_lshlrev_b32_e32 v14, 24, v14
	s_delay_alu instid0(VALU_DEP_2) | instskip(NEXT) | instid1(VALU_DEP_2)
	v_and_b32_e32 v15, 7, v12
	v_and_b32_e32 v14, 0x80000000, v14
	s_delay_alu instid0(VALU_DEP_2) | instskip(NEXT) | instid1(VALU_DEP_1)
	v_clz_i32_u32_e32 v16, v15
	v_min_u32_e32 v16, 32, v16
	s_delay_alu instid0(VALU_DEP_1) | instskip(SKIP_1) | instid1(VALU_DEP_2)
	v_subrev_nc_u32_e32 v17, 28, v16
	v_sub_nc_u32_e32 v16, 29, v16
	v_lshlrev_b32_e32 v17, v17, v12
	v_bfe_u32 v12, v12, 3, 4
	s_delay_alu instid0(VALU_DEP_1) | instskip(NEXT) | instid1(VALU_DEP_3)
	v_cmp_eq_u32_e32 vcc_lo, 0, v12
	v_dual_cndmask_b32 v12, v12, v16 :: v_dual_and_b32 v17, 7, v17
	s_delay_alu instid0(VALU_DEP_1) | instskip(NEXT) | instid1(VALU_DEP_2)
	v_cndmask_b32_e32 v15, v15, v17, vcc_lo
	v_lshl_add_u32 v12, v12, 23, 0x3b800000
	s_delay_alu instid0(VALU_DEP_2) | instskip(NEXT) | instid1(VALU_DEP_1)
	v_lshlrev_b32_e32 v15, 20, v15
	v_or3_b32 v12, v14, v12, v15
.LBB73_2039:
	s_or_b32 exec_lo, exec_lo, s14
.LBB73_2040:
	s_mov_b32 s13, -1
.LBB73_2041:
	s_mov_b32 s14, 0
.LBB73_2042:
	s_delay_alu instid0(SALU_CYCLE_1)
	s_and_b32 vcc_lo, exec_lo, s14
	s_cbranch_vccz .LBB73_2075
; %bb.2043:
	v_cmp_lt_i16_e32 vcc_lo, 22, v13
	s_cbranch_vccz .LBB73_2053
; %bb.2044:
	v_cmp_gt_i16_e32 vcc_lo, 24, v13
	s_cbranch_vccnz .LBB73_2056
; %bb.2045:
	v_cmp_lt_i16_e32 vcc_lo, 24, v13
	s_cbranch_vccz .LBB73_2057
; %bb.2046:
	global_load_u8 v14, v[10:11], off
	s_mov_b32 s14, exec_lo
                                        ; implicit-def: $sgpr13
	s_waitcnt vmcnt(0)
	v_cmpx_lt_i16_e32 0x7f, v14
	s_xor_b32 s14, exec_lo, s14
	s_cbranch_execz .LBB73_2069
; %bb.2047:
	s_mov_b32 s3, -1
	s_mov_b32 s15, exec_lo
                                        ; implicit-def: $sgpr13
	v_cmpx_eq_u16_e32 0x80, v14
; %bb.2048:
	s_mov_b32 s13, 0x7f800001
	s_xor_b32 s3, exec_lo, -1
; %bb.2049:
	s_or_b32 exec_lo, exec_lo, s15
	s_delay_alu instid0(SALU_CYCLE_1)
	s_and_b32 s3, s3, exec_lo
	s_or_saveexec_b32 s14, s14
	v_mov_b32_e32 v12, s13
	s_xor_b32 exec_lo, exec_lo, s14
	s_cbranch_execnz .LBB73_2070
.LBB73_2050:
	s_or_b32 exec_lo, exec_lo, s14
	s_and_saveexec_b32 s13, s3
	s_cbranch_execz .LBB73_2052
.LBB73_2051:
	v_and_b32_e32 v12, 0xffff, v14
	v_lshlrev_b32_e32 v14, 24, v14
	s_delay_alu instid0(VALU_DEP_2) | instskip(NEXT) | instid1(VALU_DEP_2)
	v_and_b32_e32 v15, 3, v12
	v_and_b32_e32 v14, 0x80000000, v14
	s_delay_alu instid0(VALU_DEP_2) | instskip(NEXT) | instid1(VALU_DEP_1)
	v_clz_i32_u32_e32 v16, v15
	v_min_u32_e32 v16, 32, v16
	s_delay_alu instid0(VALU_DEP_1) | instskip(SKIP_1) | instid1(VALU_DEP_2)
	v_subrev_nc_u32_e32 v17, 29, v16
	v_sub_nc_u32_e32 v16, 30, v16
	v_lshlrev_b32_e32 v17, v17, v12
	v_bfe_u32 v12, v12, 2, 5
	s_delay_alu instid0(VALU_DEP_1) | instskip(NEXT) | instid1(VALU_DEP_3)
	v_cmp_eq_u32_e32 vcc_lo, 0, v12
	v_dual_cndmask_b32 v12, v12, v16 :: v_dual_and_b32 v17, 3, v17
	s_delay_alu instid0(VALU_DEP_1) | instskip(NEXT) | instid1(VALU_DEP_2)
	v_cndmask_b32_e32 v15, v15, v17, vcc_lo
	v_lshl_add_u32 v12, v12, 23, 0x37800000
	s_delay_alu instid0(VALU_DEP_2) | instskip(NEXT) | instid1(VALU_DEP_1)
	v_lshlrev_b32_e32 v15, 21, v15
	v_or3_b32 v12, v14, v12, v15
.LBB73_2052:
	s_or_b32 exec_lo, exec_lo, s13
	s_mov_b32 s3, 0
	s_branch .LBB73_2058
.LBB73_2053:
	s_mov_b32 s3, -1
                                        ; implicit-def: $vgpr12
	s_branch .LBB73_2064
.LBB73_2054:
	s_or_saveexec_b32 s15, s15
	v_mov_b32_e32 v12, s14
	s_xor_b32 exec_lo, exec_lo, s15
	s_cbranch_execz .LBB73_2037
.LBB73_2055:
	v_cmp_ne_u16_e32 vcc_lo, 0, v14
	v_mov_b32_e32 v12, 0
	s_and_not1_b32 s13, s13, exec_lo
	s_and_b32 s14, vcc_lo, exec_lo
	s_delay_alu instid0(SALU_CYCLE_1)
	s_or_b32 s13, s13, s14
	s_or_b32 exec_lo, exec_lo, s15
	s_and_saveexec_b32 s14, s13
	s_cbranch_execnz .LBB73_2038
	s_branch .LBB73_2039
.LBB73_2056:
	s_mov_b32 s3, -1
                                        ; implicit-def: $vgpr12
	s_branch .LBB73_2061
.LBB73_2057:
	s_mov_b32 s3, -1
                                        ; implicit-def: $vgpr12
.LBB73_2058:
	s_delay_alu instid0(SALU_CYCLE_1)
	s_and_b32 vcc_lo, exec_lo, s3
	s_cbranch_vccz .LBB73_2060
; %bb.2059:
	global_load_u8 v12, v[10:11], off
	s_waitcnt vmcnt(0)
	v_lshlrev_b32_e32 v12, 24, v12
	s_delay_alu instid0(VALU_DEP_1) | instskip(NEXT) | instid1(VALU_DEP_1)
	v_and_b32_e32 v14, 0x7f000000, v12
	v_clz_i32_u32_e32 v15, v14
	v_cmp_ne_u32_e32 vcc_lo, 0, v14
	v_add_nc_u32_e32 v17, 0x1000000, v14
	s_delay_alu instid0(VALU_DEP_3) | instskip(NEXT) | instid1(VALU_DEP_1)
	v_min_u32_e32 v15, 32, v15
	v_sub_nc_u32_e64 v15, v15, 4 clamp
	s_delay_alu instid0(VALU_DEP_1) | instskip(SKIP_1) | instid1(VALU_DEP_2)
	v_lshlrev_b32_e32 v16, v15, v14
	v_lshlrev_b32_e32 v15, 23, v15
	v_lshrrev_b32_e32 v16, 4, v16
	s_delay_alu instid0(VALU_DEP_1) | instskip(SKIP_1) | instid1(VALU_DEP_2)
	v_sub_nc_u32_e32 v15, v16, v15
	v_ashrrev_i32_e32 v16, 8, v17
	v_add_nc_u32_e32 v15, 0x3c000000, v15
	s_delay_alu instid0(VALU_DEP_1) | instskip(NEXT) | instid1(VALU_DEP_1)
	v_and_or_b32 v15, 0x7f800000, v16, v15
	v_cndmask_b32_e32 v14, 0, v15, vcc_lo
	s_delay_alu instid0(VALU_DEP_1)
	v_and_or_b32 v12, 0x80000000, v12, v14
.LBB73_2060:
	s_mov_b32 s3, 0
.LBB73_2061:
	s_delay_alu instid0(SALU_CYCLE_1)
	s_and_not1_b32 vcc_lo, exec_lo, s3
	s_cbranch_vccnz .LBB73_2063
; %bb.2062:
	global_load_u8 v12, v[10:11], off
	s_waitcnt vmcnt(0)
	v_lshlrev_b32_e32 v14, 25, v12
	v_lshlrev_b16 v12, 8, v12
	s_delay_alu instid0(VALU_DEP_2) | instskip(NEXT) | instid1(VALU_DEP_2)
	v_lshrrev_b32_e32 v15, 4, v14
	v_and_or_b32 v16, 0x7f00, v12, 0.5
	v_bfe_i32 v12, v12, 0, 16
	s_delay_alu instid0(VALU_DEP_3) | instskip(NEXT) | instid1(VALU_DEP_1)
	v_or_b32_e32 v15, 0x70000000, v15
	v_dual_add_f32 v16, -0.5, v16 :: v_dual_mul_f32 v15, 0x7800000, v15
	v_cmp_gt_u32_e32 vcc_lo, 0x8000000, v14
	s_delay_alu instid0(VALU_DEP_2) | instskip(NEXT) | instid1(VALU_DEP_1)
	v_cndmask_b32_e32 v14, v15, v16, vcc_lo
	v_and_or_b32 v12, 0x80000000, v12, v14
.LBB73_2063:
	s_mov_b32 s3, 0
	s_mov_b32 s13, -1
.LBB73_2064:
	s_and_not1_b32 vcc_lo, exec_lo, s3
	s_mov_b32 s3, 0
	s_cbranch_vccnz .LBB73_2075
; %bb.2065:
	v_cmp_lt_i16_e32 vcc_lo, 14, v13
	s_cbranch_vccz .LBB73_2068
; %bb.2066:
	v_cmp_eq_u16_e32 vcc_lo, 15, v13
	s_cbranch_vccz .LBB73_2071
; %bb.2067:
	global_load_u16 v12, v[10:11], off
	s_mov_b32 s2, 0
	s_mov_b32 s13, -1
	s_waitcnt vmcnt(0)
	v_lshlrev_b32_e32 v12, 16, v12
	s_branch .LBB73_2073
.LBB73_2068:
	s_mov_b32 s3, -1
	s_branch .LBB73_2072
.LBB73_2069:
	s_or_saveexec_b32 s14, s14
	v_mov_b32_e32 v12, s13
	s_xor_b32 exec_lo, exec_lo, s14
	s_cbranch_execz .LBB73_2050
.LBB73_2070:
	v_cmp_ne_u16_e32 vcc_lo, 0, v14
	v_mov_b32_e32 v12, 0
	s_and_not1_b32 s3, s3, exec_lo
	s_and_b32 s13, vcc_lo, exec_lo
	s_delay_alu instid0(SALU_CYCLE_1)
	s_or_b32 s3, s3, s13
	s_or_b32 exec_lo, exec_lo, s14
	s_and_saveexec_b32 s13, s3
	s_cbranch_execnz .LBB73_2051
	s_branch .LBB73_2052
.LBB73_2071:
	s_mov_b32 s2, -1
.LBB73_2072:
                                        ; implicit-def: $vgpr12
.LBB73_2073:
	s_and_b32 vcc_lo, exec_lo, s3
	s_mov_b32 s3, 0
	s_cbranch_vccz .LBB73_2075
; %bb.2074:
	v_cmp_ne_u16_e64 s2, 11, v13
	s_mov_b32 s3, -1
                                        ; implicit-def: $vgpr12
.LBB73_2075:
	s_delay_alu instid0(VALU_DEP_1)
	s_and_b32 vcc_lo, exec_lo, s2
	s_cbranch_vccnz .LBB73_2091
; %bb.2076:
	s_and_not1_b32 vcc_lo, exec_lo, s3
	s_cbranch_vccnz .LBB73_2078
.LBB73_2077:
	global_load_u8 v12, v[10:11], off
	s_mov_b32 s13, -1
	s_waitcnt vmcnt(0)
	v_cmp_ne_u16_e32 vcc_lo, 0, v12
	v_cndmask_b32_e64 v12, 0, 1.0, vcc_lo
.LBB73_2078:
.LBB73_2079:
	s_and_not1_b32 vcc_lo, exec_lo, s13
	s_cbranch_vccnz .LBB73_3218
.LBB73_2080:
	v_cmp_lt_i16_e64 s2, s12, 11
	v_add_co_u32 v10, s3, s0, v7
	s_delay_alu instid0(VALU_DEP_1) | instskip(NEXT) | instid1(VALU_DEP_3)
	v_add_co_ci_u32_e64 v11, null, s1, 0, s3
	s_and_b32 vcc_lo, exec_lo, s2
	s_mov_b32 s13, 0
	s_cbranch_vccnz .LBB73_2087
; %bb.2081:
	v_cmp_gt_i16_e64 s2, s12, 25
	s_mov_b32 s3, 0
	s_delay_alu instid0(VALU_DEP_1)
	s_and_b32 vcc_lo, exec_lo, s2
	s_cbranch_vccz .LBB73_2088
; %bb.2082:
	v_cmp_gt_i16_e64 s2, s12, 28
	s_delay_alu instid0(VALU_DEP_1)
	s_and_b32 vcc_lo, exec_lo, s2
	s_cbranch_vccz .LBB73_2089
; %bb.2083:
	v_cmp_gt_i16_e64 s2, s12, 43
	;; [unrolled: 5-line block ×3, first 2 shown]
	s_delay_alu instid0(VALU_DEP_1)
	s_and_b32 vcc_lo, exec_lo, s2
	s_cbranch_vccz .LBB73_2093
; %bb.2085:
	v_cmp_eq_u16_e64 s2, s12, 46
	s_mov_b32 s14, 0
	s_delay_alu instid0(VALU_DEP_1)
	s_and_b32 vcc_lo, exec_lo, s2
	s_cbranch_vccz .LBB73_2096
; %bb.2086:
	global_load_b32 v7, v[10:11], off
	s_mov_b32 s2, 0
	s_mov_b32 s13, -1
	s_waitcnt vmcnt(0)
	v_lshlrev_b32_e32 v7, 16, v7
	s_branch .LBB73_2098
.LBB73_2087:
	s_mov_b32 s2, -1
                                        ; implicit-def: $vgpr7
	s_branch .LBB73_2164
.LBB73_2088:
	s_mov_b32 s14, -1
	s_mov_b32 s2, 0
                                        ; implicit-def: $vgpr7
	s_branch .LBB73_2127
.LBB73_2089:
	s_mov_b32 s14, -1
	s_mov_b32 s2, 0
                                        ; implicit-def: $vgpr7
	s_branch .LBB73_2108
.LBB73_2090:
	s_mov_b32 s14, -1
	s_mov_b32 s2, 0
                                        ; implicit-def: $vgpr7
	s_branch .LBB73_2103
.LBB73_2091:
	s_cbranch_execnz .LBB73_2094
; %bb.2092:
	s_or_b32 s10, s10, exec_lo
                                        ; implicit-def: $vgpr12
	s_cbranch_execz .LBB73_2077
	s_branch .LBB73_2078
.LBB73_2093:
	s_mov_b32 s14, -1
	s_mov_b32 s2, 0
	s_branch .LBB73_2097
.LBB73_2094:
	s_trap 2
	s_sendmsg_rtn_b32 s0, sendmsg(MSG_RTN_GET_DOORBELL)
	s_mov_b32 ttmp2, m0
	s_waitcnt lgkmcnt(0)
	s_and_b32 s0, s0, 0x3ff
	s_delay_alu instid0(SALU_CYCLE_1) | instskip(NEXT) | instid1(SALU_CYCLE_1)
	s_bitset1_b32 s0, 10
	s_mov_b32 m0, s0
	s_sendmsg sendmsg(MSG_INTERRUPT)
	s_mov_b32 m0, ttmp2
.LBB73_2095:                            ; =>This Inner Loop Header: Depth=1
	s_sethalt 5
	s_branch .LBB73_2095
.LBB73_2096:
	s_mov_b32 s2, -1
.LBB73_2097:
                                        ; implicit-def: $vgpr7
.LBB73_2098:
	s_and_b32 vcc_lo, exec_lo, s14
	s_cbranch_vccz .LBB73_2102
; %bb.2099:
	v_cmp_eq_u16_e64 s2, s12, 44
	s_delay_alu instid0(VALU_DEP_1)
	s_and_b32 vcc_lo, exec_lo, s2
	s_cbranch_vccz .LBB73_2101
; %bb.2100:
	global_load_u8 v7, v[10:11], off
	s_mov_b32 s2, 0
	s_mov_b32 s13, -1
	s_waitcnt vmcnt(0)
	v_lshlrev_b32_e32 v14, 23, v7
	v_cmp_ne_u32_e32 vcc_lo, 0xff, v7
	s_delay_alu instid0(VALU_DEP_2) | instskip(SKIP_1) | instid1(VALU_DEP_2)
	v_cndmask_b32_e32 v14, 0x7f800001, v14, vcc_lo
	v_cmp_ne_u32_e32 vcc_lo, 0, v7
	v_cndmask_b32_e32 v7, 0x400000, v14, vcc_lo
	s_branch .LBB73_2102
.LBB73_2101:
	s_mov_b32 s2, -1
                                        ; implicit-def: $vgpr7
.LBB73_2102:
	s_mov_b32 s14, 0
.LBB73_2103:
	s_delay_alu instid0(SALU_CYCLE_1)
	s_and_b32 vcc_lo, exec_lo, s14
	s_cbranch_vccz .LBB73_2107
; %bb.2104:
	v_cmp_eq_u16_e64 s2, s12, 29
	s_delay_alu instid0(VALU_DEP_1)
	s_and_b32 vcc_lo, exec_lo, s2
	s_cbranch_vccz .LBB73_2106
; %bb.2105:
	global_load_b64 v[14:15], v[10:11], off
	s_mov_b32 s2, 0
	s_mov_b32 s13, -1
	s_mov_b32 s14, 0
	s_waitcnt vmcnt(0)
	v_clz_i32_u32_e32 v7, v15
	s_delay_alu instid0(VALU_DEP_1) | instskip(NEXT) | instid1(VALU_DEP_1)
	v_min_u32_e32 v7, 32, v7
	v_lshlrev_b64 v[14:15], v7, v[14:15]
	v_sub_nc_u32_e32 v7, 32, v7
	s_delay_alu instid0(VALU_DEP_2) | instskip(NEXT) | instid1(VALU_DEP_1)
	v_min_u32_e32 v14, 1, v14
	v_or_b32_e32 v14, v15, v14
	s_delay_alu instid0(VALU_DEP_1) | instskip(NEXT) | instid1(VALU_DEP_1)
	v_cvt_f32_u32_e32 v14, v14
	v_ldexp_f32 v7, v14, v7
	s_branch .LBB73_2108
.LBB73_2106:
	s_mov_b32 s2, -1
                                        ; implicit-def: $vgpr7
.LBB73_2107:
	s_mov_b32 s14, 0
.LBB73_2108:
	s_delay_alu instid0(SALU_CYCLE_1)
	s_and_b32 vcc_lo, exec_lo, s14
	s_cbranch_vccz .LBB73_2126
; %bb.2109:
	v_cmp_lt_i16_e64 s13, s12, 27
	s_delay_alu instid0(VALU_DEP_1)
	s_and_b32 vcc_lo, exec_lo, s13
	s_cbranch_vccnz .LBB73_2112
; %bb.2110:
	v_cmp_gt_i16_e64 s13, s12, 27
	s_delay_alu instid0(VALU_DEP_1)
	s_and_b32 vcc_lo, exec_lo, s13
	s_cbranch_vccz .LBB73_2113
; %bb.2111:
	global_load_b32 v7, v[10:11], off
	s_mov_b32 s13, 0
	s_waitcnt vmcnt(0)
	v_cvt_f32_u32_e32 v7, v7
	s_branch .LBB73_2114
.LBB73_2112:
	s_mov_b32 s13, -1
                                        ; implicit-def: $vgpr7
	s_branch .LBB73_2117
.LBB73_2113:
	s_mov_b32 s13, -1
                                        ; implicit-def: $vgpr7
.LBB73_2114:
	s_delay_alu instid0(SALU_CYCLE_1)
	s_and_not1_b32 vcc_lo, exec_lo, s13
	s_cbranch_vccnz .LBB73_2116
; %bb.2115:
	global_load_u16 v7, v[10:11], off
	s_waitcnt vmcnt(0)
	v_cvt_f32_u32_e32 v7, v7
.LBB73_2116:
	s_mov_b32 s13, 0
.LBB73_2117:
	s_delay_alu instid0(SALU_CYCLE_1)
	s_and_not1_b32 vcc_lo, exec_lo, s13
	s_cbranch_vccnz .LBB73_2125
; %bb.2118:
	global_load_u8 v14, v[10:11], off
	s_mov_b32 s13, 0
	s_mov_b32 s15, exec_lo
                                        ; implicit-def: $sgpr14
	s_waitcnt vmcnt(0)
	v_cmpx_lt_i16_e32 0x7f, v14
	s_xor_b32 s15, exec_lo, s15
	s_cbranch_execz .LBB73_2139
; %bb.2119:
	s_mov_b32 s13, -1
	s_mov_b32 s16, exec_lo
                                        ; implicit-def: $sgpr14
	v_cmpx_eq_u16_e32 0x80, v14
; %bb.2120:
	s_mov_b32 s14, 0x7f800001
	s_xor_b32 s13, exec_lo, -1
; %bb.2121:
	s_or_b32 exec_lo, exec_lo, s16
	s_delay_alu instid0(SALU_CYCLE_1)
	s_and_b32 s13, s13, exec_lo
	s_or_saveexec_b32 s15, s15
	v_mov_b32_e32 v7, s14
	s_xor_b32 exec_lo, exec_lo, s15
	s_cbranch_execnz .LBB73_2140
.LBB73_2122:
	s_or_b32 exec_lo, exec_lo, s15
	s_and_saveexec_b32 s14, s13
	s_cbranch_execz .LBB73_2124
.LBB73_2123:
	v_and_b32_e32 v7, 0xffff, v14
	s_delay_alu instid0(VALU_DEP_1) | instskip(NEXT) | instid1(VALU_DEP_1)
	v_and_b32_e32 v15, 7, v7
	v_clz_i32_u32_e32 v16, v15
	s_delay_alu instid0(VALU_DEP_1) | instskip(NEXT) | instid1(VALU_DEP_1)
	v_min_u32_e32 v16, 32, v16
	v_subrev_nc_u32_e32 v17, 28, v16
	v_sub_nc_u32_e32 v16, 29, v16
	s_delay_alu instid0(VALU_DEP_2) | instskip(SKIP_1) | instid1(VALU_DEP_2)
	v_lshlrev_b32_e32 v17, v17, v7
	v_bfe_u32 v7, v7, 3, 4
	v_and_b32_e32 v17, 7, v17
	s_delay_alu instid0(VALU_DEP_2) | instskip(SKIP_1) | instid1(VALU_DEP_1)
	v_cmp_eq_u32_e32 vcc_lo, 0, v7
	v_dual_cndmask_b32 v7, v7, v16 :: v_dual_lshlrev_b32 v14, 24, v14
	v_dual_cndmask_b32 v15, v15, v17 :: v_dual_and_b32 v14, 0x80000000, v14
	s_delay_alu instid0(VALU_DEP_2) | instskip(NEXT) | instid1(VALU_DEP_2)
	v_lshl_add_u32 v7, v7, 23, 0x3b800000
	v_lshlrev_b32_e32 v15, 20, v15
	s_delay_alu instid0(VALU_DEP_1)
	v_or3_b32 v7, v14, v7, v15
.LBB73_2124:
	s_or_b32 exec_lo, exec_lo, s14
.LBB73_2125:
	s_mov_b32 s13, -1
.LBB73_2126:
	s_mov_b32 s14, 0
.LBB73_2127:
	s_delay_alu instid0(SALU_CYCLE_1)
	s_and_b32 vcc_lo, exec_lo, s14
	s_cbranch_vccz .LBB73_2160
; %bb.2128:
	v_cmp_gt_i16_e64 s3, s12, 22
	s_delay_alu instid0(VALU_DEP_1)
	s_and_b32 vcc_lo, exec_lo, s3
	s_cbranch_vccz .LBB73_2138
; %bb.2129:
	v_cmp_lt_i16_e64 s3, s12, 24
	s_delay_alu instid0(VALU_DEP_1)
	s_and_b32 vcc_lo, exec_lo, s3
	s_cbranch_vccnz .LBB73_2141
; %bb.2130:
	v_cmp_gt_i16_e64 s3, s12, 24
	s_delay_alu instid0(VALU_DEP_1)
	s_and_b32 vcc_lo, exec_lo, s3
	s_cbranch_vccz .LBB73_2142
; %bb.2131:
	global_load_u8 v14, v[10:11], off
	s_mov_b32 s3, 0
	s_mov_b32 s14, exec_lo
                                        ; implicit-def: $sgpr13
	s_waitcnt vmcnt(0)
	v_cmpx_lt_i16_e32 0x7f, v14
	s_xor_b32 s14, exec_lo, s14
	s_cbranch_execz .LBB73_2154
; %bb.2132:
	s_mov_b32 s3, -1
	s_mov_b32 s15, exec_lo
                                        ; implicit-def: $sgpr13
	v_cmpx_eq_u16_e32 0x80, v14
; %bb.2133:
	s_mov_b32 s13, 0x7f800001
	s_xor_b32 s3, exec_lo, -1
; %bb.2134:
	s_or_b32 exec_lo, exec_lo, s15
	s_delay_alu instid0(SALU_CYCLE_1)
	s_and_b32 s3, s3, exec_lo
	s_or_saveexec_b32 s14, s14
	v_mov_b32_e32 v7, s13
	s_xor_b32 exec_lo, exec_lo, s14
	s_cbranch_execnz .LBB73_2155
.LBB73_2135:
	s_or_b32 exec_lo, exec_lo, s14
	s_and_saveexec_b32 s13, s3
	s_cbranch_execz .LBB73_2137
.LBB73_2136:
	v_and_b32_e32 v7, 0xffff, v14
	s_delay_alu instid0(VALU_DEP_1) | instskip(NEXT) | instid1(VALU_DEP_1)
	v_and_b32_e32 v15, 3, v7
	v_clz_i32_u32_e32 v16, v15
	s_delay_alu instid0(VALU_DEP_1) | instskip(NEXT) | instid1(VALU_DEP_1)
	v_min_u32_e32 v16, 32, v16
	v_subrev_nc_u32_e32 v17, 29, v16
	v_sub_nc_u32_e32 v16, 30, v16
	s_delay_alu instid0(VALU_DEP_2) | instskip(SKIP_1) | instid1(VALU_DEP_2)
	v_lshlrev_b32_e32 v17, v17, v7
	v_bfe_u32 v7, v7, 2, 5
	v_and_b32_e32 v17, 3, v17
	s_delay_alu instid0(VALU_DEP_2) | instskip(SKIP_1) | instid1(VALU_DEP_1)
	v_cmp_eq_u32_e32 vcc_lo, 0, v7
	v_dual_cndmask_b32 v7, v7, v16 :: v_dual_lshlrev_b32 v14, 24, v14
	v_dual_cndmask_b32 v15, v15, v17 :: v_dual_and_b32 v14, 0x80000000, v14
	s_delay_alu instid0(VALU_DEP_2) | instskip(NEXT) | instid1(VALU_DEP_2)
	v_lshl_add_u32 v7, v7, 23, 0x37800000
	v_lshlrev_b32_e32 v15, 21, v15
	s_delay_alu instid0(VALU_DEP_1)
	v_or3_b32 v7, v14, v7, v15
.LBB73_2137:
	s_or_b32 exec_lo, exec_lo, s13
	s_mov_b32 s3, 0
	s_branch .LBB73_2143
.LBB73_2138:
	s_mov_b32 s3, -1
                                        ; implicit-def: $vgpr7
	s_branch .LBB73_2149
.LBB73_2139:
	s_or_saveexec_b32 s15, s15
	v_mov_b32_e32 v7, s14
	s_xor_b32 exec_lo, exec_lo, s15
	s_cbranch_execz .LBB73_2122
.LBB73_2140:
	v_cmp_ne_u16_e32 vcc_lo, 0, v14
	v_mov_b32_e32 v7, 0
	s_and_not1_b32 s13, s13, exec_lo
	s_and_b32 s14, vcc_lo, exec_lo
	s_delay_alu instid0(SALU_CYCLE_1)
	s_or_b32 s13, s13, s14
	s_or_b32 exec_lo, exec_lo, s15
	s_and_saveexec_b32 s14, s13
	s_cbranch_execnz .LBB73_2123
	s_branch .LBB73_2124
.LBB73_2141:
	s_mov_b32 s3, -1
                                        ; implicit-def: $vgpr7
	s_branch .LBB73_2146
.LBB73_2142:
	s_mov_b32 s3, -1
                                        ; implicit-def: $vgpr7
.LBB73_2143:
	s_delay_alu instid0(SALU_CYCLE_1)
	s_and_b32 vcc_lo, exec_lo, s3
	s_cbranch_vccz .LBB73_2145
; %bb.2144:
	global_load_u8 v7, v[10:11], off
	s_waitcnt vmcnt(0)
	v_lshlrev_b32_e32 v7, 24, v7
	s_delay_alu instid0(VALU_DEP_1) | instskip(NEXT) | instid1(VALU_DEP_1)
	v_and_b32_e32 v14, 0x7f000000, v7
	v_clz_i32_u32_e32 v15, v14
	v_cmp_ne_u32_e32 vcc_lo, 0, v14
	v_add_nc_u32_e32 v17, 0x1000000, v14
	s_delay_alu instid0(VALU_DEP_3) | instskip(NEXT) | instid1(VALU_DEP_1)
	v_min_u32_e32 v15, 32, v15
	v_sub_nc_u32_e64 v15, v15, 4 clamp
	s_delay_alu instid0(VALU_DEP_1) | instskip(SKIP_1) | instid1(VALU_DEP_2)
	v_lshlrev_b32_e32 v16, v15, v14
	v_lshlrev_b32_e32 v15, 23, v15
	v_lshrrev_b32_e32 v16, 4, v16
	s_delay_alu instid0(VALU_DEP_1) | instskip(SKIP_1) | instid1(VALU_DEP_2)
	v_sub_nc_u32_e32 v15, v16, v15
	v_ashrrev_i32_e32 v16, 8, v17
	v_add_nc_u32_e32 v15, 0x3c000000, v15
	s_delay_alu instid0(VALU_DEP_1) | instskip(NEXT) | instid1(VALU_DEP_1)
	v_and_or_b32 v15, 0x7f800000, v16, v15
	v_cndmask_b32_e32 v14, 0, v15, vcc_lo
	s_delay_alu instid0(VALU_DEP_1)
	v_and_or_b32 v7, 0x80000000, v7, v14
.LBB73_2145:
	s_mov_b32 s3, 0
.LBB73_2146:
	s_delay_alu instid0(SALU_CYCLE_1)
	s_and_not1_b32 vcc_lo, exec_lo, s3
	s_cbranch_vccnz .LBB73_2148
; %bb.2147:
	global_load_u8 v7, v[10:11], off
	s_waitcnt vmcnt(0)
	v_lshlrev_b32_e32 v14, 25, v7
	v_lshlrev_b16 v7, 8, v7
	s_delay_alu instid0(VALU_DEP_2) | instskip(NEXT) | instid1(VALU_DEP_2)
	v_lshrrev_b32_e32 v15, 4, v14
	v_and_or_b32 v16, 0x7f00, v7, 0.5
	v_cmp_gt_u32_e32 vcc_lo, 0x8000000, v14
	v_bfe_i32 v7, v7, 0, 16
	s_delay_alu instid0(VALU_DEP_4) | instskip(NEXT) | instid1(VALU_DEP_1)
	v_or_b32_e32 v15, 0x70000000, v15
	v_dual_add_f32 v16, -0.5, v16 :: v_dual_mul_f32 v15, 0x7800000, v15
	s_delay_alu instid0(VALU_DEP_1) | instskip(NEXT) | instid1(VALU_DEP_1)
	v_cndmask_b32_e32 v14, v15, v16, vcc_lo
	v_and_or_b32 v7, 0x80000000, v7, v14
.LBB73_2148:
	s_mov_b32 s3, 0
	s_mov_b32 s13, -1
.LBB73_2149:
	s_and_not1_b32 vcc_lo, exec_lo, s3
	s_mov_b32 s3, 0
	s_cbranch_vccnz .LBB73_2160
; %bb.2150:
	v_cmp_gt_i16_e64 s3, s12, 14
	s_delay_alu instid0(VALU_DEP_1)
	s_and_b32 vcc_lo, exec_lo, s3
	s_cbranch_vccz .LBB73_2153
; %bb.2151:
	v_cmp_eq_u16_e64 s2, s12, 15
	s_delay_alu instid0(VALU_DEP_1)
	s_and_b32 vcc_lo, exec_lo, s2
	s_cbranch_vccz .LBB73_2156
; %bb.2152:
	global_load_u16 v7, v[10:11], off
	s_mov_b32 s2, 0
	s_mov_b32 s13, -1
	s_waitcnt vmcnt(0)
	v_lshlrev_b32_e32 v7, 16, v7
	s_branch .LBB73_2157
.LBB73_2153:
	s_mov_b32 s3, -1
                                        ; implicit-def: $vgpr7
	s_branch .LBB73_2158
.LBB73_2154:
	s_or_saveexec_b32 s14, s14
	v_mov_b32_e32 v7, s13
	s_xor_b32 exec_lo, exec_lo, s14
	s_cbranch_execz .LBB73_2135
.LBB73_2155:
	v_cmp_ne_u16_e32 vcc_lo, 0, v14
	v_mov_b32_e32 v7, 0
	s_and_not1_b32 s3, s3, exec_lo
	s_and_b32 s13, vcc_lo, exec_lo
	s_delay_alu instid0(SALU_CYCLE_1)
	s_or_b32 s3, s3, s13
	s_or_b32 exec_lo, exec_lo, s14
	s_and_saveexec_b32 s13, s3
	s_cbranch_execnz .LBB73_2136
	s_branch .LBB73_2137
.LBB73_2156:
	s_mov_b32 s2, -1
                                        ; implicit-def: $vgpr7
.LBB73_2157:
	s_mov_b32 s3, 0
.LBB73_2158:
	s_delay_alu instid0(SALU_CYCLE_1)
	s_and_b32 vcc_lo, exec_lo, s3
	s_mov_b32 s3, 0
	s_cbranch_vccz .LBB73_2160
; %bb.2159:
	v_cmp_ne_u16_e64 s2, s12, 11
	s_mov_b32 s3, -1
                                        ; implicit-def: $vgpr7
.LBB73_2160:
	s_delay_alu instid0(VALU_DEP_1)
	s_and_b32 vcc_lo, exec_lo, s2
	s_cbranch_vccnz .LBB73_2237
; %bb.2161:
	s_and_not1_b32 vcc_lo, exec_lo, s3
	s_cbranch_vccnz .LBB73_2163
.LBB73_2162:
	global_load_u8 v7, v[10:11], off
	s_mov_b32 s13, -1
	s_waitcnt vmcnt(0)
	v_cmp_ne_u16_e32 vcc_lo, 0, v7
	v_cndmask_b32_e64 v7, 0, 1.0, vcc_lo
.LBB73_2163:
	s_mov_b32 s2, 0
.LBB73_2164:
	s_delay_alu instid0(SALU_CYCLE_1)
	s_and_b32 vcc_lo, exec_lo, s2
	s_cbranch_vccz .LBB73_2213
; %bb.2165:
	v_cmp_lt_i16_e64 s2, s12, 5
	s_delay_alu instid0(VALU_DEP_1)
	s_and_b32 vcc_lo, exec_lo, s2
	s_cbranch_vccnz .LBB73_2170
; %bb.2166:
	v_cmp_lt_i16_e64 s2, s12, 8
	s_delay_alu instid0(VALU_DEP_1)
	s_and_b32 vcc_lo, exec_lo, s2
	s_cbranch_vccnz .LBB73_2171
	;; [unrolled: 5-line block ×3, first 2 shown]
; %bb.2168:
	v_cmp_gt_i16_e64 s2, s12, 9
	s_delay_alu instid0(VALU_DEP_1)
	s_and_b32 vcc_lo, exec_lo, s2
	s_cbranch_vccz .LBB73_2173
; %bb.2169:
	global_load_b64 v[14:15], v[10:11], off
	s_mov_b32 s2, 0
	s_waitcnt vmcnt(0)
	v_cvt_f32_f64_e32 v7, v[14:15]
	s_branch .LBB73_2174
.LBB73_2170:
	s_mov_b32 s2, -1
                                        ; implicit-def: $vgpr7
	s_branch .LBB73_2192
.LBB73_2171:
	s_mov_b32 s2, -1
                                        ; implicit-def: $vgpr7
	s_branch .LBB73_2180
.LBB73_2172:
	s_mov_b32 s2, -1
                                        ; implicit-def: $vgpr7
	s_branch .LBB73_2177
.LBB73_2173:
	s_mov_b32 s2, -1
                                        ; implicit-def: $vgpr7
.LBB73_2174:
	s_delay_alu instid0(SALU_CYCLE_1)
	s_and_not1_b32 vcc_lo, exec_lo, s2
	s_cbranch_vccnz .LBB73_2176
; %bb.2175:
	global_load_b32 v7, v[10:11], off
.LBB73_2176:
	s_mov_b32 s2, 0
.LBB73_2177:
	s_delay_alu instid0(SALU_CYCLE_1)
	s_and_not1_b32 vcc_lo, exec_lo, s2
	s_cbranch_vccnz .LBB73_2179
; %bb.2178:
	global_load_b32 v7, v[10:11], off
	s_waitcnt vmcnt(0)
	v_cvt_f32_f16_e32 v7, v7
.LBB73_2179:
	s_mov_b32 s2, 0
.LBB73_2180:
	s_delay_alu instid0(SALU_CYCLE_1)
	s_and_not1_b32 vcc_lo, exec_lo, s2
	s_cbranch_vccnz .LBB73_2191
; %bb.2181:
	v_cmp_lt_i16_e64 s2, s12, 6
	s_delay_alu instid0(VALU_DEP_1)
	s_and_b32 vcc_lo, exec_lo, s2
	s_cbranch_vccnz .LBB73_2184
; %bb.2182:
	v_cmp_gt_i16_e64 s2, s12, 6
	s_delay_alu instid0(VALU_DEP_1)
	s_and_b32 vcc_lo, exec_lo, s2
	s_cbranch_vccz .LBB73_2185
; %bb.2183:
	global_load_b64 v[14:15], v[10:11], off
	s_mov_b32 s2, 0
	s_waitcnt vmcnt(0)
	v_cvt_f32_f64_e32 v7, v[14:15]
	s_branch .LBB73_2186
.LBB73_2184:
	s_mov_b32 s2, -1
                                        ; implicit-def: $vgpr7
	s_branch .LBB73_2189
.LBB73_2185:
	s_mov_b32 s2, -1
                                        ; implicit-def: $vgpr7
.LBB73_2186:
	s_delay_alu instid0(SALU_CYCLE_1)
	s_and_not1_b32 vcc_lo, exec_lo, s2
	s_cbranch_vccnz .LBB73_2188
; %bb.2187:
	global_load_b32 v7, v[10:11], off
.LBB73_2188:
	s_mov_b32 s2, 0
.LBB73_2189:
	s_delay_alu instid0(SALU_CYCLE_1)
	s_and_not1_b32 vcc_lo, exec_lo, s2
	s_cbranch_vccnz .LBB73_2191
; %bb.2190:
	global_load_u16 v7, v[10:11], off
	s_waitcnt vmcnt(0)
	v_cvt_f32_f16_e32 v7, v7
.LBB73_2191:
	s_mov_b32 s2, 0
.LBB73_2192:
	s_delay_alu instid0(SALU_CYCLE_1)
	s_and_not1_b32 vcc_lo, exec_lo, s2
	s_cbranch_vccnz .LBB73_2212
; %bb.2193:
	v_cmp_lt_i16_e64 s2, s12, 2
	s_delay_alu instid0(VALU_DEP_1)
	s_and_b32 vcc_lo, exec_lo, s2
	s_cbranch_vccnz .LBB73_2197
; %bb.2194:
	v_cmp_lt_i16_e64 s2, s12, 3
	s_delay_alu instid0(VALU_DEP_1)
	s_and_b32 vcc_lo, exec_lo, s2
	s_cbranch_vccnz .LBB73_2198
; %bb.2195:
	v_cmp_gt_i16_e64 s2, s12, 3
	s_delay_alu instid0(VALU_DEP_1)
	s_and_b32 vcc_lo, exec_lo, s2
	s_cbranch_vccz .LBB73_2199
; %bb.2196:
	global_load_b64 v[14:15], v[10:11], off
	s_mov_b32 s2, 0
	s_waitcnt vmcnt(0)
	v_xor_b32_e32 v7, v14, v15
	v_cls_i32_e32 v16, v15
	s_delay_alu instid0(VALU_DEP_2) | instskip(NEXT) | instid1(VALU_DEP_2)
	v_ashrrev_i32_e32 v7, 31, v7
	v_add_nc_u32_e32 v16, -1, v16
	s_delay_alu instid0(VALU_DEP_2) | instskip(NEXT) | instid1(VALU_DEP_1)
	v_add_nc_u32_e32 v7, 32, v7
	v_min_u32_e32 v7, v16, v7
	s_delay_alu instid0(VALU_DEP_1) | instskip(SKIP_1) | instid1(VALU_DEP_2)
	v_lshlrev_b64 v[14:15], v7, v[14:15]
	v_sub_nc_u32_e32 v7, 32, v7
	v_min_u32_e32 v14, 1, v14
	s_delay_alu instid0(VALU_DEP_1) | instskip(NEXT) | instid1(VALU_DEP_1)
	v_or_b32_e32 v14, v15, v14
	v_cvt_f32_i32_e32 v14, v14
	s_delay_alu instid0(VALU_DEP_1)
	v_ldexp_f32 v7, v14, v7
	s_branch .LBB73_2200
.LBB73_2197:
	s_mov_b32 s2, -1
                                        ; implicit-def: $vgpr7
	s_branch .LBB73_2206
.LBB73_2198:
	s_mov_b32 s2, -1
                                        ; implicit-def: $vgpr7
	s_branch .LBB73_2203
.LBB73_2199:
	s_mov_b32 s2, -1
                                        ; implicit-def: $vgpr7
.LBB73_2200:
	s_delay_alu instid0(SALU_CYCLE_1)
	s_and_not1_b32 vcc_lo, exec_lo, s2
	s_cbranch_vccnz .LBB73_2202
; %bb.2201:
	global_load_b32 v7, v[10:11], off
	s_waitcnt vmcnt(0)
	v_cvt_f32_i32_e32 v7, v7
.LBB73_2202:
	s_mov_b32 s2, 0
.LBB73_2203:
	s_delay_alu instid0(SALU_CYCLE_1)
	s_and_not1_b32 vcc_lo, exec_lo, s2
	s_cbranch_vccnz .LBB73_2205
; %bb.2204:
	global_load_i16 v7, v[10:11], off
	s_waitcnt vmcnt(0)
	v_cvt_f32_i32_e32 v7, v7
.LBB73_2205:
	s_mov_b32 s2, 0
.LBB73_2206:
	s_delay_alu instid0(SALU_CYCLE_1)
	s_and_not1_b32 vcc_lo, exec_lo, s2
	s_cbranch_vccnz .LBB73_2212
; %bb.2207:
	v_cmp_gt_i16_e64 s2, s12, 0
	s_delay_alu instid0(VALU_DEP_1)
	s_and_b32 vcc_lo, exec_lo, s2
	s_mov_b32 s2, 0
	s_cbranch_vccz .LBB73_2209
; %bb.2208:
	global_load_i8 v7, v[10:11], off
	s_waitcnt vmcnt(0)
	v_cvt_f32_i32_e32 v7, v7
	s_branch .LBB73_2210
.LBB73_2209:
	s_mov_b32 s2, -1
                                        ; implicit-def: $vgpr7
.LBB73_2210:
	s_delay_alu instid0(SALU_CYCLE_1)
	s_and_not1_b32 vcc_lo, exec_lo, s2
	s_cbranch_vccnz .LBB73_2212
; %bb.2211:
	global_load_u8 v7, v[10:11], off
	s_waitcnt vmcnt(0)
	v_cvt_f32_ubyte0_e32 v7, v7
.LBB73_2212:
	s_mov_b32 s13, -1
.LBB73_2213:
	s_delay_alu instid0(SALU_CYCLE_1)
	s_and_not1_b32 vcc_lo, exec_lo, s13
	s_cbranch_vccnz .LBB73_3218
; %bb.2214:
	s_waitcnt vmcnt(0)
	s_delay_alu instid0(VALU_DEP_1) | instskip(SKIP_1) | instid1(VALU_DEP_1)
	v_trunc_f32_e32 v10, v7
	s_mov_b32 s13, exec_lo
	v_mul_f32_e64 v11, 0x2f800000, |v10|
	s_delay_alu instid0(VALU_DEP_1) | instskip(NEXT) | instid1(VALU_DEP_1)
	v_floor_f32_e32 v11, v11
	v_fma_f32 v14, 0xcf800000, v11, |v10|
	v_ashrrev_i32_e32 v10, 31, v10
	v_cvt_u32_f32_e32 v11, v11
	s_delay_alu instid0(VALU_DEP_3) | instskip(NEXT) | instid1(VALU_DEP_2)
	v_cvt_u32_f32_e32 v14, v14
	v_xor_b32_e32 v11, v11, v10
	s_delay_alu instid0(VALU_DEP_2) | instskip(NEXT) | instid1(VALU_DEP_1)
	v_xor_b32_e32 v14, v14, v10
	v_sub_co_u32 v14, vcc_lo, v14, v10
	s_delay_alu instid0(VALU_DEP_3) | instskip(SKIP_2) | instid1(VALU_DEP_3)
	v_sub_co_ci_u32_e32 v10, vcc_lo, v11, v10, vcc_lo
	v_cmp_class_f32_e64 vcc_lo, v7, 0x1f8
	v_mov_b32_e32 v7, 0
	v_cndmask_b32_e32 v11, -1, v10, vcc_lo
	v_cndmask_b32_e32 v10, -1, v14, vcc_lo
	s_delay_alu instid0(VALU_DEP_1)
	v_cmpx_lt_i64_e32 -1, v[10:11]
	s_cbranch_execz .LBB73_2226
; %bb.2215:
	v_mov_b32_e32 v7, 1.0
	s_mov_b32 s14, exec_lo
	v_cmpx_lt_i64_e32 0, v[10:11]
	s_cbranch_execz .LBB73_2225
; %bb.2216:
                                        ; implicit-def: $vgpr7
	s_mov_b32 s2, exec_lo
	v_cmpx_ne_u64_e32 1, v[10:11]
	s_xor_b32 s15, exec_lo, s2
	s_cbranch_execz .LBB73_2222
; %bb.2217:
	v_mov_b32_e32 v7, 0x7fc00000
	s_mov_b32 s16, exec_lo
	v_cmpx_gt_u64_e32 0x81, v[10:11]
	s_cbranch_execz .LBB73_2221
; %bb.2218:
	v_add_f32_e32 v12, v12, v12
	v_lshlrev_b64 v[10:11], 1, v[10:11]
	v_mov_b32_e32 v14, 1.0
	s_mov_b64 s[2:3], 2
	s_mov_b32 s17, 0
	v_mov_b32_e32 v7, v12
.LBB73_2219:                            ; =>This Inner Loop Header: Depth=1
	s_clz_i32_u32 s18, s3
	s_delay_alu instid0(SALU_CYCLE_1) | instskip(NEXT) | instid1(SALU_CYCLE_1)
	s_min_u32 s20, s18, 32
	s_lshl_b64 s[18:19], s[2:3], s20
	s_delay_alu instid0(SALU_CYCLE_1) | instskip(NEXT) | instid1(SALU_CYCLE_1)
	s_min_u32 s18, s18, 1
	s_or_b32 s18, s19, s18
	s_delay_alu instid0(SALU_CYCLE_1) | instskip(SKIP_3) | instid1(SALU_CYCLE_1)
	v_cvt_f32_u32_e32 v15, s18
	s_sub_i32 s18, 32, s20
	s_add_u32 s2, s2, 2
	s_addc_u32 s3, s3, 0
	v_cmp_ge_u64_e32 vcc_lo, s[2:3], v[10:11]
	v_ldexp_f32 v15, v15, s18
	s_delay_alu instid0(VALU_DEP_1) | instskip(SKIP_1) | instid1(VALU_DEP_1)
	v_dual_mul_f32 v15, v14, v15 :: v_dual_mov_b32 v14, v7
	s_or_b32 s17, vcc_lo, s17
	v_fma_f32 v7, v12, v7, -v15
	s_and_not1_b32 exec_lo, exec_lo, s17
	s_cbranch_execnz .LBB73_2219
; %bb.2220:
	s_or_b32 exec_lo, exec_lo, s17
.LBB73_2221:
	s_delay_alu instid0(SALU_CYCLE_1)
	s_or_b32 exec_lo, exec_lo, s16
                                        ; implicit-def: $vgpr12
.LBB73_2222:
	s_and_not1_saveexec_b32 s2, s15
; %bb.2223:
	v_add_f32_e32 v7, v12, v12
; %bb.2224:
	s_or_b32 exec_lo, exec_lo, s2
.LBB73_2225:
	s_delay_alu instid0(SALU_CYCLE_1)
	s_or_b32 exec_lo, exec_lo, s14
.LBB73_2226:
	s_delay_alu instid0(SALU_CYCLE_1) | instskip(SKIP_2) | instid1(VALU_DEP_1)
	s_or_b32 exec_lo, exec_lo, s13
	v_cmp_gt_i16_e32 vcc_lo, 11, v13
	v_add_co_u32 v9, s2, s6, v9
	v_add_co_ci_u32_e64 v10, null, s7, 0, s2
	s_mov_b32 s13, 0
	s_cbranch_vccnz .LBB73_2233
; %bb.2227:
	v_cmp_lt_i16_e32 vcc_lo, 25, v13
	s_mov_b32 s3, 0
	s_cbranch_vccz .LBB73_2234
; %bb.2228:
	v_cmp_lt_i16_e32 vcc_lo, 28, v13
	s_cbranch_vccz .LBB73_2235
; %bb.2229:
	v_cmp_lt_i16_e32 vcc_lo, 43, v13
	;; [unrolled: 3-line block ×3, first 2 shown]
	s_cbranch_vccz .LBB73_2239
; %bb.2231:
	v_cmp_eq_u16_e32 vcc_lo, 46, v13
	s_mov_b32 s14, 0
	s_cbranch_vccz .LBB73_2242
; %bb.2232:
	global_load_b32 v11, v[9:10], off
	s_mov_b32 s2, 0
	s_mov_b32 s13, -1
	s_waitcnt vmcnt(0)
	v_lshlrev_b32_e32 v12, 16, v11
	s_branch .LBB73_2244
.LBB73_2233:
	s_mov_b32 s2, -1
                                        ; implicit-def: $vgpr12
	s_branch .LBB73_2310
.LBB73_2234:
	s_mov_b32 s14, -1
	s_mov_b32 s2, 0
                                        ; implicit-def: $vgpr12
	s_branch .LBB73_2273
.LBB73_2235:
	s_mov_b32 s14, -1
	s_mov_b32 s2, 0
                                        ; implicit-def: $vgpr12
	s_branch .LBB73_2254
.LBB73_2236:
	s_mov_b32 s14, -1
	s_mov_b32 s2, 0
                                        ; implicit-def: $vgpr12
	s_branch .LBB73_2249
.LBB73_2237:
	s_cbranch_execnz .LBB73_2240
; %bb.2238:
	s_or_b32 s10, s10, exec_lo
                                        ; implicit-def: $vgpr7
	s_cbranch_execz .LBB73_2162
	s_branch .LBB73_2163
.LBB73_2239:
	s_mov_b32 s14, -1
	s_mov_b32 s2, 0
	s_branch .LBB73_2243
.LBB73_2240:
	s_trap 2
	s_sendmsg_rtn_b32 s0, sendmsg(MSG_RTN_GET_DOORBELL)
	s_mov_b32 ttmp2, m0
	s_waitcnt lgkmcnt(0)
	s_and_b32 s0, s0, 0x3ff
	s_delay_alu instid0(SALU_CYCLE_1) | instskip(NEXT) | instid1(SALU_CYCLE_1)
	s_bitset1_b32 s0, 10
	s_mov_b32 m0, s0
	s_sendmsg sendmsg(MSG_INTERRUPT)
	s_mov_b32 m0, ttmp2
.LBB73_2241:                            ; =>This Inner Loop Header: Depth=1
	s_sethalt 5
	s_branch .LBB73_2241
.LBB73_2242:
	s_mov_b32 s2, -1
.LBB73_2243:
                                        ; implicit-def: $vgpr12
.LBB73_2244:
	s_and_b32 vcc_lo, exec_lo, s14
	s_cbranch_vccz .LBB73_2248
; %bb.2245:
	v_cmp_eq_u16_e32 vcc_lo, 44, v13
	s_cbranch_vccz .LBB73_2247
; %bb.2246:
	global_load_u8 v11, v[9:10], off
	s_mov_b32 s2, 0
	s_mov_b32 s13, -1
	s_waitcnt vmcnt(0)
	v_lshlrev_b32_e32 v12, 23, v11
	v_cmp_ne_u32_e32 vcc_lo, 0xff, v11
	s_delay_alu instid0(VALU_DEP_2) | instskip(SKIP_1) | instid1(VALU_DEP_2)
	v_cndmask_b32_e32 v12, 0x7f800001, v12, vcc_lo
	v_cmp_ne_u32_e32 vcc_lo, 0, v11
	v_cndmask_b32_e32 v12, 0x400000, v12, vcc_lo
	s_branch .LBB73_2248
.LBB73_2247:
	s_mov_b32 s2, -1
                                        ; implicit-def: $vgpr12
.LBB73_2248:
	s_mov_b32 s14, 0
.LBB73_2249:
	s_delay_alu instid0(SALU_CYCLE_1)
	s_and_b32 vcc_lo, exec_lo, s14
	s_cbranch_vccz .LBB73_2253
; %bb.2250:
	v_cmp_eq_u16_e32 vcc_lo, 29, v13
	s_cbranch_vccz .LBB73_2252
; %bb.2251:
	global_load_b64 v[11:12], v[9:10], off
	s_mov_b32 s2, 0
	s_mov_b32 s13, -1
	s_mov_b32 s14, 0
	s_waitcnt vmcnt(0)
	v_clz_i32_u32_e32 v14, v12
	s_delay_alu instid0(VALU_DEP_1) | instskip(NEXT) | instid1(VALU_DEP_1)
	v_min_u32_e32 v14, 32, v14
	v_lshlrev_b64 v[11:12], v14, v[11:12]
	s_delay_alu instid0(VALU_DEP_1) | instskip(NEXT) | instid1(VALU_DEP_1)
	v_min_u32_e32 v11, 1, v11
	v_or_b32_e32 v11, v12, v11
	v_sub_nc_u32_e32 v12, 32, v14
	s_delay_alu instid0(VALU_DEP_2) | instskip(NEXT) | instid1(VALU_DEP_1)
	v_cvt_f32_u32_e32 v11, v11
	v_ldexp_f32 v12, v11, v12
	s_branch .LBB73_2254
.LBB73_2252:
	s_mov_b32 s2, -1
                                        ; implicit-def: $vgpr12
.LBB73_2253:
	s_mov_b32 s14, 0
.LBB73_2254:
	s_delay_alu instid0(SALU_CYCLE_1)
	s_and_b32 vcc_lo, exec_lo, s14
	s_cbranch_vccz .LBB73_2272
; %bb.2255:
	v_cmp_gt_i16_e32 vcc_lo, 27, v13
	s_cbranch_vccnz .LBB73_2258
; %bb.2256:
	v_cmp_lt_i16_e32 vcc_lo, 27, v13
	s_cbranch_vccz .LBB73_2259
; %bb.2257:
	global_load_b32 v11, v[9:10], off
	s_mov_b32 s13, 0
	s_waitcnt vmcnt(0)
	v_cvt_f32_u32_e32 v12, v11
	s_branch .LBB73_2260
.LBB73_2258:
	s_mov_b32 s13, -1
                                        ; implicit-def: $vgpr12
	s_branch .LBB73_2263
.LBB73_2259:
	s_mov_b32 s13, -1
                                        ; implicit-def: $vgpr12
.LBB73_2260:
	s_delay_alu instid0(SALU_CYCLE_1)
	s_and_not1_b32 vcc_lo, exec_lo, s13
	s_cbranch_vccnz .LBB73_2262
; %bb.2261:
	global_load_u16 v11, v[9:10], off
	s_waitcnt vmcnt(0)
	v_cvt_f32_u32_e32 v12, v11
.LBB73_2262:
	s_mov_b32 s13, 0
.LBB73_2263:
	s_delay_alu instid0(SALU_CYCLE_1)
	s_and_not1_b32 vcc_lo, exec_lo, s13
	s_cbranch_vccnz .LBB73_2271
; %bb.2264:
	global_load_u8 v11, v[9:10], off
	s_mov_b32 s13, 0
	s_mov_b32 s15, exec_lo
                                        ; implicit-def: $sgpr14
	s_waitcnt vmcnt(0)
	v_cmpx_lt_i16_e32 0x7f, v11
	s_xor_b32 s15, exec_lo, s15
	s_cbranch_execz .LBB73_2285
; %bb.2265:
	s_mov_b32 s13, -1
	s_mov_b32 s16, exec_lo
                                        ; implicit-def: $sgpr14
	v_cmpx_eq_u16_e32 0x80, v11
; %bb.2266:
	s_mov_b32 s14, 0x7f800001
	s_xor_b32 s13, exec_lo, -1
; %bb.2267:
	s_or_b32 exec_lo, exec_lo, s16
	s_delay_alu instid0(SALU_CYCLE_1)
	s_and_b32 s13, s13, exec_lo
	s_or_saveexec_b32 s15, s15
	v_mov_b32_e32 v12, s14
	s_xor_b32 exec_lo, exec_lo, s15
	s_cbranch_execnz .LBB73_2286
.LBB73_2268:
	s_or_b32 exec_lo, exec_lo, s15
	s_and_saveexec_b32 s14, s13
	s_cbranch_execz .LBB73_2270
.LBB73_2269:
	v_and_b32_e32 v12, 0xffff, v11
	s_delay_alu instid0(VALU_DEP_1) | instskip(NEXT) | instid1(VALU_DEP_1)
	v_and_b32_e32 v14, 7, v12
	v_clz_i32_u32_e32 v15, v14
	s_delay_alu instid0(VALU_DEP_1) | instskip(NEXT) | instid1(VALU_DEP_1)
	v_min_u32_e32 v15, 32, v15
	v_subrev_nc_u32_e32 v16, 28, v15
	v_sub_nc_u32_e32 v15, 29, v15
	s_delay_alu instid0(VALU_DEP_2) | instskip(SKIP_1) | instid1(VALU_DEP_2)
	v_lshlrev_b32_e32 v16, v16, v12
	v_bfe_u32 v12, v12, 3, 4
	v_and_b32_e32 v16, 7, v16
	s_delay_alu instid0(VALU_DEP_2) | instskip(NEXT) | instid1(VALU_DEP_2)
	v_cmp_eq_u32_e32 vcc_lo, 0, v12
	v_dual_cndmask_b32 v14, v14, v16 :: v_dual_lshlrev_b32 v11, 24, v11
	v_cndmask_b32_e32 v12, v12, v15, vcc_lo
	s_delay_alu instid0(VALU_DEP_2) | instskip(NEXT) | instid1(VALU_DEP_3)
	v_and_b32_e32 v11, 0x80000000, v11
	v_lshlrev_b32_e32 v14, 20, v14
	s_delay_alu instid0(VALU_DEP_3) | instskip(NEXT) | instid1(VALU_DEP_1)
	v_lshl_add_u32 v12, v12, 23, 0x3b800000
	v_or3_b32 v12, v11, v12, v14
.LBB73_2270:
	s_or_b32 exec_lo, exec_lo, s14
.LBB73_2271:
	s_mov_b32 s13, -1
.LBB73_2272:
	s_mov_b32 s14, 0
.LBB73_2273:
	s_delay_alu instid0(SALU_CYCLE_1)
	s_and_b32 vcc_lo, exec_lo, s14
	s_cbranch_vccz .LBB73_2306
; %bb.2274:
	v_cmp_lt_i16_e32 vcc_lo, 22, v13
	s_cbranch_vccz .LBB73_2284
; %bb.2275:
	v_cmp_gt_i16_e32 vcc_lo, 24, v13
	s_cbranch_vccnz .LBB73_2287
; %bb.2276:
	v_cmp_lt_i16_e32 vcc_lo, 24, v13
	s_cbranch_vccz .LBB73_2288
; %bb.2277:
	global_load_u8 v11, v[9:10], off
	s_mov_b32 s14, exec_lo
                                        ; implicit-def: $sgpr13
	s_waitcnt vmcnt(0)
	v_cmpx_lt_i16_e32 0x7f, v11
	s_xor_b32 s14, exec_lo, s14
	s_cbranch_execz .LBB73_2300
; %bb.2278:
	s_mov_b32 s3, -1
	s_mov_b32 s15, exec_lo
                                        ; implicit-def: $sgpr13
	v_cmpx_eq_u16_e32 0x80, v11
; %bb.2279:
	s_mov_b32 s13, 0x7f800001
	s_xor_b32 s3, exec_lo, -1
; %bb.2280:
	s_or_b32 exec_lo, exec_lo, s15
	s_delay_alu instid0(SALU_CYCLE_1)
	s_and_b32 s3, s3, exec_lo
	s_or_saveexec_b32 s14, s14
	v_mov_b32_e32 v12, s13
	s_xor_b32 exec_lo, exec_lo, s14
	s_cbranch_execnz .LBB73_2301
.LBB73_2281:
	s_or_b32 exec_lo, exec_lo, s14
	s_and_saveexec_b32 s13, s3
	s_cbranch_execz .LBB73_2283
.LBB73_2282:
	v_and_b32_e32 v12, 0xffff, v11
	s_delay_alu instid0(VALU_DEP_1) | instskip(NEXT) | instid1(VALU_DEP_1)
	v_and_b32_e32 v14, 3, v12
	v_clz_i32_u32_e32 v15, v14
	s_delay_alu instid0(VALU_DEP_1) | instskip(NEXT) | instid1(VALU_DEP_1)
	v_min_u32_e32 v15, 32, v15
	v_subrev_nc_u32_e32 v16, 29, v15
	v_sub_nc_u32_e32 v15, 30, v15
	s_delay_alu instid0(VALU_DEP_2) | instskip(SKIP_1) | instid1(VALU_DEP_2)
	v_lshlrev_b32_e32 v16, v16, v12
	v_bfe_u32 v12, v12, 2, 5
	v_and_b32_e32 v16, 3, v16
	s_delay_alu instid0(VALU_DEP_2) | instskip(NEXT) | instid1(VALU_DEP_2)
	v_cmp_eq_u32_e32 vcc_lo, 0, v12
	v_dual_cndmask_b32 v14, v14, v16 :: v_dual_lshlrev_b32 v11, 24, v11
	v_cndmask_b32_e32 v12, v12, v15, vcc_lo
	s_delay_alu instid0(VALU_DEP_2) | instskip(NEXT) | instid1(VALU_DEP_3)
	v_and_b32_e32 v11, 0x80000000, v11
	v_lshlrev_b32_e32 v14, 21, v14
	s_delay_alu instid0(VALU_DEP_3) | instskip(NEXT) | instid1(VALU_DEP_1)
	v_lshl_add_u32 v12, v12, 23, 0x37800000
	v_or3_b32 v12, v11, v12, v14
.LBB73_2283:
	s_or_b32 exec_lo, exec_lo, s13
	s_mov_b32 s3, 0
	s_branch .LBB73_2289
.LBB73_2284:
	s_mov_b32 s3, -1
                                        ; implicit-def: $vgpr12
	s_branch .LBB73_2295
.LBB73_2285:
	s_or_saveexec_b32 s15, s15
	v_mov_b32_e32 v12, s14
	s_xor_b32 exec_lo, exec_lo, s15
	s_cbranch_execz .LBB73_2268
.LBB73_2286:
	v_cmp_ne_u16_e32 vcc_lo, 0, v11
	v_mov_b32_e32 v12, 0
	s_and_not1_b32 s13, s13, exec_lo
	s_and_b32 s14, vcc_lo, exec_lo
	s_delay_alu instid0(SALU_CYCLE_1)
	s_or_b32 s13, s13, s14
	s_or_b32 exec_lo, exec_lo, s15
	s_and_saveexec_b32 s14, s13
	s_cbranch_execnz .LBB73_2269
	s_branch .LBB73_2270
.LBB73_2287:
	s_mov_b32 s3, -1
                                        ; implicit-def: $vgpr12
	s_branch .LBB73_2292
.LBB73_2288:
	s_mov_b32 s3, -1
                                        ; implicit-def: $vgpr12
.LBB73_2289:
	s_delay_alu instid0(SALU_CYCLE_1)
	s_and_b32 vcc_lo, exec_lo, s3
	s_cbranch_vccz .LBB73_2291
; %bb.2290:
	global_load_u8 v11, v[9:10], off
	s_waitcnt vmcnt(0)
	v_lshlrev_b32_e32 v11, 24, v11
	s_delay_alu instid0(VALU_DEP_1) | instskip(NEXT) | instid1(VALU_DEP_1)
	v_and_b32_e32 v12, 0x7f000000, v11
	v_clz_i32_u32_e32 v14, v12
	v_add_nc_u32_e32 v16, 0x1000000, v12
	v_cmp_ne_u32_e32 vcc_lo, 0, v12
	s_delay_alu instid0(VALU_DEP_3) | instskip(NEXT) | instid1(VALU_DEP_1)
	v_min_u32_e32 v14, 32, v14
	v_sub_nc_u32_e64 v14, v14, 4 clamp
	s_delay_alu instid0(VALU_DEP_1) | instskip(SKIP_1) | instid1(VALU_DEP_2)
	v_lshlrev_b32_e32 v15, v14, v12
	v_lshlrev_b32_e32 v14, 23, v14
	v_lshrrev_b32_e32 v15, 4, v15
	s_delay_alu instid0(VALU_DEP_1) | instskip(SKIP_1) | instid1(VALU_DEP_2)
	v_sub_nc_u32_e32 v14, v15, v14
	v_ashrrev_i32_e32 v15, 8, v16
	v_add_nc_u32_e32 v14, 0x3c000000, v14
	s_delay_alu instid0(VALU_DEP_1) | instskip(NEXT) | instid1(VALU_DEP_1)
	v_and_or_b32 v14, 0x7f800000, v15, v14
	v_cndmask_b32_e32 v12, 0, v14, vcc_lo
	s_delay_alu instid0(VALU_DEP_1)
	v_and_or_b32 v12, 0x80000000, v11, v12
.LBB73_2291:
	s_mov_b32 s3, 0
.LBB73_2292:
	s_delay_alu instid0(SALU_CYCLE_1)
	s_and_not1_b32 vcc_lo, exec_lo, s3
	s_cbranch_vccnz .LBB73_2294
; %bb.2293:
	global_load_u8 v11, v[9:10], off
	s_waitcnt vmcnt(0)
	v_lshlrev_b32_e32 v12, 25, v11
	v_lshlrev_b16 v11, 8, v11
	s_delay_alu instid0(VALU_DEP_2) | instskip(NEXT) | instid1(VALU_DEP_2)
	v_lshrrev_b32_e32 v14, 4, v12
	v_and_or_b32 v15, 0x7f00, v11, 0.5
	v_cmp_gt_u32_e32 vcc_lo, 0x8000000, v12
	v_bfe_i32 v11, v11, 0, 16
	s_delay_alu instid0(VALU_DEP_4) | instskip(NEXT) | instid1(VALU_DEP_1)
	v_or_b32_e32 v14, 0x70000000, v14
	v_dual_add_f32 v15, -0.5, v15 :: v_dual_mul_f32 v14, 0x7800000, v14
	s_delay_alu instid0(VALU_DEP_1) | instskip(NEXT) | instid1(VALU_DEP_1)
	v_cndmask_b32_e32 v12, v14, v15, vcc_lo
	v_and_or_b32 v12, 0x80000000, v11, v12
.LBB73_2294:
	s_mov_b32 s3, 0
	s_mov_b32 s13, -1
.LBB73_2295:
	s_and_not1_b32 vcc_lo, exec_lo, s3
	s_mov_b32 s3, 0
	s_cbranch_vccnz .LBB73_2306
; %bb.2296:
	v_cmp_lt_i16_e32 vcc_lo, 14, v13
	s_cbranch_vccz .LBB73_2299
; %bb.2297:
	v_cmp_eq_u16_e32 vcc_lo, 15, v13
	s_cbranch_vccz .LBB73_2302
; %bb.2298:
	global_load_u16 v11, v[9:10], off
	s_mov_b32 s2, 0
	s_mov_b32 s13, -1
	s_waitcnt vmcnt(0)
	v_lshlrev_b32_e32 v12, 16, v11
	s_branch .LBB73_2304
.LBB73_2299:
	s_mov_b32 s3, -1
	s_branch .LBB73_2303
.LBB73_2300:
	s_or_saveexec_b32 s14, s14
	v_mov_b32_e32 v12, s13
	s_xor_b32 exec_lo, exec_lo, s14
	s_cbranch_execz .LBB73_2281
.LBB73_2301:
	v_cmp_ne_u16_e32 vcc_lo, 0, v11
	v_mov_b32_e32 v12, 0
	s_and_not1_b32 s3, s3, exec_lo
	s_and_b32 s13, vcc_lo, exec_lo
	s_delay_alu instid0(SALU_CYCLE_1)
	s_or_b32 s3, s3, s13
	s_or_b32 exec_lo, exec_lo, s14
	s_and_saveexec_b32 s13, s3
	s_cbranch_execnz .LBB73_2282
	s_branch .LBB73_2283
.LBB73_2302:
	s_mov_b32 s2, -1
.LBB73_2303:
                                        ; implicit-def: $vgpr12
.LBB73_2304:
	s_and_b32 vcc_lo, exec_lo, s3
	s_mov_b32 s3, 0
	s_cbranch_vccz .LBB73_2306
; %bb.2305:
	v_cmp_ne_u16_e64 s2, 11, v13
	s_mov_b32 s3, -1
                                        ; implicit-def: $vgpr12
.LBB73_2306:
	s_delay_alu instid0(VALU_DEP_1)
	s_and_b32 vcc_lo, exec_lo, s2
	s_cbranch_vccnz .LBB73_2371
; %bb.2307:
	s_and_not1_b32 vcc_lo, exec_lo, s3
	s_cbranch_vccnz .LBB73_2309
.LBB73_2308:
	global_load_u8 v11, v[9:10], off
	s_mov_b32 s13, -1
	s_waitcnt vmcnt(0)
	v_cmp_ne_u16_e32 vcc_lo, 0, v11
	v_cndmask_b32_e64 v12, 0, 1.0, vcc_lo
.LBB73_2309:
	s_mov_b32 s2, 0
.LBB73_2310:
	s_delay_alu instid0(SALU_CYCLE_1)
	s_and_b32 vcc_lo, exec_lo, s2
	s_cbranch_vccz .LBB73_2359
; %bb.2311:
	v_cmp_gt_i16_e32 vcc_lo, 5, v13
	s_cbranch_vccnz .LBB73_2316
; %bb.2312:
	v_cmp_gt_i16_e32 vcc_lo, 8, v13
	s_cbranch_vccnz .LBB73_2317
; %bb.2313:
	v_cmp_gt_i16_e32 vcc_lo, 9, v13
	s_cbranch_vccnz .LBB73_2318
; %bb.2314:
	v_cmp_lt_i16_e32 vcc_lo, 9, v13
	s_cbranch_vccz .LBB73_2319
; %bb.2315:
	global_load_b64 v[11:12], v[9:10], off
	s_mov_b32 s2, 0
	s_waitcnt vmcnt(0)
	v_cvt_f32_f64_e32 v12, v[11:12]
	s_branch .LBB73_2320
.LBB73_2316:
	s_mov_b32 s2, -1
                                        ; implicit-def: $vgpr12
	s_branch .LBB73_2338
.LBB73_2317:
	s_mov_b32 s2, -1
                                        ; implicit-def: $vgpr12
	s_branch .LBB73_2326
.LBB73_2318:
	s_mov_b32 s2, -1
                                        ; implicit-def: $vgpr12
	s_branch .LBB73_2323
.LBB73_2319:
	s_mov_b32 s2, -1
                                        ; implicit-def: $vgpr12
.LBB73_2320:
	s_delay_alu instid0(SALU_CYCLE_1)
	s_and_not1_b32 vcc_lo, exec_lo, s2
	s_cbranch_vccnz .LBB73_2322
; %bb.2321:
	global_load_b32 v12, v[9:10], off
.LBB73_2322:
	s_mov_b32 s2, 0
.LBB73_2323:
	s_delay_alu instid0(SALU_CYCLE_1)
	s_and_not1_b32 vcc_lo, exec_lo, s2
	s_cbranch_vccnz .LBB73_2325
; %bb.2324:
	global_load_b32 v11, v[9:10], off
	s_waitcnt vmcnt(0)
	v_cvt_f32_f16_e32 v12, v11
.LBB73_2325:
	s_mov_b32 s2, 0
.LBB73_2326:
	s_delay_alu instid0(SALU_CYCLE_1)
	s_and_not1_b32 vcc_lo, exec_lo, s2
	s_cbranch_vccnz .LBB73_2337
; %bb.2327:
	v_cmp_gt_i16_e32 vcc_lo, 6, v13
	s_cbranch_vccnz .LBB73_2330
; %bb.2328:
	v_cmp_lt_i16_e32 vcc_lo, 6, v13
	s_cbranch_vccz .LBB73_2331
; %bb.2329:
	global_load_b64 v[11:12], v[9:10], off
	s_mov_b32 s2, 0
	s_waitcnt vmcnt(0)
	v_cvt_f32_f64_e32 v12, v[11:12]
	s_branch .LBB73_2332
.LBB73_2330:
	s_mov_b32 s2, -1
                                        ; implicit-def: $vgpr12
	s_branch .LBB73_2335
.LBB73_2331:
	s_mov_b32 s2, -1
                                        ; implicit-def: $vgpr12
.LBB73_2332:
	s_delay_alu instid0(SALU_CYCLE_1)
	s_and_not1_b32 vcc_lo, exec_lo, s2
	s_cbranch_vccnz .LBB73_2334
; %bb.2333:
	global_load_b32 v12, v[9:10], off
.LBB73_2334:
	s_mov_b32 s2, 0
.LBB73_2335:
	s_delay_alu instid0(SALU_CYCLE_1)
	s_and_not1_b32 vcc_lo, exec_lo, s2
	s_cbranch_vccnz .LBB73_2337
; %bb.2336:
	global_load_u16 v11, v[9:10], off
	s_waitcnt vmcnt(0)
	v_cvt_f32_f16_e32 v12, v11
.LBB73_2337:
	s_mov_b32 s2, 0
.LBB73_2338:
	s_delay_alu instid0(SALU_CYCLE_1)
	s_and_not1_b32 vcc_lo, exec_lo, s2
	s_cbranch_vccnz .LBB73_2358
; %bb.2339:
	v_cmp_gt_i16_e32 vcc_lo, 2, v13
	s_cbranch_vccnz .LBB73_2343
; %bb.2340:
	v_cmp_gt_i16_e32 vcc_lo, 3, v13
	s_cbranch_vccnz .LBB73_2344
; %bb.2341:
	v_cmp_lt_i16_e32 vcc_lo, 3, v13
	s_cbranch_vccz .LBB73_2345
; %bb.2342:
	global_load_b64 v[11:12], v[9:10], off
	s_mov_b32 s2, 0
	s_waitcnt vmcnt(0)
	v_xor_b32_e32 v14, v11, v12
	v_cls_i32_e32 v15, v12
	s_delay_alu instid0(VALU_DEP_2) | instskip(NEXT) | instid1(VALU_DEP_2)
	v_ashrrev_i32_e32 v14, 31, v14
	v_add_nc_u32_e32 v15, -1, v15
	s_delay_alu instid0(VALU_DEP_2) | instskip(NEXT) | instid1(VALU_DEP_1)
	v_add_nc_u32_e32 v14, 32, v14
	v_min_u32_e32 v14, v15, v14
	s_delay_alu instid0(VALU_DEP_1) | instskip(NEXT) | instid1(VALU_DEP_1)
	v_lshlrev_b64 v[11:12], v14, v[11:12]
	v_min_u32_e32 v11, 1, v11
	s_delay_alu instid0(VALU_DEP_1) | instskip(SKIP_1) | instid1(VALU_DEP_2)
	v_or_b32_e32 v11, v12, v11
	v_sub_nc_u32_e32 v12, 32, v14
	v_cvt_f32_i32_e32 v11, v11
	s_delay_alu instid0(VALU_DEP_1)
	v_ldexp_f32 v12, v11, v12
	s_branch .LBB73_2346
.LBB73_2343:
	s_mov_b32 s2, -1
                                        ; implicit-def: $vgpr12
	s_branch .LBB73_2352
.LBB73_2344:
	s_mov_b32 s2, -1
                                        ; implicit-def: $vgpr12
	s_branch .LBB73_2349
.LBB73_2345:
	s_mov_b32 s2, -1
                                        ; implicit-def: $vgpr12
.LBB73_2346:
	s_delay_alu instid0(SALU_CYCLE_1)
	s_and_not1_b32 vcc_lo, exec_lo, s2
	s_cbranch_vccnz .LBB73_2348
; %bb.2347:
	global_load_b32 v11, v[9:10], off
	s_waitcnt vmcnt(0)
	v_cvt_f32_i32_e32 v12, v11
.LBB73_2348:
	s_mov_b32 s2, 0
.LBB73_2349:
	s_delay_alu instid0(SALU_CYCLE_1)
	s_and_not1_b32 vcc_lo, exec_lo, s2
	s_cbranch_vccnz .LBB73_2351
; %bb.2350:
	global_load_i16 v11, v[9:10], off
	s_waitcnt vmcnt(0)
	v_cvt_f32_i32_e32 v12, v11
.LBB73_2351:
	s_mov_b32 s2, 0
.LBB73_2352:
	s_delay_alu instid0(SALU_CYCLE_1)
	s_and_not1_b32 vcc_lo, exec_lo, s2
	s_cbranch_vccnz .LBB73_2358
; %bb.2353:
	v_cmp_lt_i16_e32 vcc_lo, 0, v13
	s_mov_b32 s2, 0
	s_cbranch_vccz .LBB73_2355
; %bb.2354:
	global_load_i8 v11, v[9:10], off
	s_waitcnt vmcnt(0)
	v_cvt_f32_i32_e32 v12, v11
	s_branch .LBB73_2356
.LBB73_2355:
	s_mov_b32 s2, -1
                                        ; implicit-def: $vgpr12
.LBB73_2356:
	s_delay_alu instid0(SALU_CYCLE_1)
	s_and_not1_b32 vcc_lo, exec_lo, s2
	s_cbranch_vccnz .LBB73_2358
; %bb.2357:
	global_load_u8 v9, v[9:10], off
	s_waitcnt vmcnt(0)
	v_cvt_f32_ubyte0_e32 v12, v9
.LBB73_2358:
	s_mov_b32 s13, -1
.LBB73_2359:
	s_delay_alu instid0(SALU_CYCLE_1)
	s_and_not1_b32 vcc_lo, exec_lo, s13
	s_cbranch_vccnz .LBB73_3218
; %bb.2360:
	v_cmp_lt_i16_e64 s2, s12, 11
	v_add_co_u32 v8, s3, s0, v8
	s_delay_alu instid0(VALU_DEP_1) | instskip(NEXT) | instid1(VALU_DEP_3)
	v_add_co_ci_u32_e64 v9, null, s1, 0, s3
	s_and_b32 vcc_lo, exec_lo, s2
	s_mov_b32 s13, 0
	s_cbranch_vccnz .LBB73_2367
; %bb.2361:
	v_cmp_gt_i16_e64 s2, s12, 25
	s_mov_b32 s3, 0
	s_delay_alu instid0(VALU_DEP_1)
	s_and_b32 vcc_lo, exec_lo, s2
	s_cbranch_vccz .LBB73_2368
; %bb.2362:
	v_cmp_gt_i16_e64 s2, s12, 28
	s_delay_alu instid0(VALU_DEP_1)
	s_and_b32 vcc_lo, exec_lo, s2
	s_cbranch_vccz .LBB73_2369
; %bb.2363:
	v_cmp_gt_i16_e64 s2, s12, 43
	;; [unrolled: 5-line block ×3, first 2 shown]
	s_delay_alu instid0(VALU_DEP_1)
	s_and_b32 vcc_lo, exec_lo, s2
	s_cbranch_vccz .LBB73_2373
; %bb.2365:
	v_cmp_eq_u16_e64 s2, s12, 46
	s_mov_b32 s14, 0
	s_delay_alu instid0(VALU_DEP_1)
	s_and_b32 vcc_lo, exec_lo, s2
	s_cbranch_vccz .LBB73_2378
; %bb.2366:
	global_load_b32 v10, v[8:9], off
	s_mov_b32 s2, 0
	s_mov_b32 s13, -1
	s_waitcnt vmcnt(0)
	v_lshlrev_b32_e32 v10, 16, v10
	s_branch .LBB73_2380
.LBB73_2367:
	s_mov_b32 s2, -1
                                        ; implicit-def: $vgpr10
	s_branch .LBB73_2446
.LBB73_2368:
	s_mov_b32 s14, -1
	s_mov_b32 s2, 0
                                        ; implicit-def: $vgpr10
	s_branch .LBB73_2409
.LBB73_2369:
	s_mov_b32 s14, -1
	s_mov_b32 s2, 0
                                        ; implicit-def: $vgpr10
	s_branch .LBB73_2390
.LBB73_2370:
	s_mov_b32 s14, -1
	s_mov_b32 s2, 0
                                        ; implicit-def: $vgpr10
	s_branch .LBB73_2385
.LBB73_2371:
	s_cbranch_execnz .LBB73_2374
; %bb.2372:
	s_or_b32 s10, s10, exec_lo
                                        ; implicit-def: $vgpr12
	s_cbranch_execz .LBB73_2308
	s_branch .LBB73_2309
.LBB73_2373:
	s_mov_b32 s14, -1
	s_mov_b32 s2, 0
	s_branch .LBB73_2379
.LBB73_2374:
	s_trap 2
	s_sendmsg_rtn_b32 s0, sendmsg(MSG_RTN_GET_DOORBELL)
	s_mov_b32 ttmp2, m0
	s_waitcnt lgkmcnt(0)
	s_and_b32 s0, s0, 0x3ff
	s_delay_alu instid0(SALU_CYCLE_1) | instskip(NEXT) | instid1(SALU_CYCLE_1)
	s_bitset1_b32 s0, 10
	s_mov_b32 m0, s0
	s_sendmsg sendmsg(MSG_INTERRUPT)
	s_mov_b32 m0, ttmp2
.LBB73_2375:                            ; =>This Inner Loop Header: Depth=1
	s_sethalt 5
	s_branch .LBB73_2375
.LBB73_2376:
	s_or_saveexec_b32 s46, s46
                                        ; implicit-def: $sgpr47
	s_delay_alu instid0(SALU_CYCLE_1)
	s_xor_b32 exec_lo, exec_lo, s46
	s_cbranch_execz .LBB73_1209
.LBB73_2377:
	v_add_f32_e64 v0, 0x42800000, |v1|
	s_and_not1_b32 s45, s45, exec_lo
	s_mov_b32 s47, 0
	s_delay_alu instid0(VALU_DEP_1) | instskip(NEXT) | instid1(VALU_DEP_1)
	v_and_b32_e32 v0, 0xff, v0
	v_cmp_ne_u32_e32 vcc_lo, 0, v0
	s_and_b32 s48, vcc_lo, exec_lo
	s_delay_alu instid0(SALU_CYCLE_1)
	s_or_b32 s45, s45, s48
	s_or_b32 exec_lo, exec_lo, s46
	v_mov_b32_e32 v2, s47
	s_and_saveexec_b32 s46, s45
	s_cbranch_execnz .LBB73_1210
	s_branch .LBB73_1211
.LBB73_2378:
	s_mov_b32 s2, -1
.LBB73_2379:
                                        ; implicit-def: $vgpr10
.LBB73_2380:
	s_and_b32 vcc_lo, exec_lo, s14
	s_cbranch_vccz .LBB73_2384
; %bb.2381:
	v_cmp_eq_u16_e64 s2, s12, 44
	s_delay_alu instid0(VALU_DEP_1)
	s_and_b32 vcc_lo, exec_lo, s2
	s_cbranch_vccz .LBB73_2383
; %bb.2382:
	global_load_u8 v10, v[8:9], off
	s_mov_b32 s2, 0
	s_mov_b32 s13, -1
	s_waitcnt vmcnt(0)
	v_lshlrev_b32_e32 v11, 23, v10
	v_cmp_ne_u32_e32 vcc_lo, 0xff, v10
	s_delay_alu instid0(VALU_DEP_2) | instskip(SKIP_1) | instid1(VALU_DEP_2)
	v_cndmask_b32_e32 v11, 0x7f800001, v11, vcc_lo
	v_cmp_ne_u32_e32 vcc_lo, 0, v10
	v_cndmask_b32_e32 v10, 0x400000, v11, vcc_lo
	s_branch .LBB73_2384
.LBB73_2383:
	s_mov_b32 s2, -1
                                        ; implicit-def: $vgpr10
.LBB73_2384:
	s_mov_b32 s14, 0
.LBB73_2385:
	s_delay_alu instid0(SALU_CYCLE_1)
	s_and_b32 vcc_lo, exec_lo, s14
	s_cbranch_vccz .LBB73_2389
; %bb.2386:
	v_cmp_eq_u16_e64 s2, s12, 29
	s_delay_alu instid0(VALU_DEP_1)
	s_and_b32 vcc_lo, exec_lo, s2
	s_cbranch_vccz .LBB73_2388
; %bb.2387:
	global_load_b64 v[10:11], v[8:9], off
	s_mov_b32 s2, 0
	s_mov_b32 s13, -1
	s_mov_b32 s14, 0
	s_waitcnt vmcnt(0)
	v_clz_i32_u32_e32 v14, v11
	s_delay_alu instid0(VALU_DEP_1) | instskip(NEXT) | instid1(VALU_DEP_1)
	v_min_u32_e32 v14, 32, v14
	v_lshlrev_b64 v[10:11], v14, v[10:11]
	s_delay_alu instid0(VALU_DEP_1) | instskip(NEXT) | instid1(VALU_DEP_1)
	v_min_u32_e32 v10, 1, v10
	v_or_b32_e32 v10, v11, v10
	v_sub_nc_u32_e32 v11, 32, v14
	s_delay_alu instid0(VALU_DEP_2) | instskip(NEXT) | instid1(VALU_DEP_1)
	v_cvt_f32_u32_e32 v10, v10
	v_ldexp_f32 v10, v10, v11
	s_branch .LBB73_2390
.LBB73_2388:
	s_mov_b32 s2, -1
                                        ; implicit-def: $vgpr10
.LBB73_2389:
	s_mov_b32 s14, 0
.LBB73_2390:
	s_delay_alu instid0(SALU_CYCLE_1)
	s_and_b32 vcc_lo, exec_lo, s14
	s_cbranch_vccz .LBB73_2408
; %bb.2391:
	v_cmp_lt_i16_e64 s13, s12, 27
	s_delay_alu instid0(VALU_DEP_1)
	s_and_b32 vcc_lo, exec_lo, s13
	s_cbranch_vccnz .LBB73_2394
; %bb.2392:
	v_cmp_gt_i16_e64 s13, s12, 27
	s_delay_alu instid0(VALU_DEP_1)
	s_and_b32 vcc_lo, exec_lo, s13
	s_cbranch_vccz .LBB73_2395
; %bb.2393:
	global_load_b32 v10, v[8:9], off
	s_mov_b32 s13, 0
	s_waitcnt vmcnt(0)
	v_cvt_f32_u32_e32 v10, v10
	s_branch .LBB73_2396
.LBB73_2394:
	s_mov_b32 s13, -1
                                        ; implicit-def: $vgpr10
	s_branch .LBB73_2399
.LBB73_2395:
	s_mov_b32 s13, -1
                                        ; implicit-def: $vgpr10
.LBB73_2396:
	s_delay_alu instid0(SALU_CYCLE_1)
	s_and_not1_b32 vcc_lo, exec_lo, s13
	s_cbranch_vccnz .LBB73_2398
; %bb.2397:
	global_load_u16 v10, v[8:9], off
	s_waitcnt vmcnt(0)
	v_cvt_f32_u32_e32 v10, v10
.LBB73_2398:
	s_mov_b32 s13, 0
.LBB73_2399:
	s_delay_alu instid0(SALU_CYCLE_1)
	s_and_not1_b32 vcc_lo, exec_lo, s13
	s_cbranch_vccnz .LBB73_2407
; %bb.2400:
	global_load_u8 v11, v[8:9], off
	s_mov_b32 s13, 0
	s_mov_b32 s15, exec_lo
                                        ; implicit-def: $sgpr14
	s_waitcnt vmcnt(0)
	v_cmpx_lt_i16_e32 0x7f, v11
	s_xor_b32 s15, exec_lo, s15
	s_cbranch_execz .LBB73_2421
; %bb.2401:
	s_mov_b32 s13, -1
	s_mov_b32 s16, exec_lo
                                        ; implicit-def: $sgpr14
	v_cmpx_eq_u16_e32 0x80, v11
; %bb.2402:
	s_mov_b32 s14, 0x7f800001
	s_xor_b32 s13, exec_lo, -1
; %bb.2403:
	s_or_b32 exec_lo, exec_lo, s16
	s_delay_alu instid0(SALU_CYCLE_1)
	s_and_b32 s13, s13, exec_lo
	s_or_saveexec_b32 s15, s15
	v_mov_b32_e32 v10, s14
	s_xor_b32 exec_lo, exec_lo, s15
	s_cbranch_execnz .LBB73_2422
.LBB73_2404:
	s_or_b32 exec_lo, exec_lo, s15
	s_and_saveexec_b32 s14, s13
	s_cbranch_execz .LBB73_2406
.LBB73_2405:
	v_and_b32_e32 v10, 0xffff, v11
	s_delay_alu instid0(VALU_DEP_1) | instskip(NEXT) | instid1(VALU_DEP_1)
	v_and_b32_e32 v14, 7, v10
	v_clz_i32_u32_e32 v15, v14
	s_delay_alu instid0(VALU_DEP_1) | instskip(NEXT) | instid1(VALU_DEP_1)
	v_min_u32_e32 v15, 32, v15
	v_subrev_nc_u32_e32 v16, 28, v15
	v_sub_nc_u32_e32 v15, 29, v15
	s_delay_alu instid0(VALU_DEP_2) | instskip(SKIP_1) | instid1(VALU_DEP_2)
	v_lshlrev_b32_e32 v16, v16, v10
	v_bfe_u32 v10, v10, 3, 4
	v_and_b32_e32 v16, 7, v16
	s_delay_alu instid0(VALU_DEP_2) | instskip(NEXT) | instid1(VALU_DEP_2)
	v_cmp_eq_u32_e32 vcc_lo, 0, v10
	v_dual_cndmask_b32 v14, v14, v16 :: v_dual_lshlrev_b32 v11, 24, v11
	v_cndmask_b32_e32 v10, v10, v15, vcc_lo
	s_delay_alu instid0(VALU_DEP_2) | instskip(NEXT) | instid1(VALU_DEP_3)
	v_and_b32_e32 v11, 0x80000000, v11
	v_lshlrev_b32_e32 v14, 20, v14
	s_delay_alu instid0(VALU_DEP_3) | instskip(NEXT) | instid1(VALU_DEP_1)
	v_lshl_add_u32 v10, v10, 23, 0x3b800000
	v_or3_b32 v10, v11, v10, v14
.LBB73_2406:
	s_or_b32 exec_lo, exec_lo, s14
.LBB73_2407:
	s_mov_b32 s13, -1
.LBB73_2408:
	s_mov_b32 s14, 0
.LBB73_2409:
	s_delay_alu instid0(SALU_CYCLE_1)
	s_and_b32 vcc_lo, exec_lo, s14
	s_cbranch_vccz .LBB73_2442
; %bb.2410:
	v_cmp_gt_i16_e64 s3, s12, 22
	s_delay_alu instid0(VALU_DEP_1)
	s_and_b32 vcc_lo, exec_lo, s3
	s_cbranch_vccz .LBB73_2420
; %bb.2411:
	v_cmp_lt_i16_e64 s3, s12, 24
	s_delay_alu instid0(VALU_DEP_1)
	s_and_b32 vcc_lo, exec_lo, s3
	s_cbranch_vccnz .LBB73_2423
; %bb.2412:
	v_cmp_gt_i16_e64 s3, s12, 24
	s_delay_alu instid0(VALU_DEP_1)
	s_and_b32 vcc_lo, exec_lo, s3
	s_cbranch_vccz .LBB73_2424
; %bb.2413:
	global_load_u8 v11, v[8:9], off
	s_mov_b32 s3, 0
	s_mov_b32 s14, exec_lo
                                        ; implicit-def: $sgpr13
	s_waitcnt vmcnt(0)
	v_cmpx_lt_i16_e32 0x7f, v11
	s_xor_b32 s14, exec_lo, s14
	s_cbranch_execz .LBB73_2436
; %bb.2414:
	s_mov_b32 s3, -1
	s_mov_b32 s15, exec_lo
                                        ; implicit-def: $sgpr13
	v_cmpx_eq_u16_e32 0x80, v11
; %bb.2415:
	s_mov_b32 s13, 0x7f800001
	s_xor_b32 s3, exec_lo, -1
; %bb.2416:
	s_or_b32 exec_lo, exec_lo, s15
	s_delay_alu instid0(SALU_CYCLE_1)
	s_and_b32 s3, s3, exec_lo
	s_or_saveexec_b32 s14, s14
	v_mov_b32_e32 v10, s13
	s_xor_b32 exec_lo, exec_lo, s14
	s_cbranch_execnz .LBB73_2437
.LBB73_2417:
	s_or_b32 exec_lo, exec_lo, s14
	s_and_saveexec_b32 s13, s3
	s_cbranch_execz .LBB73_2419
.LBB73_2418:
	v_and_b32_e32 v10, 0xffff, v11
	s_delay_alu instid0(VALU_DEP_1) | instskip(NEXT) | instid1(VALU_DEP_1)
	v_and_b32_e32 v14, 3, v10
	v_clz_i32_u32_e32 v15, v14
	s_delay_alu instid0(VALU_DEP_1) | instskip(NEXT) | instid1(VALU_DEP_1)
	v_min_u32_e32 v15, 32, v15
	v_subrev_nc_u32_e32 v16, 29, v15
	v_sub_nc_u32_e32 v15, 30, v15
	s_delay_alu instid0(VALU_DEP_2) | instskip(SKIP_1) | instid1(VALU_DEP_2)
	v_lshlrev_b32_e32 v16, v16, v10
	v_bfe_u32 v10, v10, 2, 5
	v_and_b32_e32 v16, 3, v16
	s_delay_alu instid0(VALU_DEP_2) | instskip(NEXT) | instid1(VALU_DEP_2)
	v_cmp_eq_u32_e32 vcc_lo, 0, v10
	v_dual_cndmask_b32 v14, v14, v16 :: v_dual_lshlrev_b32 v11, 24, v11
	v_cndmask_b32_e32 v10, v10, v15, vcc_lo
	s_delay_alu instid0(VALU_DEP_2) | instskip(NEXT) | instid1(VALU_DEP_3)
	v_and_b32_e32 v11, 0x80000000, v11
	v_lshlrev_b32_e32 v14, 21, v14
	s_delay_alu instid0(VALU_DEP_3) | instskip(NEXT) | instid1(VALU_DEP_1)
	v_lshl_add_u32 v10, v10, 23, 0x37800000
	v_or3_b32 v10, v11, v10, v14
.LBB73_2419:
	s_or_b32 exec_lo, exec_lo, s13
	s_mov_b32 s3, 0
	s_branch .LBB73_2425
.LBB73_2420:
	s_mov_b32 s3, -1
                                        ; implicit-def: $vgpr10
	s_branch .LBB73_2431
.LBB73_2421:
	s_or_saveexec_b32 s15, s15
	v_mov_b32_e32 v10, s14
	s_xor_b32 exec_lo, exec_lo, s15
	s_cbranch_execz .LBB73_2404
.LBB73_2422:
	v_cmp_ne_u16_e32 vcc_lo, 0, v11
	v_mov_b32_e32 v10, 0
	s_and_not1_b32 s13, s13, exec_lo
	s_and_b32 s14, vcc_lo, exec_lo
	s_delay_alu instid0(SALU_CYCLE_1)
	s_or_b32 s13, s13, s14
	s_or_b32 exec_lo, exec_lo, s15
	s_and_saveexec_b32 s14, s13
	s_cbranch_execnz .LBB73_2405
	s_branch .LBB73_2406
.LBB73_2423:
	s_mov_b32 s3, -1
                                        ; implicit-def: $vgpr10
	s_branch .LBB73_2428
.LBB73_2424:
	s_mov_b32 s3, -1
                                        ; implicit-def: $vgpr10
.LBB73_2425:
	s_delay_alu instid0(SALU_CYCLE_1)
	s_and_b32 vcc_lo, exec_lo, s3
	s_cbranch_vccz .LBB73_2427
; %bb.2426:
	global_load_u8 v10, v[8:9], off
	s_waitcnt vmcnt(0)
	v_lshlrev_b32_e32 v10, 24, v10
	s_delay_alu instid0(VALU_DEP_1) | instskip(NEXT) | instid1(VALU_DEP_1)
	v_and_b32_e32 v11, 0x7f000000, v10
	v_clz_i32_u32_e32 v14, v11
	v_cmp_ne_u32_e32 vcc_lo, 0, v11
	v_add_nc_u32_e32 v16, 0x1000000, v11
	s_delay_alu instid0(VALU_DEP_3) | instskip(NEXT) | instid1(VALU_DEP_1)
	v_min_u32_e32 v14, 32, v14
	v_sub_nc_u32_e64 v14, v14, 4 clamp
	s_delay_alu instid0(VALU_DEP_1) | instskip(SKIP_1) | instid1(VALU_DEP_2)
	v_lshlrev_b32_e32 v15, v14, v11
	v_lshlrev_b32_e32 v14, 23, v14
	v_lshrrev_b32_e32 v15, 4, v15
	s_delay_alu instid0(VALU_DEP_1) | instskip(SKIP_1) | instid1(VALU_DEP_2)
	v_sub_nc_u32_e32 v14, v15, v14
	v_ashrrev_i32_e32 v15, 8, v16
	v_add_nc_u32_e32 v14, 0x3c000000, v14
	s_delay_alu instid0(VALU_DEP_1) | instskip(NEXT) | instid1(VALU_DEP_1)
	v_and_or_b32 v14, 0x7f800000, v15, v14
	v_cndmask_b32_e32 v11, 0, v14, vcc_lo
	s_delay_alu instid0(VALU_DEP_1)
	v_and_or_b32 v10, 0x80000000, v10, v11
.LBB73_2427:
	s_mov_b32 s3, 0
.LBB73_2428:
	s_delay_alu instid0(SALU_CYCLE_1)
	s_and_not1_b32 vcc_lo, exec_lo, s3
	s_cbranch_vccnz .LBB73_2430
; %bb.2429:
	global_load_u8 v10, v[8:9], off
	s_waitcnt vmcnt(0)
	v_lshlrev_b32_e32 v11, 25, v10
	v_lshlrev_b16 v10, 8, v10
	s_delay_alu instid0(VALU_DEP_2) | instskip(NEXT) | instid1(VALU_DEP_2)
	v_lshrrev_b32_e32 v14, 4, v11
	v_and_or_b32 v15, 0x7f00, v10, 0.5
	v_cmp_gt_u32_e32 vcc_lo, 0x8000000, v11
	v_bfe_i32 v10, v10, 0, 16
	s_delay_alu instid0(VALU_DEP_4) | instskip(NEXT) | instid1(VALU_DEP_1)
	v_or_b32_e32 v14, 0x70000000, v14
	v_dual_add_f32 v15, -0.5, v15 :: v_dual_mul_f32 v14, 0x7800000, v14
	s_delay_alu instid0(VALU_DEP_1) | instskip(NEXT) | instid1(VALU_DEP_1)
	v_cndmask_b32_e32 v11, v14, v15, vcc_lo
	v_and_or_b32 v10, 0x80000000, v10, v11
.LBB73_2430:
	s_mov_b32 s3, 0
	s_mov_b32 s13, -1
.LBB73_2431:
	s_and_not1_b32 vcc_lo, exec_lo, s3
	s_mov_b32 s3, 0
	s_cbranch_vccnz .LBB73_2442
; %bb.2432:
	v_cmp_gt_i16_e64 s3, s12, 14
	s_delay_alu instid0(VALU_DEP_1)
	s_and_b32 vcc_lo, exec_lo, s3
	s_cbranch_vccz .LBB73_2435
; %bb.2433:
	v_cmp_eq_u16_e64 s2, s12, 15
	s_delay_alu instid0(VALU_DEP_1)
	s_and_b32 vcc_lo, exec_lo, s2
	s_cbranch_vccz .LBB73_2438
; %bb.2434:
	global_load_u16 v10, v[8:9], off
	s_mov_b32 s2, 0
	s_mov_b32 s13, -1
	s_waitcnt vmcnt(0)
	v_lshlrev_b32_e32 v10, 16, v10
	s_branch .LBB73_2439
.LBB73_2435:
	s_mov_b32 s3, -1
                                        ; implicit-def: $vgpr10
	s_branch .LBB73_2440
.LBB73_2436:
	s_or_saveexec_b32 s14, s14
	v_mov_b32_e32 v10, s13
	s_xor_b32 exec_lo, exec_lo, s14
	s_cbranch_execz .LBB73_2417
.LBB73_2437:
	v_cmp_ne_u16_e32 vcc_lo, 0, v11
	v_mov_b32_e32 v10, 0
	s_and_not1_b32 s3, s3, exec_lo
	s_and_b32 s13, vcc_lo, exec_lo
	s_delay_alu instid0(SALU_CYCLE_1)
	s_or_b32 s3, s3, s13
	s_or_b32 exec_lo, exec_lo, s14
	s_and_saveexec_b32 s13, s3
	s_cbranch_execnz .LBB73_2418
	s_branch .LBB73_2419
.LBB73_2438:
	s_mov_b32 s2, -1
                                        ; implicit-def: $vgpr10
.LBB73_2439:
	s_mov_b32 s3, 0
.LBB73_2440:
	s_delay_alu instid0(SALU_CYCLE_1)
	s_and_b32 vcc_lo, exec_lo, s3
	s_mov_b32 s3, 0
	s_cbranch_vccz .LBB73_2442
; %bb.2441:
	v_cmp_ne_u16_e64 s2, s12, 11
	s_mov_b32 s3, -1
                                        ; implicit-def: $vgpr10
.LBB73_2442:
	s_delay_alu instid0(VALU_DEP_1)
	s_and_b32 vcc_lo, exec_lo, s2
	s_cbranch_vccnz .LBB73_2519
; %bb.2443:
	s_and_not1_b32 vcc_lo, exec_lo, s3
	s_cbranch_vccnz .LBB73_2445
.LBB73_2444:
	global_load_u8 v10, v[8:9], off
	s_mov_b32 s13, -1
	s_waitcnt vmcnt(0)
	v_cmp_ne_u16_e32 vcc_lo, 0, v10
	v_cndmask_b32_e64 v10, 0, 1.0, vcc_lo
.LBB73_2445:
	s_mov_b32 s2, 0
.LBB73_2446:
	s_delay_alu instid0(SALU_CYCLE_1)
	s_and_b32 vcc_lo, exec_lo, s2
	s_cbranch_vccz .LBB73_2495
; %bb.2447:
	v_cmp_lt_i16_e64 s2, s12, 5
	s_delay_alu instid0(VALU_DEP_1)
	s_and_b32 vcc_lo, exec_lo, s2
	s_cbranch_vccnz .LBB73_2452
; %bb.2448:
	v_cmp_lt_i16_e64 s2, s12, 8
	s_delay_alu instid0(VALU_DEP_1)
	s_and_b32 vcc_lo, exec_lo, s2
	s_cbranch_vccnz .LBB73_2453
	;; [unrolled: 5-line block ×3, first 2 shown]
; %bb.2450:
	v_cmp_gt_i16_e64 s2, s12, 9
	s_delay_alu instid0(VALU_DEP_1)
	s_and_b32 vcc_lo, exec_lo, s2
	s_cbranch_vccz .LBB73_2455
; %bb.2451:
	global_load_b64 v[10:11], v[8:9], off
	s_mov_b32 s2, 0
	s_waitcnt vmcnt(0)
	v_cvt_f32_f64_e32 v10, v[10:11]
	s_branch .LBB73_2456
.LBB73_2452:
	s_mov_b32 s2, -1
                                        ; implicit-def: $vgpr10
	s_branch .LBB73_2474
.LBB73_2453:
	s_mov_b32 s2, -1
                                        ; implicit-def: $vgpr10
	s_branch .LBB73_2462
.LBB73_2454:
	s_mov_b32 s2, -1
                                        ; implicit-def: $vgpr10
	s_branch .LBB73_2459
.LBB73_2455:
	s_mov_b32 s2, -1
                                        ; implicit-def: $vgpr10
.LBB73_2456:
	s_delay_alu instid0(SALU_CYCLE_1)
	s_and_not1_b32 vcc_lo, exec_lo, s2
	s_cbranch_vccnz .LBB73_2458
; %bb.2457:
	global_load_b32 v10, v[8:9], off
.LBB73_2458:
	s_mov_b32 s2, 0
.LBB73_2459:
	s_delay_alu instid0(SALU_CYCLE_1)
	s_and_not1_b32 vcc_lo, exec_lo, s2
	s_cbranch_vccnz .LBB73_2461
; %bb.2460:
	global_load_b32 v10, v[8:9], off
	s_waitcnt vmcnt(0)
	v_cvt_f32_f16_e32 v10, v10
.LBB73_2461:
	s_mov_b32 s2, 0
.LBB73_2462:
	s_delay_alu instid0(SALU_CYCLE_1)
	s_and_not1_b32 vcc_lo, exec_lo, s2
	s_cbranch_vccnz .LBB73_2473
; %bb.2463:
	v_cmp_lt_i16_e64 s2, s12, 6
	s_delay_alu instid0(VALU_DEP_1)
	s_and_b32 vcc_lo, exec_lo, s2
	s_cbranch_vccnz .LBB73_2466
; %bb.2464:
	v_cmp_gt_i16_e64 s2, s12, 6
	s_delay_alu instid0(VALU_DEP_1)
	s_and_b32 vcc_lo, exec_lo, s2
	s_cbranch_vccz .LBB73_2467
; %bb.2465:
	global_load_b64 v[10:11], v[8:9], off
	s_mov_b32 s2, 0
	s_waitcnt vmcnt(0)
	v_cvt_f32_f64_e32 v10, v[10:11]
	s_branch .LBB73_2468
.LBB73_2466:
	s_mov_b32 s2, -1
                                        ; implicit-def: $vgpr10
	s_branch .LBB73_2471
.LBB73_2467:
	s_mov_b32 s2, -1
                                        ; implicit-def: $vgpr10
.LBB73_2468:
	s_delay_alu instid0(SALU_CYCLE_1)
	s_and_not1_b32 vcc_lo, exec_lo, s2
	s_cbranch_vccnz .LBB73_2470
; %bb.2469:
	global_load_b32 v10, v[8:9], off
.LBB73_2470:
	s_mov_b32 s2, 0
.LBB73_2471:
	s_delay_alu instid0(SALU_CYCLE_1)
	s_and_not1_b32 vcc_lo, exec_lo, s2
	s_cbranch_vccnz .LBB73_2473
; %bb.2472:
	global_load_u16 v10, v[8:9], off
	s_waitcnt vmcnt(0)
	v_cvt_f32_f16_e32 v10, v10
.LBB73_2473:
	s_mov_b32 s2, 0
.LBB73_2474:
	s_delay_alu instid0(SALU_CYCLE_1)
	s_and_not1_b32 vcc_lo, exec_lo, s2
	s_cbranch_vccnz .LBB73_2494
; %bb.2475:
	v_cmp_lt_i16_e64 s2, s12, 2
	s_delay_alu instid0(VALU_DEP_1)
	s_and_b32 vcc_lo, exec_lo, s2
	s_cbranch_vccnz .LBB73_2479
; %bb.2476:
	v_cmp_lt_i16_e64 s2, s12, 3
	s_delay_alu instid0(VALU_DEP_1)
	s_and_b32 vcc_lo, exec_lo, s2
	s_cbranch_vccnz .LBB73_2480
; %bb.2477:
	v_cmp_gt_i16_e64 s2, s12, 3
	s_delay_alu instid0(VALU_DEP_1)
	s_and_b32 vcc_lo, exec_lo, s2
	s_cbranch_vccz .LBB73_2481
; %bb.2478:
	global_load_b64 v[10:11], v[8:9], off
	s_mov_b32 s2, 0
	s_waitcnt vmcnt(0)
	v_xor_b32_e32 v14, v10, v11
	v_cls_i32_e32 v15, v11
	s_delay_alu instid0(VALU_DEP_2) | instskip(NEXT) | instid1(VALU_DEP_2)
	v_ashrrev_i32_e32 v14, 31, v14
	v_add_nc_u32_e32 v15, -1, v15
	s_delay_alu instid0(VALU_DEP_2) | instskip(NEXT) | instid1(VALU_DEP_1)
	v_add_nc_u32_e32 v14, 32, v14
	v_min_u32_e32 v14, v15, v14
	s_delay_alu instid0(VALU_DEP_1) | instskip(NEXT) | instid1(VALU_DEP_1)
	v_lshlrev_b64 v[10:11], v14, v[10:11]
	v_min_u32_e32 v10, 1, v10
	s_delay_alu instid0(VALU_DEP_1) | instskip(SKIP_1) | instid1(VALU_DEP_2)
	v_or_b32_e32 v10, v11, v10
	v_sub_nc_u32_e32 v11, 32, v14
	v_cvt_f32_i32_e32 v10, v10
	s_delay_alu instid0(VALU_DEP_1)
	v_ldexp_f32 v10, v10, v11
	s_branch .LBB73_2482
.LBB73_2479:
	s_mov_b32 s2, -1
                                        ; implicit-def: $vgpr10
	s_branch .LBB73_2488
.LBB73_2480:
	s_mov_b32 s2, -1
                                        ; implicit-def: $vgpr10
	s_branch .LBB73_2485
.LBB73_2481:
	s_mov_b32 s2, -1
                                        ; implicit-def: $vgpr10
.LBB73_2482:
	s_delay_alu instid0(SALU_CYCLE_1)
	s_and_not1_b32 vcc_lo, exec_lo, s2
	s_cbranch_vccnz .LBB73_2484
; %bb.2483:
	global_load_b32 v10, v[8:9], off
	s_waitcnt vmcnt(0)
	v_cvt_f32_i32_e32 v10, v10
.LBB73_2484:
	s_mov_b32 s2, 0
.LBB73_2485:
	s_delay_alu instid0(SALU_CYCLE_1)
	s_and_not1_b32 vcc_lo, exec_lo, s2
	s_cbranch_vccnz .LBB73_2487
; %bb.2486:
	global_load_i16 v10, v[8:9], off
	s_waitcnt vmcnt(0)
	v_cvt_f32_i32_e32 v10, v10
.LBB73_2487:
	s_mov_b32 s2, 0
.LBB73_2488:
	s_delay_alu instid0(SALU_CYCLE_1)
	s_and_not1_b32 vcc_lo, exec_lo, s2
	s_cbranch_vccnz .LBB73_2494
; %bb.2489:
	v_cmp_gt_i16_e64 s2, s12, 0
	s_delay_alu instid0(VALU_DEP_1)
	s_and_b32 vcc_lo, exec_lo, s2
	s_mov_b32 s2, 0
	s_cbranch_vccz .LBB73_2491
; %bb.2490:
	global_load_i8 v10, v[8:9], off
	s_waitcnt vmcnt(0)
	v_cvt_f32_i32_e32 v10, v10
	s_branch .LBB73_2492
.LBB73_2491:
	s_mov_b32 s2, -1
                                        ; implicit-def: $vgpr10
.LBB73_2492:
	s_delay_alu instid0(SALU_CYCLE_1)
	s_and_not1_b32 vcc_lo, exec_lo, s2
	s_cbranch_vccnz .LBB73_2494
; %bb.2493:
	global_load_u8 v8, v[8:9], off
	s_waitcnt vmcnt(0)
	v_cvt_f32_ubyte0_e32 v10, v8
.LBB73_2494:
	s_mov_b32 s13, -1
.LBB73_2495:
	s_delay_alu instid0(SALU_CYCLE_1)
	s_and_not1_b32 vcc_lo, exec_lo, s13
	s_cbranch_vccnz .LBB73_3218
; %bb.2496:
	s_waitcnt vmcnt(0)
	s_delay_alu instid0(VALU_DEP_1) | instskip(SKIP_1) | instid1(VALU_DEP_1)
	v_trunc_f32_e32 v8, v10
	s_mov_b32 s13, exec_lo
	v_mul_f32_e64 v9, 0x2f800000, |v8|
	s_delay_alu instid0(VALU_DEP_1) | instskip(NEXT) | instid1(VALU_DEP_1)
	v_floor_f32_e32 v9, v9
	v_fma_f32 v11, 0xcf800000, v9, |v8|
	v_ashrrev_i32_e32 v8, 31, v8
	v_cvt_u32_f32_e32 v9, v9
	s_delay_alu instid0(VALU_DEP_3) | instskip(NEXT) | instid1(VALU_DEP_2)
	v_cvt_u32_f32_e32 v11, v11
	v_xor_b32_e32 v9, v9, v8
	s_delay_alu instid0(VALU_DEP_2) | instskip(NEXT) | instid1(VALU_DEP_1)
	v_xor_b32_e32 v11, v11, v8
	v_sub_co_u32 v14, vcc_lo, v11, v8
	s_delay_alu instid0(VALU_DEP_3) | instskip(SKIP_2) | instid1(VALU_DEP_3)
	v_sub_co_ci_u32_e32 v8, vcc_lo, v9, v8, vcc_lo
	v_cmp_class_f32_e64 vcc_lo, v10, 0x1f8
	v_mov_b32_e32 v9, 0
	v_dual_cndmask_b32 v11, -1, v8 :: v_dual_cndmask_b32 v10, -1, v14
	s_delay_alu instid0(VALU_DEP_1)
	v_cmpx_lt_i64_e32 -1, v[10:11]
	s_cbranch_execz .LBB73_2508
; %bb.2497:
	v_mov_b32_e32 v9, 1.0
	s_mov_b32 s14, exec_lo
	v_cmpx_lt_i64_e32 0, v[10:11]
	s_cbranch_execz .LBB73_2507
; %bb.2498:
                                        ; implicit-def: $vgpr9
	s_mov_b32 s2, exec_lo
	v_cmpx_ne_u64_e32 1, v[10:11]
	s_xor_b32 s15, exec_lo, s2
	s_cbranch_execz .LBB73_2504
; %bb.2499:
	v_mov_b32_e32 v9, 0x7fc00000
	s_mov_b32 s16, exec_lo
	v_cmpx_gt_u64_e32 0x81, v[10:11]
	s_cbranch_execz .LBB73_2503
; %bb.2500:
	v_add_f32_e32 v8, v12, v12
	v_lshlrev_b64 v[10:11], 1, v[10:11]
	v_mov_b32_e32 v12, 1.0
	s_mov_b64 s[2:3], 2
	s_mov_b32 s17, 0
	v_mov_b32_e32 v9, v8
.LBB73_2501:                            ; =>This Inner Loop Header: Depth=1
	s_clz_i32_u32 s18, s3
	s_delay_alu instid0(SALU_CYCLE_1) | instskip(NEXT) | instid1(SALU_CYCLE_1)
	s_min_u32 s20, s18, 32
	s_lshl_b64 s[18:19], s[2:3], s20
	s_delay_alu instid0(SALU_CYCLE_1) | instskip(NEXT) | instid1(SALU_CYCLE_1)
	s_min_u32 s18, s18, 1
	s_or_b32 s18, s19, s18
	s_delay_alu instid0(SALU_CYCLE_1) | instskip(SKIP_3) | instid1(SALU_CYCLE_1)
	v_cvt_f32_u32_e32 v14, s18
	s_sub_i32 s18, 32, s20
	s_add_u32 s2, s2, 2
	s_addc_u32 s3, s3, 0
	v_cmp_ge_u64_e32 vcc_lo, s[2:3], v[10:11]
	v_ldexp_f32 v14, v14, s18
	s_delay_alu instid0(VALU_DEP_1) | instskip(SKIP_2) | instid1(VALU_DEP_2)
	v_mul_f32_e32 v14, v12, v14
	v_mov_b32_e32 v12, v9
	s_or_b32 s17, vcc_lo, s17
	v_fma_f32 v9, v8, v9, -v14
	s_and_not1_b32 exec_lo, exec_lo, s17
	s_cbranch_execnz .LBB73_2501
; %bb.2502:
	s_or_b32 exec_lo, exec_lo, s17
.LBB73_2503:
	s_delay_alu instid0(SALU_CYCLE_1)
	s_or_b32 exec_lo, exec_lo, s16
                                        ; implicit-def: $vgpr12
.LBB73_2504:
	s_and_not1_saveexec_b32 s2, s15
; %bb.2505:
	v_add_f32_e32 v9, v12, v12
; %bb.2506:
	s_or_b32 exec_lo, exec_lo, s2
.LBB73_2507:
	s_delay_alu instid0(SALU_CYCLE_1)
	s_or_b32 exec_lo, exec_lo, s14
.LBB73_2508:
	s_delay_alu instid0(SALU_CYCLE_1) | instskip(SKIP_2) | instid1(VALU_DEP_1)
	s_or_b32 exec_lo, exec_lo, s13
	v_cmp_gt_i16_e32 vcc_lo, 11, v13
	v_add_co_u32 v10, s2, s6, v6
	v_add_co_ci_u32_e64 v11, null, s7, 0, s2
	s_mov_b32 s6, 0
	s_cbranch_vccnz .LBB73_2515
; %bb.2509:
	v_cmp_lt_i16_e32 vcc_lo, 25, v13
	s_mov_b32 s3, 0
	s_cbranch_vccz .LBB73_2516
; %bb.2510:
	v_cmp_lt_i16_e32 vcc_lo, 28, v13
	s_cbranch_vccz .LBB73_2517
; %bb.2511:
	v_cmp_lt_i16_e32 vcc_lo, 43, v13
	;; [unrolled: 3-line block ×3, first 2 shown]
	s_cbranch_vccz .LBB73_2521
; %bb.2513:
	v_cmp_eq_u16_e32 vcc_lo, 46, v13
	s_mov_b32 s7, 0
	s_cbranch_vccz .LBB73_2524
; %bb.2514:
	global_load_b32 v6, v[10:11], off
	s_mov_b32 s2, 0
	s_mov_b32 s6, -1
	s_waitcnt vmcnt(0)
	v_lshlrev_b32_e32 v6, 16, v6
	s_branch .LBB73_2526
.LBB73_2515:
	s_mov_b32 s2, -1
                                        ; implicit-def: $vgpr6
	s_branch .LBB73_2592
.LBB73_2516:
	s_mov_b32 s7, -1
	s_mov_b32 s2, 0
                                        ; implicit-def: $vgpr6
	s_branch .LBB73_2555
.LBB73_2517:
	s_mov_b32 s7, -1
	s_mov_b32 s2, 0
                                        ; implicit-def: $vgpr6
	s_branch .LBB73_2536
.LBB73_2518:
	s_mov_b32 s7, -1
	s_mov_b32 s2, 0
                                        ; implicit-def: $vgpr6
	s_branch .LBB73_2531
.LBB73_2519:
	s_cbranch_execnz .LBB73_2522
; %bb.2520:
	s_or_b32 s10, s10, exec_lo
                                        ; implicit-def: $vgpr10
	s_cbranch_execz .LBB73_2444
	s_branch .LBB73_2445
.LBB73_2521:
	s_mov_b32 s7, -1
	s_mov_b32 s2, 0
	s_branch .LBB73_2525
.LBB73_2522:
	s_trap 2
	s_sendmsg_rtn_b32 s0, sendmsg(MSG_RTN_GET_DOORBELL)
	s_mov_b32 ttmp2, m0
	s_waitcnt lgkmcnt(0)
	s_and_b32 s0, s0, 0x3ff
	s_delay_alu instid0(SALU_CYCLE_1) | instskip(NEXT) | instid1(SALU_CYCLE_1)
	s_bitset1_b32 s0, 10
	s_mov_b32 m0, s0
	s_sendmsg sendmsg(MSG_INTERRUPT)
	s_mov_b32 m0, ttmp2
.LBB73_2523:                            ; =>This Inner Loop Header: Depth=1
	s_sethalt 5
	s_branch .LBB73_2523
.LBB73_2524:
	s_mov_b32 s2, -1
.LBB73_2525:
                                        ; implicit-def: $vgpr6
.LBB73_2526:
	s_and_b32 vcc_lo, exec_lo, s7
	s_cbranch_vccz .LBB73_2530
; %bb.2527:
	v_cmp_eq_u16_e32 vcc_lo, 44, v13
	s_cbranch_vccz .LBB73_2529
; %bb.2528:
	global_load_u8 v6, v[10:11], off
	s_mov_b32 s2, 0
	s_mov_b32 s6, -1
	s_waitcnt vmcnt(0)
	v_lshlrev_b32_e32 v8, 23, v6
	v_cmp_ne_u32_e32 vcc_lo, 0xff, v6
	s_delay_alu instid0(VALU_DEP_2) | instskip(SKIP_1) | instid1(VALU_DEP_2)
	v_cndmask_b32_e32 v8, 0x7f800001, v8, vcc_lo
	v_cmp_ne_u32_e32 vcc_lo, 0, v6
	v_cndmask_b32_e32 v6, 0x400000, v8, vcc_lo
	s_branch .LBB73_2530
.LBB73_2529:
	s_mov_b32 s2, -1
                                        ; implicit-def: $vgpr6
.LBB73_2530:
	s_mov_b32 s7, 0
.LBB73_2531:
	s_delay_alu instid0(SALU_CYCLE_1)
	s_and_b32 vcc_lo, exec_lo, s7
	s_cbranch_vccz .LBB73_2535
; %bb.2532:
	v_cmp_eq_u16_e32 vcc_lo, 29, v13
	s_cbranch_vccz .LBB73_2534
; %bb.2533:
	global_load_b64 v[14:15], v[10:11], off
	s_mov_b32 s2, 0
	s_mov_b32 s6, -1
	s_mov_b32 s7, 0
	s_waitcnt vmcnt(0)
	v_clz_i32_u32_e32 v6, v15
	s_delay_alu instid0(VALU_DEP_1) | instskip(NEXT) | instid1(VALU_DEP_1)
	v_min_u32_e32 v6, 32, v6
	v_lshlrev_b64 v[14:15], v6, v[14:15]
	v_sub_nc_u32_e32 v6, 32, v6
	s_delay_alu instid0(VALU_DEP_2) | instskip(NEXT) | instid1(VALU_DEP_1)
	v_min_u32_e32 v8, 1, v14
	v_or_b32_e32 v8, v15, v8
	s_delay_alu instid0(VALU_DEP_1) | instskip(NEXT) | instid1(VALU_DEP_1)
	v_cvt_f32_u32_e32 v8, v8
	v_ldexp_f32 v6, v8, v6
	s_branch .LBB73_2536
.LBB73_2534:
	s_mov_b32 s2, -1
                                        ; implicit-def: $vgpr6
.LBB73_2535:
	s_mov_b32 s7, 0
.LBB73_2536:
	s_delay_alu instid0(SALU_CYCLE_1)
	s_and_b32 vcc_lo, exec_lo, s7
	s_cbranch_vccz .LBB73_2554
; %bb.2537:
	v_cmp_gt_i16_e32 vcc_lo, 27, v13
	s_cbranch_vccnz .LBB73_2540
; %bb.2538:
	v_cmp_lt_i16_e32 vcc_lo, 27, v13
	s_cbranch_vccz .LBB73_2541
; %bb.2539:
	global_load_b32 v6, v[10:11], off
	s_mov_b32 s6, 0
	s_waitcnt vmcnt(0)
	v_cvt_f32_u32_e32 v6, v6
	s_branch .LBB73_2542
.LBB73_2540:
	s_mov_b32 s6, -1
                                        ; implicit-def: $vgpr6
	s_branch .LBB73_2545
.LBB73_2541:
	s_mov_b32 s6, -1
                                        ; implicit-def: $vgpr6
.LBB73_2542:
	s_delay_alu instid0(SALU_CYCLE_1)
	s_and_not1_b32 vcc_lo, exec_lo, s6
	s_cbranch_vccnz .LBB73_2544
; %bb.2543:
	global_load_u16 v6, v[10:11], off
	s_waitcnt vmcnt(0)
	v_cvt_f32_u32_e32 v6, v6
.LBB73_2544:
	s_mov_b32 s6, 0
.LBB73_2545:
	s_delay_alu instid0(SALU_CYCLE_1)
	s_and_not1_b32 vcc_lo, exec_lo, s6
	s_cbranch_vccnz .LBB73_2553
; %bb.2546:
	global_load_u8 v8, v[10:11], off
	s_mov_b32 s6, 0
	s_mov_b32 s13, exec_lo
                                        ; implicit-def: $sgpr7
	s_waitcnt vmcnt(0)
	v_cmpx_lt_i16_e32 0x7f, v8
	s_xor_b32 s13, exec_lo, s13
	s_cbranch_execz .LBB73_2567
; %bb.2547:
	s_mov_b32 s6, -1
	s_mov_b32 s14, exec_lo
                                        ; implicit-def: $sgpr7
	v_cmpx_eq_u16_e32 0x80, v8
; %bb.2548:
	s_mov_b32 s7, 0x7f800001
	s_xor_b32 s6, exec_lo, -1
; %bb.2549:
	s_or_b32 exec_lo, exec_lo, s14
	s_delay_alu instid0(SALU_CYCLE_1)
	s_and_b32 s6, s6, exec_lo
	s_or_saveexec_b32 s13, s13
	v_mov_b32_e32 v6, s7
	s_xor_b32 exec_lo, exec_lo, s13
	s_cbranch_execnz .LBB73_2568
.LBB73_2550:
	s_or_b32 exec_lo, exec_lo, s13
	s_and_saveexec_b32 s7, s6
	s_cbranch_execz .LBB73_2552
.LBB73_2551:
	v_and_b32_e32 v6, 0xffff, v8
	v_lshlrev_b32_e32 v8, 24, v8
	s_delay_alu instid0(VALU_DEP_2) | instskip(NEXT) | instid1(VALU_DEP_2)
	v_and_b32_e32 v12, 7, v6
	v_and_b32_e32 v8, 0x80000000, v8
	s_delay_alu instid0(VALU_DEP_2) | instskip(NEXT) | instid1(VALU_DEP_1)
	v_clz_i32_u32_e32 v14, v12
	v_min_u32_e32 v14, 32, v14
	s_delay_alu instid0(VALU_DEP_1) | instskip(SKIP_1) | instid1(VALU_DEP_2)
	v_subrev_nc_u32_e32 v15, 28, v14
	v_sub_nc_u32_e32 v14, 29, v14
	v_lshlrev_b32_e32 v15, v15, v6
	v_bfe_u32 v6, v6, 3, 4
	s_delay_alu instid0(VALU_DEP_1) | instskip(NEXT) | instid1(VALU_DEP_3)
	v_cmp_eq_u32_e32 vcc_lo, 0, v6
	v_dual_cndmask_b32 v6, v6, v14 :: v_dual_and_b32 v15, 7, v15
	s_delay_alu instid0(VALU_DEP_1) | instskip(NEXT) | instid1(VALU_DEP_2)
	v_cndmask_b32_e32 v12, v12, v15, vcc_lo
	v_lshl_add_u32 v6, v6, 23, 0x3b800000
	s_delay_alu instid0(VALU_DEP_2) | instskip(NEXT) | instid1(VALU_DEP_1)
	v_lshlrev_b32_e32 v12, 20, v12
	v_or3_b32 v6, v8, v6, v12
.LBB73_2552:
	s_or_b32 exec_lo, exec_lo, s7
.LBB73_2553:
	s_mov_b32 s6, -1
.LBB73_2554:
	s_mov_b32 s7, 0
.LBB73_2555:
	s_delay_alu instid0(SALU_CYCLE_1)
	s_and_b32 vcc_lo, exec_lo, s7
	s_cbranch_vccz .LBB73_2588
; %bb.2556:
	v_cmp_lt_i16_e32 vcc_lo, 22, v13
	s_cbranch_vccz .LBB73_2566
; %bb.2557:
	v_cmp_gt_i16_e32 vcc_lo, 24, v13
	s_cbranch_vccnz .LBB73_2569
; %bb.2558:
	v_cmp_lt_i16_e32 vcc_lo, 24, v13
	s_cbranch_vccz .LBB73_2570
; %bb.2559:
	global_load_u8 v8, v[10:11], off
	s_mov_b32 s7, exec_lo
                                        ; implicit-def: $sgpr6
	s_waitcnt vmcnt(0)
	v_cmpx_lt_i16_e32 0x7f, v8
	s_xor_b32 s7, exec_lo, s7
	s_cbranch_execz .LBB73_2582
; %bb.2560:
	s_mov_b32 s3, -1
	s_mov_b32 s13, exec_lo
                                        ; implicit-def: $sgpr6
	v_cmpx_eq_u16_e32 0x80, v8
; %bb.2561:
	s_mov_b32 s6, 0x7f800001
	s_xor_b32 s3, exec_lo, -1
; %bb.2562:
	s_or_b32 exec_lo, exec_lo, s13
	s_delay_alu instid0(SALU_CYCLE_1)
	s_and_b32 s3, s3, exec_lo
	s_or_saveexec_b32 s7, s7
	v_mov_b32_e32 v6, s6
	s_xor_b32 exec_lo, exec_lo, s7
	s_cbranch_execnz .LBB73_2583
.LBB73_2563:
	s_or_b32 exec_lo, exec_lo, s7
	s_and_saveexec_b32 s6, s3
	s_cbranch_execz .LBB73_2565
.LBB73_2564:
	v_and_b32_e32 v6, 0xffff, v8
	v_lshlrev_b32_e32 v8, 24, v8
	s_delay_alu instid0(VALU_DEP_2) | instskip(NEXT) | instid1(VALU_DEP_2)
	v_and_b32_e32 v12, 3, v6
	v_and_b32_e32 v8, 0x80000000, v8
	s_delay_alu instid0(VALU_DEP_2) | instskip(NEXT) | instid1(VALU_DEP_1)
	v_clz_i32_u32_e32 v14, v12
	v_min_u32_e32 v14, 32, v14
	s_delay_alu instid0(VALU_DEP_1) | instskip(SKIP_1) | instid1(VALU_DEP_2)
	v_subrev_nc_u32_e32 v15, 29, v14
	v_sub_nc_u32_e32 v14, 30, v14
	v_lshlrev_b32_e32 v15, v15, v6
	v_bfe_u32 v6, v6, 2, 5
	s_delay_alu instid0(VALU_DEP_1) | instskip(NEXT) | instid1(VALU_DEP_3)
	v_cmp_eq_u32_e32 vcc_lo, 0, v6
	v_dual_cndmask_b32 v6, v6, v14 :: v_dual_and_b32 v15, 3, v15
	s_delay_alu instid0(VALU_DEP_1) | instskip(NEXT) | instid1(VALU_DEP_2)
	v_cndmask_b32_e32 v12, v12, v15, vcc_lo
	v_lshl_add_u32 v6, v6, 23, 0x37800000
	s_delay_alu instid0(VALU_DEP_2) | instskip(NEXT) | instid1(VALU_DEP_1)
	v_lshlrev_b32_e32 v12, 21, v12
	v_or3_b32 v6, v8, v6, v12
.LBB73_2565:
	s_or_b32 exec_lo, exec_lo, s6
	s_mov_b32 s3, 0
	s_branch .LBB73_2571
.LBB73_2566:
	s_mov_b32 s3, -1
                                        ; implicit-def: $vgpr6
	s_branch .LBB73_2577
.LBB73_2567:
	s_or_saveexec_b32 s13, s13
	v_mov_b32_e32 v6, s7
	s_xor_b32 exec_lo, exec_lo, s13
	s_cbranch_execz .LBB73_2550
.LBB73_2568:
	v_cmp_ne_u16_e32 vcc_lo, 0, v8
	v_mov_b32_e32 v6, 0
	s_and_not1_b32 s6, s6, exec_lo
	s_and_b32 s7, vcc_lo, exec_lo
	s_delay_alu instid0(SALU_CYCLE_1)
	s_or_b32 s6, s6, s7
	s_or_b32 exec_lo, exec_lo, s13
	s_and_saveexec_b32 s7, s6
	s_cbranch_execnz .LBB73_2551
	s_branch .LBB73_2552
.LBB73_2569:
	s_mov_b32 s3, -1
                                        ; implicit-def: $vgpr6
	s_branch .LBB73_2574
.LBB73_2570:
	s_mov_b32 s3, -1
                                        ; implicit-def: $vgpr6
.LBB73_2571:
	s_delay_alu instid0(SALU_CYCLE_1)
	s_and_b32 vcc_lo, exec_lo, s3
	s_cbranch_vccz .LBB73_2573
; %bb.2572:
	global_load_u8 v6, v[10:11], off
	s_waitcnt vmcnt(0)
	v_lshlrev_b32_e32 v6, 24, v6
	s_delay_alu instid0(VALU_DEP_1) | instskip(NEXT) | instid1(VALU_DEP_1)
	v_and_b32_e32 v8, 0x7f000000, v6
	v_clz_i32_u32_e32 v12, v8
	v_add_nc_u32_e32 v15, 0x1000000, v8
	v_cmp_ne_u32_e32 vcc_lo, 0, v8
	s_delay_alu instid0(VALU_DEP_3) | instskip(NEXT) | instid1(VALU_DEP_1)
	v_min_u32_e32 v12, 32, v12
	v_sub_nc_u32_e64 v12, v12, 4 clamp
	s_delay_alu instid0(VALU_DEP_1) | instskip(SKIP_1) | instid1(VALU_DEP_2)
	v_lshlrev_b32_e32 v14, v12, v8
	v_lshlrev_b32_e32 v12, 23, v12
	v_lshrrev_b32_e32 v14, 4, v14
	s_delay_alu instid0(VALU_DEP_1) | instskip(SKIP_1) | instid1(VALU_DEP_2)
	v_sub_nc_u32_e32 v12, v14, v12
	v_ashrrev_i32_e32 v14, 8, v15
	v_add_nc_u32_e32 v12, 0x3c000000, v12
	s_delay_alu instid0(VALU_DEP_1) | instskip(NEXT) | instid1(VALU_DEP_1)
	v_and_or_b32 v12, 0x7f800000, v14, v12
	v_cndmask_b32_e32 v8, 0, v12, vcc_lo
	s_delay_alu instid0(VALU_DEP_1)
	v_and_or_b32 v6, 0x80000000, v6, v8
.LBB73_2573:
	s_mov_b32 s3, 0
.LBB73_2574:
	s_delay_alu instid0(SALU_CYCLE_1)
	s_and_not1_b32 vcc_lo, exec_lo, s3
	s_cbranch_vccnz .LBB73_2576
; %bb.2575:
	global_load_u8 v6, v[10:11], off
	s_waitcnt vmcnt(0)
	v_lshlrev_b32_e32 v8, 25, v6
	v_lshlrev_b16 v6, 8, v6
	s_delay_alu instid0(VALU_DEP_2) | instskip(NEXT) | instid1(VALU_DEP_2)
	v_lshrrev_b32_e32 v12, 4, v8
	v_and_or_b32 v14, 0x7f00, v6, 0.5
	v_cmp_gt_u32_e32 vcc_lo, 0x8000000, v8
	v_bfe_i32 v6, v6, 0, 16
	s_delay_alu instid0(VALU_DEP_4) | instskip(NEXT) | instid1(VALU_DEP_4)
	v_or_b32_e32 v12, 0x70000000, v12
	v_add_f32_e32 v14, -0.5, v14
	s_delay_alu instid0(VALU_DEP_2) | instskip(NEXT) | instid1(VALU_DEP_1)
	v_mul_f32_e32 v12, 0x7800000, v12
	v_cndmask_b32_e32 v8, v12, v14, vcc_lo
	s_delay_alu instid0(VALU_DEP_1)
	v_and_or_b32 v6, 0x80000000, v6, v8
.LBB73_2576:
	s_mov_b32 s3, 0
	s_mov_b32 s6, -1
.LBB73_2577:
	s_and_not1_b32 vcc_lo, exec_lo, s3
	s_mov_b32 s3, 0
	s_cbranch_vccnz .LBB73_2588
; %bb.2578:
	v_cmp_lt_i16_e32 vcc_lo, 14, v13
	s_cbranch_vccz .LBB73_2581
; %bb.2579:
	v_cmp_eq_u16_e32 vcc_lo, 15, v13
	s_cbranch_vccz .LBB73_2584
; %bb.2580:
	global_load_u16 v6, v[10:11], off
	s_mov_b32 s2, 0
	s_mov_b32 s6, -1
	s_waitcnt vmcnt(0)
	v_lshlrev_b32_e32 v6, 16, v6
	s_branch .LBB73_2586
.LBB73_2581:
	s_mov_b32 s3, -1
	s_branch .LBB73_2585
.LBB73_2582:
	s_or_saveexec_b32 s7, s7
	v_mov_b32_e32 v6, s6
	s_xor_b32 exec_lo, exec_lo, s7
	s_cbranch_execz .LBB73_2563
.LBB73_2583:
	v_cmp_ne_u16_e32 vcc_lo, 0, v8
	v_mov_b32_e32 v6, 0
	s_and_not1_b32 s3, s3, exec_lo
	s_and_b32 s6, vcc_lo, exec_lo
	s_delay_alu instid0(SALU_CYCLE_1)
	s_or_b32 s3, s3, s6
	s_or_b32 exec_lo, exec_lo, s7
	s_and_saveexec_b32 s6, s3
	s_cbranch_execnz .LBB73_2564
	s_branch .LBB73_2565
.LBB73_2584:
	s_mov_b32 s2, -1
.LBB73_2585:
                                        ; implicit-def: $vgpr6
.LBB73_2586:
	s_and_b32 vcc_lo, exec_lo, s3
	s_mov_b32 s3, 0
	s_cbranch_vccz .LBB73_2588
; %bb.2587:
	v_cmp_ne_u16_e64 s2, 11, v13
	s_mov_b32 s3, -1
                                        ; implicit-def: $vgpr6
.LBB73_2588:
	s_delay_alu instid0(VALU_DEP_1)
	s_and_b32 vcc_lo, exec_lo, s2
	s_cbranch_vccnz .LBB73_2653
; %bb.2589:
	s_and_not1_b32 vcc_lo, exec_lo, s3
	s_cbranch_vccnz .LBB73_2591
.LBB73_2590:
	global_load_u8 v6, v[10:11], off
	s_mov_b32 s6, -1
	s_waitcnt vmcnt(0)
	v_cmp_ne_u16_e32 vcc_lo, 0, v6
	v_cndmask_b32_e64 v6, 0, 1.0, vcc_lo
.LBB73_2591:
	s_mov_b32 s2, 0
.LBB73_2592:
	s_delay_alu instid0(SALU_CYCLE_1)
	s_and_b32 vcc_lo, exec_lo, s2
	s_cbranch_vccz .LBB73_2641
; %bb.2593:
	v_cmp_gt_i16_e32 vcc_lo, 5, v13
	s_cbranch_vccnz .LBB73_2598
; %bb.2594:
	v_cmp_gt_i16_e32 vcc_lo, 8, v13
	s_cbranch_vccnz .LBB73_2599
	;; [unrolled: 3-line block ×3, first 2 shown]
; %bb.2596:
	v_cmp_lt_i16_e32 vcc_lo, 9, v13
	s_cbranch_vccz .LBB73_2601
; %bb.2597:
	global_load_b64 v[14:15], v[10:11], off
	s_mov_b32 s2, 0
	s_waitcnt vmcnt(0)
	v_cvt_f32_f64_e32 v6, v[14:15]
	s_branch .LBB73_2602
.LBB73_2598:
	s_mov_b32 s2, -1
                                        ; implicit-def: $vgpr6
	s_branch .LBB73_2620
.LBB73_2599:
	s_mov_b32 s2, -1
                                        ; implicit-def: $vgpr6
	s_branch .LBB73_2608
.LBB73_2600:
	s_mov_b32 s2, -1
                                        ; implicit-def: $vgpr6
	s_branch .LBB73_2605
.LBB73_2601:
	s_mov_b32 s2, -1
                                        ; implicit-def: $vgpr6
.LBB73_2602:
	s_delay_alu instid0(SALU_CYCLE_1)
	s_and_not1_b32 vcc_lo, exec_lo, s2
	s_cbranch_vccnz .LBB73_2604
; %bb.2603:
	global_load_b32 v6, v[10:11], off
.LBB73_2604:
	s_mov_b32 s2, 0
.LBB73_2605:
	s_delay_alu instid0(SALU_CYCLE_1)
	s_and_not1_b32 vcc_lo, exec_lo, s2
	s_cbranch_vccnz .LBB73_2607
; %bb.2606:
	global_load_b32 v6, v[10:11], off
	s_waitcnt vmcnt(0)
	v_cvt_f32_f16_e32 v6, v6
.LBB73_2607:
	s_mov_b32 s2, 0
.LBB73_2608:
	s_delay_alu instid0(SALU_CYCLE_1)
	s_and_not1_b32 vcc_lo, exec_lo, s2
	s_cbranch_vccnz .LBB73_2619
; %bb.2609:
	v_cmp_gt_i16_e32 vcc_lo, 6, v13
	s_cbranch_vccnz .LBB73_2612
; %bb.2610:
	v_cmp_lt_i16_e32 vcc_lo, 6, v13
	s_cbranch_vccz .LBB73_2613
; %bb.2611:
	global_load_b64 v[14:15], v[10:11], off
	s_mov_b32 s2, 0
	s_waitcnt vmcnt(0)
	v_cvt_f32_f64_e32 v6, v[14:15]
	s_branch .LBB73_2614
.LBB73_2612:
	s_mov_b32 s2, -1
                                        ; implicit-def: $vgpr6
	s_branch .LBB73_2617
.LBB73_2613:
	s_mov_b32 s2, -1
                                        ; implicit-def: $vgpr6
.LBB73_2614:
	s_delay_alu instid0(SALU_CYCLE_1)
	s_and_not1_b32 vcc_lo, exec_lo, s2
	s_cbranch_vccnz .LBB73_2616
; %bb.2615:
	global_load_b32 v6, v[10:11], off
.LBB73_2616:
	s_mov_b32 s2, 0
.LBB73_2617:
	s_delay_alu instid0(SALU_CYCLE_1)
	s_and_not1_b32 vcc_lo, exec_lo, s2
	s_cbranch_vccnz .LBB73_2619
; %bb.2618:
	global_load_u16 v6, v[10:11], off
	s_waitcnt vmcnt(0)
	v_cvt_f32_f16_e32 v6, v6
.LBB73_2619:
	s_mov_b32 s2, 0
.LBB73_2620:
	s_delay_alu instid0(SALU_CYCLE_1)
	s_and_not1_b32 vcc_lo, exec_lo, s2
	s_cbranch_vccnz .LBB73_2640
; %bb.2621:
	v_cmp_gt_i16_e32 vcc_lo, 2, v13
	s_cbranch_vccnz .LBB73_2625
; %bb.2622:
	v_cmp_gt_i16_e32 vcc_lo, 3, v13
	s_cbranch_vccnz .LBB73_2626
; %bb.2623:
	v_cmp_lt_i16_e32 vcc_lo, 3, v13
	s_cbranch_vccz .LBB73_2627
; %bb.2624:
	global_load_b64 v[14:15], v[10:11], off
	s_mov_b32 s2, 0
	s_waitcnt vmcnt(0)
	v_xor_b32_e32 v6, v14, v15
	v_cls_i32_e32 v8, v15
	s_delay_alu instid0(VALU_DEP_2) | instskip(NEXT) | instid1(VALU_DEP_2)
	v_ashrrev_i32_e32 v6, 31, v6
	v_add_nc_u32_e32 v8, -1, v8
	s_delay_alu instid0(VALU_DEP_2) | instskip(NEXT) | instid1(VALU_DEP_1)
	v_add_nc_u32_e32 v6, 32, v6
	v_min_u32_e32 v6, v8, v6
	s_delay_alu instid0(VALU_DEP_1) | instskip(SKIP_1) | instid1(VALU_DEP_2)
	v_lshlrev_b64 v[14:15], v6, v[14:15]
	v_sub_nc_u32_e32 v6, 32, v6
	v_min_u32_e32 v8, 1, v14
	s_delay_alu instid0(VALU_DEP_1) | instskip(NEXT) | instid1(VALU_DEP_1)
	v_or_b32_e32 v8, v15, v8
	v_cvt_f32_i32_e32 v8, v8
	s_delay_alu instid0(VALU_DEP_1)
	v_ldexp_f32 v6, v8, v6
	s_branch .LBB73_2628
.LBB73_2625:
	s_mov_b32 s2, -1
                                        ; implicit-def: $vgpr6
	s_branch .LBB73_2634
.LBB73_2626:
	s_mov_b32 s2, -1
                                        ; implicit-def: $vgpr6
	s_branch .LBB73_2631
.LBB73_2627:
	s_mov_b32 s2, -1
                                        ; implicit-def: $vgpr6
.LBB73_2628:
	s_delay_alu instid0(SALU_CYCLE_1)
	s_and_not1_b32 vcc_lo, exec_lo, s2
	s_cbranch_vccnz .LBB73_2630
; %bb.2629:
	global_load_b32 v6, v[10:11], off
	s_waitcnt vmcnt(0)
	v_cvt_f32_i32_e32 v6, v6
.LBB73_2630:
	s_mov_b32 s2, 0
.LBB73_2631:
	s_delay_alu instid0(SALU_CYCLE_1)
	s_and_not1_b32 vcc_lo, exec_lo, s2
	s_cbranch_vccnz .LBB73_2633
; %bb.2632:
	global_load_i16 v6, v[10:11], off
	s_waitcnt vmcnt(0)
	v_cvt_f32_i32_e32 v6, v6
.LBB73_2633:
	s_mov_b32 s2, 0
.LBB73_2634:
	s_delay_alu instid0(SALU_CYCLE_1)
	s_and_not1_b32 vcc_lo, exec_lo, s2
	s_cbranch_vccnz .LBB73_2640
; %bb.2635:
	v_cmp_lt_i16_e32 vcc_lo, 0, v13
	s_mov_b32 s2, 0
	s_cbranch_vccz .LBB73_2637
; %bb.2636:
	global_load_i8 v6, v[10:11], off
	s_waitcnt vmcnt(0)
	v_cvt_f32_i32_e32 v6, v6
	s_branch .LBB73_2638
.LBB73_2637:
	s_mov_b32 s2, -1
                                        ; implicit-def: $vgpr6
.LBB73_2638:
	s_delay_alu instid0(SALU_CYCLE_1)
	s_and_not1_b32 vcc_lo, exec_lo, s2
	s_cbranch_vccnz .LBB73_2640
; %bb.2639:
	global_load_u8 v6, v[10:11], off
	s_waitcnt vmcnt(0)
	v_cvt_f32_ubyte0_e32 v6, v6
.LBB73_2640:
	s_mov_b32 s6, -1
.LBB73_2641:
	s_delay_alu instid0(SALU_CYCLE_1)
	s_and_not1_b32 vcc_lo, exec_lo, s6
	s_cbranch_vccnz .LBB73_3218
; %bb.2642:
	v_cmp_lt_i16_e64 s2, s12, 11
	v_add_co_u32 v10, s0, s0, v4
	s_delay_alu instid0(VALU_DEP_1) | instskip(NEXT) | instid1(VALU_DEP_3)
	v_add_co_ci_u32_e64 v11, null, s1, 0, s0
	s_and_b32 vcc_lo, exec_lo, s2
	s_mov_b32 s2, 0
	s_cbranch_vccnz .LBB73_2649
; %bb.2643:
	v_cmp_gt_i16_e64 s0, s12, 25
	s_mov_b32 s1, 0
	s_delay_alu instid0(VALU_DEP_1)
	s_and_b32 vcc_lo, exec_lo, s0
	s_cbranch_vccz .LBB73_2650
; %bb.2644:
	v_cmp_gt_i16_e64 s0, s12, 28
	s_delay_alu instid0(VALU_DEP_1)
	s_and_b32 vcc_lo, exec_lo, s0
	s_cbranch_vccz .LBB73_2651
; %bb.2645:
	v_cmp_gt_i16_e64 s0, s12, 43
	;; [unrolled: 5-line block ×3, first 2 shown]
	s_delay_alu instid0(VALU_DEP_1)
	s_and_b32 vcc_lo, exec_lo, s0
	s_cbranch_vccz .LBB73_2655
; %bb.2647:
	v_cmp_eq_u16_e64 s0, s12, 46
	s_mov_b32 s3, 0
	s_delay_alu instid0(VALU_DEP_1)
	s_and_b32 vcc_lo, exec_lo, s0
	s_cbranch_vccz .LBB73_2658
; %bb.2648:
	global_load_b32 v4, v[10:11], off
	s_mov_b32 s0, 0
	s_mov_b32 s2, -1
	s_waitcnt vmcnt(0)
	v_lshlrev_b32_e32 v4, 16, v4
	s_branch .LBB73_2660
.LBB73_2649:
	s_mov_b32 s0, -1
                                        ; implicit-def: $vgpr4
	s_branch .LBB73_2726
.LBB73_2650:
	s_mov_b32 s3, -1
	s_mov_b32 s0, 0
                                        ; implicit-def: $vgpr4
	s_branch .LBB73_2689
.LBB73_2651:
	s_mov_b32 s3, -1
	s_mov_b32 s0, 0
                                        ; implicit-def: $vgpr4
	s_branch .LBB73_2670
.LBB73_2652:
	s_mov_b32 s3, -1
	s_mov_b32 s0, 0
                                        ; implicit-def: $vgpr4
	s_branch .LBB73_2665
.LBB73_2653:
	s_cbranch_execnz .LBB73_2656
; %bb.2654:
	s_or_b32 s10, s10, exec_lo
                                        ; implicit-def: $vgpr6
	s_cbranch_execz .LBB73_2590
	s_branch .LBB73_2591
.LBB73_2655:
	s_mov_b32 s3, -1
	s_mov_b32 s0, 0
	s_branch .LBB73_2659
.LBB73_2656:
	s_trap 2
	s_sendmsg_rtn_b32 s0, sendmsg(MSG_RTN_GET_DOORBELL)
	s_mov_b32 ttmp2, m0
	s_waitcnt lgkmcnt(0)
	s_and_b32 s0, s0, 0x3ff
	s_delay_alu instid0(SALU_CYCLE_1) | instskip(NEXT) | instid1(SALU_CYCLE_1)
	s_bitset1_b32 s0, 10
	s_mov_b32 m0, s0
	s_sendmsg sendmsg(MSG_INTERRUPT)
	s_mov_b32 m0, ttmp2
.LBB73_2657:                            ; =>This Inner Loop Header: Depth=1
	s_sethalt 5
	s_branch .LBB73_2657
.LBB73_2658:
	s_mov_b32 s0, -1
.LBB73_2659:
                                        ; implicit-def: $vgpr4
.LBB73_2660:
	s_and_b32 vcc_lo, exec_lo, s3
	s_cbranch_vccz .LBB73_2664
; %bb.2661:
	v_cmp_eq_u16_e64 s0, s12, 44
	s_delay_alu instid0(VALU_DEP_1)
	s_and_b32 vcc_lo, exec_lo, s0
	s_cbranch_vccz .LBB73_2663
; %bb.2662:
	global_load_u8 v4, v[10:11], off
	s_mov_b32 s0, 0
	s_mov_b32 s2, -1
	s_waitcnt vmcnt(0)
	v_lshlrev_b32_e32 v8, 23, v4
	v_cmp_ne_u32_e32 vcc_lo, 0xff, v4
	s_delay_alu instid0(VALU_DEP_2) | instskip(SKIP_1) | instid1(VALU_DEP_2)
	v_cndmask_b32_e32 v8, 0x7f800001, v8, vcc_lo
	v_cmp_ne_u32_e32 vcc_lo, 0, v4
	v_cndmask_b32_e32 v4, 0x400000, v8, vcc_lo
	s_branch .LBB73_2664
.LBB73_2663:
	s_mov_b32 s0, -1
                                        ; implicit-def: $vgpr4
.LBB73_2664:
	s_mov_b32 s3, 0
.LBB73_2665:
	s_delay_alu instid0(SALU_CYCLE_1)
	s_and_b32 vcc_lo, exec_lo, s3
	s_cbranch_vccz .LBB73_2669
; %bb.2666:
	v_cmp_eq_u16_e64 s0, s12, 29
	s_delay_alu instid0(VALU_DEP_1)
	s_and_b32 vcc_lo, exec_lo, s0
	s_cbranch_vccz .LBB73_2668
; %bb.2667:
	global_load_b64 v[12:13], v[10:11], off
	s_mov_b32 s0, 0
	s_mov_b32 s2, -1
	s_mov_b32 s3, 0
	s_waitcnt vmcnt(0)
	v_clz_i32_u32_e32 v4, v13
	s_delay_alu instid0(VALU_DEP_1) | instskip(NEXT) | instid1(VALU_DEP_1)
	v_min_u32_e32 v4, 32, v4
	v_lshlrev_b64 v[12:13], v4, v[12:13]
	v_sub_nc_u32_e32 v4, 32, v4
	s_delay_alu instid0(VALU_DEP_2) | instskip(NEXT) | instid1(VALU_DEP_1)
	v_min_u32_e32 v8, 1, v12
	v_or_b32_e32 v8, v13, v8
	s_delay_alu instid0(VALU_DEP_1) | instskip(NEXT) | instid1(VALU_DEP_1)
	v_cvt_f32_u32_e32 v8, v8
	v_ldexp_f32 v4, v8, v4
	s_branch .LBB73_2670
.LBB73_2668:
	s_mov_b32 s0, -1
                                        ; implicit-def: $vgpr4
.LBB73_2669:
	s_mov_b32 s3, 0
.LBB73_2670:
	s_delay_alu instid0(SALU_CYCLE_1)
	s_and_b32 vcc_lo, exec_lo, s3
	s_cbranch_vccz .LBB73_2688
; %bb.2671:
	v_cmp_lt_i16_e64 s2, s12, 27
	s_delay_alu instid0(VALU_DEP_1)
	s_and_b32 vcc_lo, exec_lo, s2
	s_cbranch_vccnz .LBB73_2674
; %bb.2672:
	v_cmp_gt_i16_e64 s2, s12, 27
	s_delay_alu instid0(VALU_DEP_1)
	s_and_b32 vcc_lo, exec_lo, s2
	s_cbranch_vccz .LBB73_2675
; %bb.2673:
	global_load_b32 v4, v[10:11], off
	s_mov_b32 s2, 0
	s_waitcnt vmcnt(0)
	v_cvt_f32_u32_e32 v4, v4
	s_branch .LBB73_2676
.LBB73_2674:
	s_mov_b32 s2, -1
                                        ; implicit-def: $vgpr4
	s_branch .LBB73_2679
.LBB73_2675:
	s_mov_b32 s2, -1
                                        ; implicit-def: $vgpr4
.LBB73_2676:
	s_delay_alu instid0(SALU_CYCLE_1)
	s_and_not1_b32 vcc_lo, exec_lo, s2
	s_cbranch_vccnz .LBB73_2678
; %bb.2677:
	global_load_u16 v4, v[10:11], off
	s_waitcnt vmcnt(0)
	v_cvt_f32_u32_e32 v4, v4
.LBB73_2678:
	s_mov_b32 s2, 0
.LBB73_2679:
	s_delay_alu instid0(SALU_CYCLE_1)
	s_and_not1_b32 vcc_lo, exec_lo, s2
	s_cbranch_vccnz .LBB73_2687
; %bb.2680:
	global_load_u8 v8, v[10:11], off
	s_mov_b32 s2, 0
	s_mov_b32 s6, exec_lo
                                        ; implicit-def: $sgpr3
	s_waitcnt vmcnt(0)
	v_cmpx_lt_i16_e32 0x7f, v8
	s_xor_b32 s6, exec_lo, s6
	s_cbranch_execz .LBB73_2701
; %bb.2681:
	s_mov_b32 s2, -1
	s_mov_b32 s7, exec_lo
                                        ; implicit-def: $sgpr3
	v_cmpx_eq_u16_e32 0x80, v8
; %bb.2682:
	s_mov_b32 s3, 0x7f800001
	s_xor_b32 s2, exec_lo, -1
; %bb.2683:
	s_or_b32 exec_lo, exec_lo, s7
	s_delay_alu instid0(SALU_CYCLE_1)
	s_and_b32 s2, s2, exec_lo
	s_or_saveexec_b32 s6, s6
	v_mov_b32_e32 v4, s3
	s_xor_b32 exec_lo, exec_lo, s6
	s_cbranch_execnz .LBB73_2702
.LBB73_2684:
	s_or_b32 exec_lo, exec_lo, s6
	s_and_saveexec_b32 s3, s2
	s_cbranch_execz .LBB73_2686
.LBB73_2685:
	v_and_b32_e32 v4, 0xffff, v8
	v_lshlrev_b32_e32 v8, 24, v8
	s_delay_alu instid0(VALU_DEP_2) | instskip(NEXT) | instid1(VALU_DEP_2)
	v_and_b32_e32 v12, 7, v4
	v_and_b32_e32 v8, 0x80000000, v8
	s_delay_alu instid0(VALU_DEP_2) | instskip(NEXT) | instid1(VALU_DEP_1)
	v_clz_i32_u32_e32 v13, v12
	v_min_u32_e32 v13, 32, v13
	s_delay_alu instid0(VALU_DEP_1) | instskip(SKIP_1) | instid1(VALU_DEP_2)
	v_subrev_nc_u32_e32 v14, 28, v13
	v_sub_nc_u32_e32 v13, 29, v13
	v_lshlrev_b32_e32 v14, v14, v4
	v_bfe_u32 v4, v4, 3, 4
	s_delay_alu instid0(VALU_DEP_2) | instskip(NEXT) | instid1(VALU_DEP_2)
	v_and_b32_e32 v14, 7, v14
	v_cmp_eq_u32_e32 vcc_lo, 0, v4
	v_cndmask_b32_e32 v4, v4, v13, vcc_lo
	s_delay_alu instid0(VALU_DEP_3) | instskip(NEXT) | instid1(VALU_DEP_2)
	v_cndmask_b32_e32 v12, v12, v14, vcc_lo
	v_lshl_add_u32 v4, v4, 23, 0x3b800000
	s_delay_alu instid0(VALU_DEP_2) | instskip(NEXT) | instid1(VALU_DEP_1)
	v_lshlrev_b32_e32 v12, 20, v12
	v_or3_b32 v4, v8, v4, v12
.LBB73_2686:
	s_or_b32 exec_lo, exec_lo, s3
.LBB73_2687:
	s_mov_b32 s2, -1
.LBB73_2688:
	s_mov_b32 s3, 0
.LBB73_2689:
	s_delay_alu instid0(SALU_CYCLE_1)
	s_and_b32 vcc_lo, exec_lo, s3
	s_cbranch_vccz .LBB73_2722
; %bb.2690:
	v_cmp_gt_i16_e64 s1, s12, 22
	s_delay_alu instid0(VALU_DEP_1)
	s_and_b32 vcc_lo, exec_lo, s1
	s_cbranch_vccz .LBB73_2700
; %bb.2691:
	v_cmp_lt_i16_e64 s1, s12, 24
	s_delay_alu instid0(VALU_DEP_1)
	s_and_b32 vcc_lo, exec_lo, s1
	s_cbranch_vccnz .LBB73_2703
; %bb.2692:
	v_cmp_gt_i16_e64 s1, s12, 24
	s_delay_alu instid0(VALU_DEP_1)
	s_and_b32 vcc_lo, exec_lo, s1
	s_cbranch_vccz .LBB73_2704
; %bb.2693:
	global_load_u8 v8, v[10:11], off
	s_mov_b32 s1, 0
	s_mov_b32 s3, exec_lo
                                        ; implicit-def: $sgpr2
	s_waitcnt vmcnt(0)
	v_cmpx_lt_i16_e32 0x7f, v8
	s_xor_b32 s3, exec_lo, s3
	s_cbranch_execz .LBB73_2716
; %bb.2694:
	s_mov_b32 s1, -1
	s_mov_b32 s6, exec_lo
                                        ; implicit-def: $sgpr2
	v_cmpx_eq_u16_e32 0x80, v8
; %bb.2695:
	s_mov_b32 s2, 0x7f800001
	s_xor_b32 s1, exec_lo, -1
; %bb.2696:
	s_or_b32 exec_lo, exec_lo, s6
	s_delay_alu instid0(SALU_CYCLE_1)
	s_and_b32 s1, s1, exec_lo
	s_or_saveexec_b32 s3, s3
	v_mov_b32_e32 v4, s2
	s_xor_b32 exec_lo, exec_lo, s3
	s_cbranch_execnz .LBB73_2717
.LBB73_2697:
	s_or_b32 exec_lo, exec_lo, s3
	s_and_saveexec_b32 s2, s1
	s_cbranch_execz .LBB73_2699
.LBB73_2698:
	v_and_b32_e32 v4, 0xffff, v8
	v_lshlrev_b32_e32 v8, 24, v8
	s_delay_alu instid0(VALU_DEP_2) | instskip(NEXT) | instid1(VALU_DEP_2)
	v_and_b32_e32 v12, 3, v4
	v_and_b32_e32 v8, 0x80000000, v8
	s_delay_alu instid0(VALU_DEP_2) | instskip(NEXT) | instid1(VALU_DEP_1)
	v_clz_i32_u32_e32 v13, v12
	v_min_u32_e32 v13, 32, v13
	s_delay_alu instid0(VALU_DEP_1) | instskip(SKIP_1) | instid1(VALU_DEP_2)
	v_subrev_nc_u32_e32 v14, 29, v13
	v_sub_nc_u32_e32 v13, 30, v13
	v_lshlrev_b32_e32 v14, v14, v4
	v_bfe_u32 v4, v4, 2, 5
	s_delay_alu instid0(VALU_DEP_2) | instskip(NEXT) | instid1(VALU_DEP_2)
	v_and_b32_e32 v14, 3, v14
	v_cmp_eq_u32_e32 vcc_lo, 0, v4
	v_cndmask_b32_e32 v4, v4, v13, vcc_lo
	s_delay_alu instid0(VALU_DEP_3) | instskip(NEXT) | instid1(VALU_DEP_2)
	v_cndmask_b32_e32 v12, v12, v14, vcc_lo
	v_lshl_add_u32 v4, v4, 23, 0x37800000
	s_delay_alu instid0(VALU_DEP_2) | instskip(NEXT) | instid1(VALU_DEP_1)
	v_lshlrev_b32_e32 v12, 21, v12
	v_or3_b32 v4, v8, v4, v12
.LBB73_2699:
	s_or_b32 exec_lo, exec_lo, s2
	s_mov_b32 s1, 0
	s_branch .LBB73_2705
.LBB73_2700:
	s_mov_b32 s1, -1
                                        ; implicit-def: $vgpr4
	s_branch .LBB73_2711
.LBB73_2701:
	s_or_saveexec_b32 s6, s6
	v_mov_b32_e32 v4, s3
	s_xor_b32 exec_lo, exec_lo, s6
	s_cbranch_execz .LBB73_2684
.LBB73_2702:
	v_cmp_ne_u16_e32 vcc_lo, 0, v8
	v_mov_b32_e32 v4, 0
	s_and_not1_b32 s2, s2, exec_lo
	s_and_b32 s3, vcc_lo, exec_lo
	s_delay_alu instid0(SALU_CYCLE_1)
	s_or_b32 s2, s2, s3
	s_or_b32 exec_lo, exec_lo, s6
	s_and_saveexec_b32 s3, s2
	s_cbranch_execnz .LBB73_2685
	s_branch .LBB73_2686
.LBB73_2703:
	s_mov_b32 s1, -1
                                        ; implicit-def: $vgpr4
	s_branch .LBB73_2708
.LBB73_2704:
	s_mov_b32 s1, -1
                                        ; implicit-def: $vgpr4
.LBB73_2705:
	s_delay_alu instid0(SALU_CYCLE_1)
	s_and_b32 vcc_lo, exec_lo, s1
	s_cbranch_vccz .LBB73_2707
; %bb.2706:
	global_load_u8 v4, v[10:11], off
	s_waitcnt vmcnt(0)
	v_lshlrev_b32_e32 v4, 24, v4
	s_delay_alu instid0(VALU_DEP_1) | instskip(NEXT) | instid1(VALU_DEP_1)
	v_and_b32_e32 v8, 0x7f000000, v4
	v_clz_i32_u32_e32 v12, v8
	v_add_nc_u32_e32 v14, 0x1000000, v8
	v_cmp_ne_u32_e32 vcc_lo, 0, v8
	s_delay_alu instid0(VALU_DEP_3) | instskip(NEXT) | instid1(VALU_DEP_1)
	v_min_u32_e32 v12, 32, v12
	v_sub_nc_u32_e64 v12, v12, 4 clamp
	s_delay_alu instid0(VALU_DEP_1) | instskip(SKIP_1) | instid1(VALU_DEP_2)
	v_lshlrev_b32_e32 v13, v12, v8
	v_lshlrev_b32_e32 v12, 23, v12
	v_lshrrev_b32_e32 v13, 4, v13
	s_delay_alu instid0(VALU_DEP_1) | instskip(SKIP_1) | instid1(VALU_DEP_2)
	v_sub_nc_u32_e32 v12, v13, v12
	v_ashrrev_i32_e32 v13, 8, v14
	v_add_nc_u32_e32 v12, 0x3c000000, v12
	s_delay_alu instid0(VALU_DEP_1) | instskip(NEXT) | instid1(VALU_DEP_1)
	v_and_or_b32 v12, 0x7f800000, v13, v12
	v_cndmask_b32_e32 v8, 0, v12, vcc_lo
	s_delay_alu instid0(VALU_DEP_1)
	v_and_or_b32 v4, 0x80000000, v4, v8
.LBB73_2707:
	s_mov_b32 s1, 0
.LBB73_2708:
	s_delay_alu instid0(SALU_CYCLE_1)
	s_and_not1_b32 vcc_lo, exec_lo, s1
	s_cbranch_vccnz .LBB73_2710
; %bb.2709:
	global_load_u8 v4, v[10:11], off
	s_waitcnt vmcnt(0)
	v_lshlrev_b32_e32 v8, 25, v4
	v_lshlrev_b16 v4, 8, v4
	s_delay_alu instid0(VALU_DEP_1) | instskip(SKIP_1) | instid1(VALU_DEP_2)
	v_and_or_b32 v13, 0x7f00, v4, 0.5
	v_bfe_i32 v4, v4, 0, 16
	v_add_f32_e32 v13, -0.5, v13
	v_lshrrev_b32_e32 v12, 4, v8
	v_cmp_gt_u32_e32 vcc_lo, 0x8000000, v8
	s_delay_alu instid0(VALU_DEP_2) | instskip(NEXT) | instid1(VALU_DEP_1)
	v_or_b32_e32 v12, 0x70000000, v12
	v_mul_f32_e32 v12, 0x7800000, v12
	s_delay_alu instid0(VALU_DEP_1) | instskip(NEXT) | instid1(VALU_DEP_1)
	v_cndmask_b32_e32 v8, v12, v13, vcc_lo
	v_and_or_b32 v4, 0x80000000, v4, v8
.LBB73_2710:
	s_mov_b32 s1, 0
	s_mov_b32 s2, -1
.LBB73_2711:
	s_and_not1_b32 vcc_lo, exec_lo, s1
	s_mov_b32 s1, 0
	s_cbranch_vccnz .LBB73_2722
; %bb.2712:
	v_cmp_gt_i16_e64 s1, s12, 14
	s_delay_alu instid0(VALU_DEP_1)
	s_and_b32 vcc_lo, exec_lo, s1
	s_cbranch_vccz .LBB73_2715
; %bb.2713:
	v_cmp_eq_u16_e64 s0, s12, 15
	s_delay_alu instid0(VALU_DEP_1)
	s_and_b32 vcc_lo, exec_lo, s0
	s_cbranch_vccz .LBB73_2718
; %bb.2714:
	global_load_u16 v4, v[10:11], off
	s_mov_b32 s0, 0
	s_mov_b32 s2, -1
	s_waitcnt vmcnt(0)
	v_lshlrev_b32_e32 v4, 16, v4
	s_branch .LBB73_2719
.LBB73_2715:
	s_mov_b32 s1, -1
                                        ; implicit-def: $vgpr4
	s_branch .LBB73_2720
.LBB73_2716:
	s_or_saveexec_b32 s3, s3
	v_mov_b32_e32 v4, s2
	s_xor_b32 exec_lo, exec_lo, s3
	s_cbranch_execz .LBB73_2697
.LBB73_2717:
	v_cmp_ne_u16_e32 vcc_lo, 0, v8
	v_mov_b32_e32 v4, 0
	s_and_not1_b32 s1, s1, exec_lo
	s_and_b32 s2, vcc_lo, exec_lo
	s_delay_alu instid0(SALU_CYCLE_1)
	s_or_b32 s1, s1, s2
	s_or_b32 exec_lo, exec_lo, s3
	s_and_saveexec_b32 s2, s1
	s_cbranch_execnz .LBB73_2698
	s_branch .LBB73_2699
.LBB73_2718:
	s_mov_b32 s0, -1
                                        ; implicit-def: $vgpr4
.LBB73_2719:
	s_mov_b32 s1, 0
.LBB73_2720:
	s_delay_alu instid0(SALU_CYCLE_1)
	s_and_b32 vcc_lo, exec_lo, s1
	s_mov_b32 s1, 0
	s_cbranch_vccz .LBB73_2722
; %bb.2721:
	v_cmp_ne_u16_e64 s0, s12, 11
	s_mov_b32 s1, -1
                                        ; implicit-def: $vgpr4
.LBB73_2722:
	s_delay_alu instid0(VALU_DEP_1)
	s_and_b32 vcc_lo, exec_lo, s0
	s_cbranch_vccnz .LBB73_3264
; %bb.2723:
	s_and_not1_b32 vcc_lo, exec_lo, s1
	s_cbranch_vccnz .LBB73_2725
.LBB73_2724:
	global_load_u8 v4, v[10:11], off
	s_mov_b32 s2, -1
	s_waitcnt vmcnt(0)
	v_cmp_ne_u16_e32 vcc_lo, 0, v4
	v_cndmask_b32_e64 v4, 0, 1.0, vcc_lo
.LBB73_2725:
	s_mov_b32 s0, 0
.LBB73_2726:
	s_delay_alu instid0(SALU_CYCLE_1)
	s_and_b32 vcc_lo, exec_lo, s0
	s_cbranch_vccz .LBB73_2775
; %bb.2727:
	v_cmp_lt_i16_e64 s0, s12, 5
	s_delay_alu instid0(VALU_DEP_1)
	s_and_b32 vcc_lo, exec_lo, s0
	s_cbranch_vccnz .LBB73_2732
; %bb.2728:
	v_cmp_lt_i16_e64 s0, s12, 8
	s_delay_alu instid0(VALU_DEP_1)
	s_and_b32 vcc_lo, exec_lo, s0
	s_cbranch_vccnz .LBB73_2733
	;; [unrolled: 5-line block ×3, first 2 shown]
; %bb.2730:
	v_cmp_gt_i16_e64 s0, s12, 9
	s_delay_alu instid0(VALU_DEP_1)
	s_and_b32 vcc_lo, exec_lo, s0
	s_cbranch_vccz .LBB73_2735
; %bb.2731:
	global_load_b64 v[12:13], v[10:11], off
	s_mov_b32 s0, 0
	s_waitcnt vmcnt(0)
	v_cvt_f32_f64_e32 v4, v[12:13]
	s_branch .LBB73_2736
.LBB73_2732:
	s_mov_b32 s0, -1
                                        ; implicit-def: $vgpr4
	s_branch .LBB73_2754
.LBB73_2733:
	s_mov_b32 s0, -1
                                        ; implicit-def: $vgpr4
	s_branch .LBB73_2742
.LBB73_2734:
	s_mov_b32 s0, -1
                                        ; implicit-def: $vgpr4
	s_branch .LBB73_2739
.LBB73_2735:
	s_mov_b32 s0, -1
                                        ; implicit-def: $vgpr4
.LBB73_2736:
	s_delay_alu instid0(SALU_CYCLE_1)
	s_and_not1_b32 vcc_lo, exec_lo, s0
	s_cbranch_vccnz .LBB73_2738
; %bb.2737:
	global_load_b32 v4, v[10:11], off
.LBB73_2738:
	s_mov_b32 s0, 0
.LBB73_2739:
	s_delay_alu instid0(SALU_CYCLE_1)
	s_and_not1_b32 vcc_lo, exec_lo, s0
	s_cbranch_vccnz .LBB73_2741
; %bb.2740:
	global_load_b32 v4, v[10:11], off
	s_waitcnt vmcnt(0)
	v_cvt_f32_f16_e32 v4, v4
.LBB73_2741:
	s_mov_b32 s0, 0
.LBB73_2742:
	s_delay_alu instid0(SALU_CYCLE_1)
	s_and_not1_b32 vcc_lo, exec_lo, s0
	s_cbranch_vccnz .LBB73_2753
; %bb.2743:
	v_cmp_lt_i16_e64 s0, s12, 6
	s_delay_alu instid0(VALU_DEP_1)
	s_and_b32 vcc_lo, exec_lo, s0
	s_cbranch_vccnz .LBB73_2746
; %bb.2744:
	v_cmp_gt_i16_e64 s0, s12, 6
	s_delay_alu instid0(VALU_DEP_1)
	s_and_b32 vcc_lo, exec_lo, s0
	s_cbranch_vccz .LBB73_2747
; %bb.2745:
	global_load_b64 v[12:13], v[10:11], off
	s_mov_b32 s0, 0
	s_waitcnt vmcnt(0)
	v_cvt_f32_f64_e32 v4, v[12:13]
	s_branch .LBB73_2748
.LBB73_2746:
	s_mov_b32 s0, -1
                                        ; implicit-def: $vgpr4
	s_branch .LBB73_2751
.LBB73_2747:
	s_mov_b32 s0, -1
                                        ; implicit-def: $vgpr4
.LBB73_2748:
	s_delay_alu instid0(SALU_CYCLE_1)
	s_and_not1_b32 vcc_lo, exec_lo, s0
	s_cbranch_vccnz .LBB73_2750
; %bb.2749:
	global_load_b32 v4, v[10:11], off
.LBB73_2750:
	s_mov_b32 s0, 0
.LBB73_2751:
	s_delay_alu instid0(SALU_CYCLE_1)
	s_and_not1_b32 vcc_lo, exec_lo, s0
	s_cbranch_vccnz .LBB73_2753
; %bb.2752:
	global_load_u16 v4, v[10:11], off
	s_waitcnt vmcnt(0)
	v_cvt_f32_f16_e32 v4, v4
.LBB73_2753:
	s_mov_b32 s0, 0
.LBB73_2754:
	s_delay_alu instid0(SALU_CYCLE_1)
	s_and_not1_b32 vcc_lo, exec_lo, s0
	s_cbranch_vccnz .LBB73_2774
; %bb.2755:
	v_cmp_lt_i16_e64 s0, s12, 2
	s_delay_alu instid0(VALU_DEP_1)
	s_and_b32 vcc_lo, exec_lo, s0
	s_cbranch_vccnz .LBB73_2759
; %bb.2756:
	v_cmp_lt_i16_e64 s0, s12, 3
	s_delay_alu instid0(VALU_DEP_1)
	s_and_b32 vcc_lo, exec_lo, s0
	s_cbranch_vccnz .LBB73_2760
; %bb.2757:
	v_cmp_gt_i16_e64 s0, s12, 3
	s_delay_alu instid0(VALU_DEP_1)
	s_and_b32 vcc_lo, exec_lo, s0
	s_cbranch_vccz .LBB73_2761
; %bb.2758:
	global_load_b64 v[12:13], v[10:11], off
	s_mov_b32 s0, 0
	s_waitcnt vmcnt(0)
	v_xor_b32_e32 v4, v12, v13
	v_cls_i32_e32 v8, v13
	s_delay_alu instid0(VALU_DEP_2) | instskip(NEXT) | instid1(VALU_DEP_2)
	v_ashrrev_i32_e32 v4, 31, v4
	v_add_nc_u32_e32 v8, -1, v8
	s_delay_alu instid0(VALU_DEP_2) | instskip(NEXT) | instid1(VALU_DEP_1)
	v_add_nc_u32_e32 v4, 32, v4
	v_min_u32_e32 v4, v8, v4
	s_delay_alu instid0(VALU_DEP_1) | instskip(SKIP_1) | instid1(VALU_DEP_2)
	v_lshlrev_b64 v[12:13], v4, v[12:13]
	v_sub_nc_u32_e32 v4, 32, v4
	v_min_u32_e32 v8, 1, v12
	s_delay_alu instid0(VALU_DEP_1) | instskip(NEXT) | instid1(VALU_DEP_1)
	v_or_b32_e32 v8, v13, v8
	v_cvt_f32_i32_e32 v8, v8
	s_delay_alu instid0(VALU_DEP_1)
	v_ldexp_f32 v4, v8, v4
	s_branch .LBB73_2762
.LBB73_2759:
	s_mov_b32 s0, -1
                                        ; implicit-def: $vgpr4
	s_branch .LBB73_2768
.LBB73_2760:
	s_mov_b32 s0, -1
                                        ; implicit-def: $vgpr4
	s_branch .LBB73_2765
.LBB73_2761:
	s_mov_b32 s0, -1
                                        ; implicit-def: $vgpr4
.LBB73_2762:
	s_delay_alu instid0(SALU_CYCLE_1)
	s_and_not1_b32 vcc_lo, exec_lo, s0
	s_cbranch_vccnz .LBB73_2764
; %bb.2763:
	global_load_b32 v4, v[10:11], off
	s_waitcnt vmcnt(0)
	v_cvt_f32_i32_e32 v4, v4
.LBB73_2764:
	s_mov_b32 s0, 0
.LBB73_2765:
	s_delay_alu instid0(SALU_CYCLE_1)
	s_and_not1_b32 vcc_lo, exec_lo, s0
	s_cbranch_vccnz .LBB73_2767
; %bb.2766:
	global_load_i16 v4, v[10:11], off
	s_waitcnt vmcnt(0)
	v_cvt_f32_i32_e32 v4, v4
.LBB73_2767:
	s_mov_b32 s0, 0
.LBB73_2768:
	s_delay_alu instid0(SALU_CYCLE_1)
	s_and_not1_b32 vcc_lo, exec_lo, s0
	s_cbranch_vccnz .LBB73_2774
; %bb.2769:
	v_cmp_gt_i16_e64 s0, s12, 0
	s_delay_alu instid0(VALU_DEP_1)
	s_and_b32 vcc_lo, exec_lo, s0
	s_mov_b32 s0, 0
	s_cbranch_vccz .LBB73_2771
; %bb.2770:
	global_load_i8 v4, v[10:11], off
	s_waitcnt vmcnt(0)
	v_cvt_f32_i32_e32 v4, v4
	s_branch .LBB73_2772
.LBB73_2771:
	s_mov_b32 s0, -1
                                        ; implicit-def: $vgpr4
.LBB73_2772:
	s_delay_alu instid0(SALU_CYCLE_1)
	s_and_not1_b32 vcc_lo, exec_lo, s0
	s_cbranch_vccnz .LBB73_2774
; %bb.2773:
	global_load_u8 v4, v[10:11], off
	s_waitcnt vmcnt(0)
	v_cvt_f32_ubyte0_e32 v4, v4
.LBB73_2774:
	s_mov_b32 s2, -1
.LBB73_2775:
	s_delay_alu instid0(SALU_CYCLE_1)
	s_and_not1_b32 vcc_lo, exec_lo, s2
	s_cbranch_vccnz .LBB73_3218
; %bb.2776:
	s_waitcnt vmcnt(0)
	s_delay_alu instid0(VALU_DEP_1) | instskip(SKIP_1) | instid1(VALU_DEP_1)
	v_trunc_f32_e32 v8, v4
	s_mov_b32 s2, exec_lo
	v_mul_f32_e64 v10, 0x2f800000, |v8|
	s_delay_alu instid0(VALU_DEP_1) | instskip(NEXT) | instid1(VALU_DEP_1)
	v_floor_f32_e32 v10, v10
	v_fma_f32 v11, 0xcf800000, v10, |v8|
	v_ashrrev_i32_e32 v8, 31, v8
	v_cvt_u32_f32_e32 v10, v10
	s_delay_alu instid0(VALU_DEP_3) | instskip(NEXT) | instid1(VALU_DEP_2)
	v_cvt_u32_f32_e32 v11, v11
	v_xor_b32_e32 v10, v10, v8
	s_delay_alu instid0(VALU_DEP_2) | instskip(NEXT) | instid1(VALU_DEP_1)
	v_xor_b32_e32 v11, v11, v8
	v_sub_co_u32 v12, vcc_lo, v11, v8
	s_delay_alu instid0(VALU_DEP_3) | instskip(SKIP_1) | instid1(VALU_DEP_2)
	v_sub_co_ci_u32_e32 v8, vcc_lo, v10, v8, vcc_lo
	v_cmp_class_f32_e64 vcc_lo, v4, 0x1f8
	v_dual_mov_b32 v4, 0 :: v_dual_cndmask_b32 v11, -1, v8
	s_delay_alu instid0(VALU_DEP_4) | instskip(NEXT) | instid1(VALU_DEP_1)
	v_cndmask_b32_e32 v10, -1, v12, vcc_lo
	v_cmpx_lt_i64_e32 -1, v[10:11]
	s_cbranch_execz .LBB73_2788
; %bb.2777:
	v_mov_b32_e32 v4, 1.0
	s_mov_b32 s3, exec_lo
	v_cmpx_lt_i64_e32 0, v[10:11]
	s_cbranch_execz .LBB73_2787
; %bb.2778:
                                        ; implicit-def: $vgpr4
	s_mov_b32 s0, exec_lo
	v_cmpx_ne_u64_e32 1, v[10:11]
	s_xor_b32 s6, exec_lo, s0
	s_cbranch_execz .LBB73_2784
; %bb.2779:
	v_mov_b32_e32 v4, 0x7fc00000
	s_mov_b32 s7, exec_lo
	v_cmpx_gt_u64_e32 0x81, v[10:11]
	s_cbranch_execz .LBB73_2783
; %bb.2780:
	v_add_f32_e32 v6, v6, v6
	v_lshlrev_b64 v[10:11], 1, v[10:11]
	v_mov_b32_e32 v8, 1.0
	s_mov_b64 s[0:1], 2
	s_mov_b32 s12, 0
	v_mov_b32_e32 v4, v6
.LBB73_2781:                            ; =>This Inner Loop Header: Depth=1
	s_clz_i32_u32 s13, s1
	s_delay_alu instid0(SALU_CYCLE_1) | instskip(NEXT) | instid1(SALU_CYCLE_1)
	s_min_u32 s13, s13, 32
	s_lshl_b64 s[14:15], s[0:1], s13
	s_sub_i32 s13, 32, s13
	s_min_u32 s14, s14, 1
	s_delay_alu instid0(SALU_CYCLE_1) | instskip(SKIP_3) | instid1(SALU_CYCLE_1)
	s_or_b32 s14, s15, s14
	s_add_u32 s0, s0, 2
	v_cvt_f32_u32_e32 v12, s14
	s_addc_u32 s1, s1, 0
	v_cmp_ge_u64_e32 vcc_lo, s[0:1], v[10:11]
	s_delay_alu instid0(VALU_DEP_2) | instskip(SKIP_1) | instid1(VALU_DEP_1)
	v_ldexp_f32 v12, v12, s13
	s_or_b32 s12, vcc_lo, s12
	v_mul_f32_e32 v12, v8, v12
	v_mov_b32_e32 v8, v4
	s_delay_alu instid0(VALU_DEP_2)
	v_fma_f32 v4, v6, v4, -v12
	s_and_not1_b32 exec_lo, exec_lo, s12
	s_cbranch_execnz .LBB73_2781
; %bb.2782:
	s_or_b32 exec_lo, exec_lo, s12
.LBB73_2783:
	s_delay_alu instid0(SALU_CYCLE_1)
	s_or_b32 exec_lo, exec_lo, s7
                                        ; implicit-def: $vgpr6
.LBB73_2784:
	s_and_not1_saveexec_b32 s0, s6
; %bb.2785:
	v_add_f32_e32 v4, v6, v6
; %bb.2786:
	s_or_b32 exec_lo, exec_lo, s0
.LBB73_2787:
	s_delay_alu instid0(SALU_CYCLE_1)
	s_or_b32 exec_lo, exec_lo, s3
.LBB73_2788:
	s_delay_alu instid0(SALU_CYCLE_1) | instskip(SKIP_4) | instid1(VALU_DEP_1)
	s_or_b32 exec_lo, exec_lo, s2
	s_lshr_b32 s0, s11, 8
	s_mov_b32 s2, 0
	v_and_b32_e64 v12, 0xff, s0
	v_add_co_u32 v10, s0, s4, v3
	v_add_co_ci_u32_e64 v11, null, s5, 0, s0
	s_delay_alu instid0(VALU_DEP_3)
	v_cmp_gt_i16_e32 vcc_lo, 11, v12
	s_mov_b32 s0, -1
	s_cbranch_vccnz .LBB73_2866
; %bb.2789:
	v_cmp_lt_i16_e32 vcc_lo, 25, v12
	s_mov_b32 s3, -1
	s_mov_b32 s1, 0
	s_mov_b32 s0, 0
	s_cbranch_vccz .LBB73_2822
; %bb.2790:
	v_cmp_lt_i16_e32 vcc_lo, 28, v12
	s_cbranch_vccz .LBB73_2805
; %bb.2791:
	v_cmp_lt_i16_e32 vcc_lo, 43, v12
	;; [unrolled: 3-line block ×3, first 2 shown]
	s_cbranch_vccz .LBB73_2795
; %bb.2793:
	v_cmp_eq_u16_e32 vcc_lo, 46, v12
	s_mov_b32 s0, -1
	s_mov_b32 s3, 0
	s_cbranch_vccz .LBB73_2795
; %bb.2794:
	v_bfe_u32 v3, v5, 16, 1
	v_cmp_o_f32_e32 vcc_lo, v5, v5
	s_mov_b32 s0, 0
	s_mov_b32 s2, -1
	s_delay_alu instid0(VALU_DEP_2) | instskip(NEXT) | instid1(VALU_DEP_1)
	v_add3_u32 v3, v5, v3, 0x7fff
	v_lshrrev_b32_e32 v3, 16, v3
	s_delay_alu instid0(VALU_DEP_1)
	v_cndmask_b32_e32 v3, 0x7fc0, v3, vcc_lo
	global_store_b32 v[10:11], v3, off
.LBB73_2795:
	s_and_b32 vcc_lo, exec_lo, s3
	s_cbranch_vccz .LBB73_2800
; %bb.2796:
	v_cmp_eq_u16_e32 vcc_lo, 44, v12
	s_mov_b32 s0, -1
	s_cbranch_vccz .LBB73_2800
; %bb.2797:
	v_bfe_u32 v6, v5, 23, 8
	v_mov_b32_e32 v3, 0xff
	s_mov_b32 s2, exec_lo
	s_delay_alu instid0(VALU_DEP_2)
	v_cmpx_ne_u32_e32 0xff, v6
; %bb.2798:
	v_and_b32_e32 v3, 0x400000, v5
	v_and_or_b32 v6, 0x3fffff, v5, v6
	s_delay_alu instid0(VALU_DEP_2) | instskip(NEXT) | instid1(VALU_DEP_2)
	v_cmp_ne_u32_e32 vcc_lo, 0, v3
	v_cmp_ne_u32_e64 s0, 0, v6
	v_lshrrev_b32_e32 v3, 23, v5
	s_delay_alu instid0(VALU_DEP_2) | instskip(NEXT) | instid1(SALU_CYCLE_1)
	s_and_b32 s0, vcc_lo, s0
	v_cndmask_b32_e64 v6, 0, 1, s0
	s_delay_alu instid0(VALU_DEP_1)
	v_add_nc_u32_e32 v3, v3, v6
; %bb.2799:
	s_or_b32 exec_lo, exec_lo, s2
	s_mov_b32 s0, 0
	s_mov_b32 s2, -1
	global_store_b8 v[10:11], v3, off
.LBB73_2800:
	s_mov_b32 s3, 0
.LBB73_2801:
	s_delay_alu instid0(SALU_CYCLE_1)
	s_and_b32 vcc_lo, exec_lo, s3
	s_cbranch_vccz .LBB73_2804
; %bb.2802:
	v_cmp_eq_u16_e32 vcc_lo, 29, v12
	s_mov_b32 s0, -1
	s_cbranch_vccz .LBB73_2804
; %bb.2803:
	v_trunc_f32_e32 v3, v5
	s_mov_b32 s0, 0
	s_mov_b32 s2, -1
	s_delay_alu instid0(VALU_DEP_1) | instskip(NEXT) | instid1(VALU_DEP_1)
	v_mul_f32_e32 v6, 0x2f800000, v3
	v_floor_f32_e32 v6, v6
	s_delay_alu instid0(VALU_DEP_1) | instskip(SKIP_1) | instid1(VALU_DEP_2)
	v_fmamk_f32 v3, v6, 0xcf800000, v3
	v_cvt_u32_f32_e32 v14, v6
	v_cvt_u32_f32_e32 v13, v3
	global_store_b64 v[10:11], v[13:14], off
.LBB73_2804:
	s_mov_b32 s3, 0
.LBB73_2805:
	s_delay_alu instid0(SALU_CYCLE_1)
	s_and_b32 vcc_lo, exec_lo, s3
	s_cbranch_vccz .LBB73_2821
; %bb.2806:
	v_cmp_gt_i16_e32 vcc_lo, 27, v12
	s_mov_b32 s2, -1
	s_cbranch_vccnz .LBB73_2812
; %bb.2807:
	v_cmp_lt_i16_e32 vcc_lo, 27, v12
	v_cvt_u32_f32_e32 v3, v5
	s_cbranch_vccz .LBB73_2809
; %bb.2808:
	s_mov_b32 s2, 0
	global_store_b32 v[10:11], v3, off
.LBB73_2809:
	s_and_not1_b32 vcc_lo, exec_lo, s2
	s_cbranch_vccnz .LBB73_2811
; %bb.2810:
	global_store_b16 v[10:11], v3, off
.LBB73_2811:
	s_mov_b32 s2, 0
.LBB73_2812:
	s_delay_alu instid0(SALU_CYCLE_1)
	s_and_not1_b32 vcc_lo, exec_lo, s2
	s_cbranch_vccnz .LBB73_2820
; %bb.2813:
	v_and_b32_e32 v3, 0x7fffffff, v5
	v_mov_b32_e32 v6, 0x80
	s_mov_b32 s2, exec_lo
	s_delay_alu instid0(VALU_DEP_2)
	v_cmpx_gt_u32_e32 0x43800000, v3
	s_cbranch_execz .LBB73_2819
; %bb.2814:
	v_cmp_lt_u32_e32 vcc_lo, 0x3bffffff, v3
	s_mov_b32 s3, 0
                                        ; implicit-def: $vgpr3
	s_and_saveexec_b32 s6, vcc_lo
	s_delay_alu instid0(SALU_CYCLE_1)
	s_xor_b32 s6, exec_lo, s6
	s_cbranch_execz .LBB73_3266
; %bb.2815:
	v_bfe_u32 v3, v5, 20, 1
	s_mov_b32 s3, exec_lo
	s_delay_alu instid0(VALU_DEP_1) | instskip(NEXT) | instid1(VALU_DEP_1)
	v_add3_u32 v3, v5, v3, 0x487ffff
	v_lshrrev_b32_e32 v3, 20, v3
	s_or_saveexec_b32 s6, s6
                                        ; implicit-def: $sgpr7
	s_delay_alu instid0(SALU_CYCLE_1)
	s_xor_b32 exec_lo, exec_lo, s6
	s_cbranch_execnz .LBB73_3267
.LBB73_2816:
	s_or_b32 exec_lo, exec_lo, s6
	v_mov_b32_e32 v6, s7
	s_and_saveexec_b32 s6, s3
.LBB73_2817:
	v_lshrrev_b32_e32 v6, 24, v5
	s_delay_alu instid0(VALU_DEP_1)
	v_and_or_b32 v6, 0x80, v6, v3
.LBB73_2818:
	s_or_b32 exec_lo, exec_lo, s6
.LBB73_2819:
	s_delay_alu instid0(SALU_CYCLE_1)
	s_or_b32 exec_lo, exec_lo, s2
	global_store_b8 v[10:11], v6, off
.LBB73_2820:
	s_mov_b32 s2, -1
.LBB73_2821:
	s_mov_b32 s3, 0
.LBB73_2822:
	s_delay_alu instid0(SALU_CYCLE_1)
	s_and_b32 vcc_lo, exec_lo, s3
	s_cbranch_vccz .LBB73_2862
; %bb.2823:
	v_cmp_lt_i16_e32 vcc_lo, 22, v12
	s_mov_b32 s1, -1
	s_cbranch_vccz .LBB73_2855
; %bb.2824:
	v_cmp_gt_i16_e32 vcc_lo, 24, v12
	s_cbranch_vccnz .LBB73_2844
; %bb.2825:
	v_cmp_lt_i16_e32 vcc_lo, 24, v12
	s_cbranch_vccz .LBB73_2833
; %bb.2826:
	v_and_b32_e32 v3, 0x7fffffff, v5
	v_mov_b32_e32 v6, 0x80
	s_mov_b32 s1, exec_lo
	s_delay_alu instid0(VALU_DEP_2)
	v_cmpx_gt_u32_e32 0x47800000, v3
	s_cbranch_execz .LBB73_2832
; %bb.2827:
	v_cmp_lt_u32_e32 vcc_lo, 0x37ffffff, v3
	s_mov_b32 s2, 0
                                        ; implicit-def: $vgpr3
	s_and_saveexec_b32 s3, vcc_lo
	s_delay_alu instid0(SALU_CYCLE_1)
	s_xor_b32 s3, exec_lo, s3
	s_cbranch_execz .LBB73_3272
; %bb.2828:
	v_bfe_u32 v3, v5, 21, 1
	s_mov_b32 s2, exec_lo
	s_delay_alu instid0(VALU_DEP_1) | instskip(NEXT) | instid1(VALU_DEP_1)
	v_add3_u32 v3, v5, v3, 0x88fffff
	v_lshrrev_b32_e32 v3, 21, v3
	s_or_saveexec_b32 s3, s3
                                        ; implicit-def: $sgpr6
	s_delay_alu instid0(SALU_CYCLE_1)
	s_xor_b32 exec_lo, exec_lo, s3
	s_cbranch_execnz .LBB73_3273
.LBB73_2829:
	s_or_b32 exec_lo, exec_lo, s3
	v_mov_b32_e32 v6, s6
	s_and_saveexec_b32 s3, s2
.LBB73_2830:
	v_lshrrev_b32_e32 v6, 24, v5
	s_delay_alu instid0(VALU_DEP_1)
	v_and_or_b32 v6, 0x80, v6, v3
.LBB73_2831:
	s_or_b32 exec_lo, exec_lo, s3
.LBB73_2832:
	s_delay_alu instid0(SALU_CYCLE_1)
	s_or_b32 exec_lo, exec_lo, s1
	s_mov_b32 s1, 0
	global_store_b8 v[10:11], v6, off
.LBB73_2833:
	s_and_b32 vcc_lo, exec_lo, s1
	s_cbranch_vccz .LBB73_2843
; %bb.2834:
	v_and_b32_e32 v6, 0x7fffffff, v5
	s_mov_b32 s1, exec_lo
                                        ; implicit-def: $vgpr3
	s_delay_alu instid0(VALU_DEP_1)
	v_cmpx_gt_u32_e32 0x43f00000, v6
	s_xor_b32 s1, exec_lo, s1
	s_cbranch_execz .LBB73_2840
; %bb.2835:
	s_mov_b32 s2, exec_lo
                                        ; implicit-def: $vgpr3
	v_cmpx_lt_u32_e32 0x3c7fffff, v6
	s_xor_b32 s2, exec_lo, s2
; %bb.2836:
	v_bfe_u32 v3, v5, 20, 1
	s_delay_alu instid0(VALU_DEP_1) | instskip(NEXT) | instid1(VALU_DEP_1)
	v_add3_u32 v3, v5, v3, 0x407ffff
	v_and_b32_e32 v6, 0xff00000, v3
	v_lshrrev_b32_e32 v3, 20, v3
	s_delay_alu instid0(VALU_DEP_2) | instskip(NEXT) | instid1(VALU_DEP_2)
	v_cmp_ne_u32_e32 vcc_lo, 0x7f00000, v6
	v_cndmask_b32_e32 v3, 0x7e, v3, vcc_lo
; %bb.2837:
	s_and_not1_saveexec_b32 s2, s2
; %bb.2838:
	v_add_f32_e64 v3, 0x46800000, |v5|
; %bb.2839:
	s_or_b32 exec_lo, exec_lo, s2
                                        ; implicit-def: $vgpr6
.LBB73_2840:
	s_and_not1_saveexec_b32 s1, s1
; %bb.2841:
	v_mov_b32_e32 v3, 0x7f
	v_cmp_lt_u32_e32 vcc_lo, 0x7f800000, v6
	s_delay_alu instid0(VALU_DEP_2)
	v_cndmask_b32_e32 v3, 0x7e, v3, vcc_lo
; %bb.2842:
	s_or_b32 exec_lo, exec_lo, s1
	v_lshrrev_b32_e32 v6, 24, v5
	s_delay_alu instid0(VALU_DEP_1)
	v_and_or_b32 v3, 0x80, v6, v3
	global_store_b8 v[10:11], v3, off
.LBB73_2843:
	s_mov_b32 s1, 0
.LBB73_2844:
	s_delay_alu instid0(SALU_CYCLE_1)
	s_and_not1_b32 vcc_lo, exec_lo, s1
	s_cbranch_vccnz .LBB73_2854
; %bb.2845:
	v_and_b32_e32 v6, 0x7fffffff, v5
	s_mov_b32 s1, exec_lo
                                        ; implicit-def: $vgpr3
	s_delay_alu instid0(VALU_DEP_1)
	v_cmpx_gt_u32_e32 0x47800000, v6
	s_xor_b32 s1, exec_lo, s1
	s_cbranch_execz .LBB73_2851
; %bb.2846:
	s_mov_b32 s2, exec_lo
                                        ; implicit-def: $vgpr3
	v_cmpx_lt_u32_e32 0x387fffff, v6
	s_xor_b32 s2, exec_lo, s2
; %bb.2847:
	v_bfe_u32 v3, v5, 21, 1
	s_delay_alu instid0(VALU_DEP_1) | instskip(NEXT) | instid1(VALU_DEP_1)
	v_add3_u32 v3, v5, v3, 0x80fffff
	v_lshrrev_b32_e32 v3, 21, v3
; %bb.2848:
	s_and_not1_saveexec_b32 s2, s2
; %bb.2849:
	v_add_f32_e64 v3, 0x43000000, |v5|
; %bb.2850:
	s_or_b32 exec_lo, exec_lo, s2
                                        ; implicit-def: $vgpr6
.LBB73_2851:
	s_and_not1_saveexec_b32 s1, s1
; %bb.2852:
	v_mov_b32_e32 v3, 0x7f
	v_cmp_lt_u32_e32 vcc_lo, 0x7f800000, v6
	s_delay_alu instid0(VALU_DEP_2)
	v_cndmask_b32_e32 v3, 0x7c, v3, vcc_lo
; %bb.2853:
	s_or_b32 exec_lo, exec_lo, s1
	v_lshrrev_b32_e32 v6, 24, v5
	s_delay_alu instid0(VALU_DEP_1)
	v_and_or_b32 v3, 0x80, v6, v3
	global_store_b8 v[10:11], v3, off
.LBB73_2854:
	s_mov_b32 s1, 0
	s_mov_b32 s2, -1
.LBB73_2855:
	s_and_not1_b32 vcc_lo, exec_lo, s1
	s_mov_b32 s1, 0
	s_cbranch_vccnz .LBB73_2862
; %bb.2856:
	v_cmp_lt_i16_e32 vcc_lo, 14, v12
	s_mov_b32 s1, -1
	s_cbranch_vccz .LBB73_2860
; %bb.2857:
	v_cmp_eq_u16_e32 vcc_lo, 15, v12
	s_mov_b32 s0, -1
	s_cbranch_vccz .LBB73_2859
; %bb.2858:
	v_bfe_u32 v3, v5, 16, 1
	v_cmp_o_f32_e32 vcc_lo, v5, v5
	s_mov_b32 s0, 0
	s_mov_b32 s2, -1
	s_delay_alu instid0(VALU_DEP_2) | instskip(NEXT) | instid1(VALU_DEP_1)
	v_add3_u32 v3, v5, v3, 0x7fff
	v_lshrrev_b32_e32 v3, 16, v3
	s_delay_alu instid0(VALU_DEP_1)
	v_cndmask_b32_e32 v3, 0x7fc0, v3, vcc_lo
	global_store_b16 v[10:11], v3, off
.LBB73_2859:
	s_mov_b32 s1, 0
.LBB73_2860:
	s_delay_alu instid0(SALU_CYCLE_1)
	s_and_b32 vcc_lo, exec_lo, s1
	s_mov_b32 s1, 0
	s_cbranch_vccz .LBB73_2862
; %bb.2861:
	v_cmp_ne_u16_e64 s0, 11, v12
	s_mov_b32 s1, -1
.LBB73_2862:
	s_delay_alu instid0(VALU_DEP_1)
	s_and_b32 vcc_lo, exec_lo, s0
	s_cbranch_vccnz .LBB73_3270
; %bb.2863:
	s_and_not1_b32 vcc_lo, exec_lo, s1
	s_cbranch_vccnz .LBB73_2865
.LBB73_2864:
	v_cmp_neq_f32_e32 vcc_lo, 0, v5
	s_mov_b32 s2, -1
	v_cndmask_b32_e64 v3, 0, 1, vcc_lo
	global_store_b8 v[10:11], v3, off
.LBB73_2865:
	s_mov_b32 s0, 0
.LBB73_2866:
	s_delay_alu instid0(SALU_CYCLE_1)
	s_and_b32 vcc_lo, exec_lo, s0
	s_cbranch_vccz .LBB73_2905
; %bb.2867:
	v_cmp_gt_i16_e32 vcc_lo, 5, v12
	s_mov_b32 s0, -1
	s_cbranch_vccnz .LBB73_2888
; %bb.2868:
	v_cmp_gt_i16_e32 vcc_lo, 8, v12
	s_cbranch_vccnz .LBB73_2878
; %bb.2869:
	v_cmp_gt_i16_e32 vcc_lo, 9, v12
	s_cbranch_vccnz .LBB73_2875
; %bb.2870:
	v_cmp_lt_i16_e32 vcc_lo, 9, v12
	s_cbranch_vccz .LBB73_2872
; %bb.2871:
	v_cvt_f64_f32_e32 v[13:14], v5
	v_mov_b32_e32 v15, 0
	s_mov_b32 s0, 0
	s_delay_alu instid0(VALU_DEP_1)
	v_mov_b32_e32 v16, v15
	global_store_b128 v[10:11], v[13:16], off
.LBB73_2872:
	s_and_not1_b32 vcc_lo, exec_lo, s0
	s_cbranch_vccnz .LBB73_2874
; %bb.2873:
	v_mov_b32_e32 v6, 0
	global_store_b64 v[10:11], v[5:6], off
.LBB73_2874:
	s_mov_b32 s0, 0
.LBB73_2875:
	s_delay_alu instid0(SALU_CYCLE_1)
	s_and_not1_b32 vcc_lo, exec_lo, s0
	s_cbranch_vccnz .LBB73_2877
; %bb.2876:
	v_cvt_f16_f32_e32 v3, v5
	s_delay_alu instid0(VALU_DEP_1)
	v_and_b32_e32 v3, 0xffff, v3
	global_store_b32 v[10:11], v3, off
.LBB73_2877:
	s_mov_b32 s0, 0
.LBB73_2878:
	s_delay_alu instid0(SALU_CYCLE_1)
	s_and_not1_b32 vcc_lo, exec_lo, s0
	s_cbranch_vccnz .LBB73_2887
; %bb.2879:
	v_cmp_gt_i16_e32 vcc_lo, 6, v12
	s_mov_b32 s0, -1
	s_cbranch_vccnz .LBB73_2885
; %bb.2880:
	v_cmp_lt_i16_e32 vcc_lo, 6, v12
	s_cbranch_vccz .LBB73_2882
; %bb.2881:
	v_cvt_f64_f32_e32 v[13:14], v5
	s_mov_b32 s0, 0
	global_store_b64 v[10:11], v[13:14], off
.LBB73_2882:
	s_and_not1_b32 vcc_lo, exec_lo, s0
	s_cbranch_vccnz .LBB73_2884
; %bb.2883:
	global_store_b32 v[10:11], v5, off
.LBB73_2884:
	s_mov_b32 s0, 0
.LBB73_2885:
	s_delay_alu instid0(SALU_CYCLE_1)
	s_and_not1_b32 vcc_lo, exec_lo, s0
	s_cbranch_vccnz .LBB73_2887
; %bb.2886:
	v_cvt_f16_f32_e32 v3, v5
	global_store_b16 v[10:11], v3, off
.LBB73_2887:
	s_mov_b32 s0, 0
.LBB73_2888:
	s_delay_alu instid0(SALU_CYCLE_1)
	s_and_not1_b32 vcc_lo, exec_lo, s0
	s_cbranch_vccnz .LBB73_2904
; %bb.2889:
	v_cmp_gt_i16_e32 vcc_lo, 2, v12
	s_mov_b32 s0, -1
	s_cbranch_vccnz .LBB73_2899
; %bb.2890:
	v_cmp_gt_i16_e32 vcc_lo, 3, v12
	s_cbranch_vccnz .LBB73_2896
; %bb.2891:
	v_cmp_lt_i16_e32 vcc_lo, 3, v12
	s_cbranch_vccz .LBB73_2893
; %bb.2892:
	v_trunc_f32_e32 v3, v5
	s_mov_b32 s0, 0
	s_delay_alu instid0(VALU_DEP_1) | instskip(NEXT) | instid1(VALU_DEP_1)
	v_mul_f32_e64 v6, 0x2f800000, |v3|
	v_floor_f32_e32 v6, v6
	s_delay_alu instid0(VALU_DEP_1) | instskip(SKIP_2) | instid1(VALU_DEP_3)
	v_fma_f32 v8, 0xcf800000, v6, |v3|
	v_ashrrev_i32_e32 v3, 31, v3
	v_cvt_u32_f32_e32 v6, v6
	v_cvt_u32_f32_e32 v8, v8
	s_delay_alu instid0(VALU_DEP_2) | instskip(NEXT) | instid1(VALU_DEP_2)
	v_xor_b32_e32 v6, v6, v3
	v_xor_b32_e32 v8, v8, v3
	s_delay_alu instid0(VALU_DEP_1) | instskip(NEXT) | instid1(VALU_DEP_3)
	v_sub_co_u32 v13, vcc_lo, v8, v3
	v_sub_co_ci_u32_e32 v14, vcc_lo, v6, v3, vcc_lo
	global_store_b64 v[10:11], v[13:14], off
.LBB73_2893:
	s_and_not1_b32 vcc_lo, exec_lo, s0
	s_cbranch_vccnz .LBB73_2895
; %bb.2894:
	v_cvt_i32_f32_e32 v3, v5
	global_store_b32 v[10:11], v3, off
.LBB73_2895:
	s_mov_b32 s0, 0
.LBB73_2896:
	s_delay_alu instid0(SALU_CYCLE_1)
	s_and_not1_b32 vcc_lo, exec_lo, s0
	s_cbranch_vccnz .LBB73_2898
; %bb.2897:
	v_cvt_i32_f32_e32 v3, v5
	global_store_b16 v[10:11], v3, off
.LBB73_2898:
	s_mov_b32 s0, 0
.LBB73_2899:
	s_delay_alu instid0(SALU_CYCLE_1)
	s_and_not1_b32 vcc_lo, exec_lo, s0
	s_cbranch_vccnz .LBB73_2904
; %bb.2900:
	v_cmp_lt_i16_e32 vcc_lo, 0, v12
	s_mov_b32 s0, -1
	s_cbranch_vccz .LBB73_2902
; %bb.2901:
	v_cvt_i32_f32_e32 v3, v5
	s_mov_b32 s0, 0
	global_store_b8 v[10:11], v3, off
.LBB73_2902:
	s_and_not1_b32 vcc_lo, exec_lo, s0
	s_cbranch_vccnz .LBB73_2904
; %bb.2903:
	v_trunc_f32_e32 v3, v5
	s_delay_alu instid0(VALU_DEP_1) | instskip(NEXT) | instid1(VALU_DEP_1)
	v_mul_f32_e64 v5, 0x2f800000, |v3|
	v_floor_f32_e32 v5, v5
	s_delay_alu instid0(VALU_DEP_1) | instskip(SKIP_1) | instid1(VALU_DEP_2)
	v_fma_f32 v5, 0xcf800000, v5, |v3|
	v_ashrrev_i32_e32 v3, 31, v3
	v_cvt_u32_f32_e32 v5, v5
	s_delay_alu instid0(VALU_DEP_1) | instskip(NEXT) | instid1(VALU_DEP_1)
	v_xor_b32_e32 v5, v5, v3
	v_sub_nc_u32_e32 v3, v5, v3
	global_store_b8 v[10:11], v3, off
.LBB73_2904:
	s_mov_b32 s2, -1
.LBB73_2905:
	s_delay_alu instid0(SALU_CYCLE_1)
	s_and_not1_b32 vcc_lo, exec_lo, s2
	s_cbranch_vccnz .LBB73_3263
; %bb.2906:
	v_cmp_gt_i16_e32 vcc_lo, 11, v12
	v_add_co_u32 v2, s0, s4, v2
	s_delay_alu instid0(VALU_DEP_1)
	v_add_co_ci_u32_e64 v3, null, s5, 0, s0
	s_mov_b32 s2, 0
	s_mov_b32 s0, -1
	s_cbranch_vccnz .LBB73_2984
; %bb.2907:
	v_cmp_lt_i16_e32 vcc_lo, 25, v12
	s_mov_b32 s3, -1
	s_mov_b32 s1, 0
	s_mov_b32 s0, 0
	s_cbranch_vccz .LBB73_2940
; %bb.2908:
	v_cmp_lt_i16_e32 vcc_lo, 28, v12
	s_cbranch_vccz .LBB73_2923
; %bb.2909:
	v_cmp_lt_i16_e32 vcc_lo, 43, v12
	;; [unrolled: 3-line block ×3, first 2 shown]
	s_cbranch_vccz .LBB73_2913
; %bb.2911:
	v_cmp_eq_u16_e32 vcc_lo, 46, v12
	s_mov_b32 s0, -1
	s_mov_b32 s3, 0
	s_cbranch_vccz .LBB73_2913
; %bb.2912:
	v_bfe_u32 v5, v7, 16, 1
	v_cmp_o_f32_e32 vcc_lo, v7, v7
	s_mov_b32 s0, 0
	s_mov_b32 s2, -1
	s_delay_alu instid0(VALU_DEP_2) | instskip(NEXT) | instid1(VALU_DEP_1)
	v_add3_u32 v5, v7, v5, 0x7fff
	v_lshrrev_b32_e32 v5, 16, v5
	s_delay_alu instid0(VALU_DEP_1)
	v_cndmask_b32_e32 v5, 0x7fc0, v5, vcc_lo
	global_store_b32 v[2:3], v5, off
.LBB73_2913:
	s_and_b32 vcc_lo, exec_lo, s3
	s_cbranch_vccz .LBB73_2918
; %bb.2914:
	v_cmp_eq_u16_e32 vcc_lo, 44, v12
	s_mov_b32 s0, -1
	s_cbranch_vccz .LBB73_2918
; %bb.2915:
	v_bfe_u32 v6, v7, 23, 8
	v_mov_b32_e32 v5, 0xff
	s_mov_b32 s2, exec_lo
	s_delay_alu instid0(VALU_DEP_2)
	v_cmpx_ne_u32_e32 0xff, v6
; %bb.2916:
	v_and_b32_e32 v5, 0x400000, v7
	v_and_or_b32 v6, 0x3fffff, v7, v6
	s_delay_alu instid0(VALU_DEP_2) | instskip(NEXT) | instid1(VALU_DEP_2)
	v_cmp_ne_u32_e32 vcc_lo, 0, v5
	v_cmp_ne_u32_e64 s0, 0, v6
	v_lshrrev_b32_e32 v5, 23, v7
	s_delay_alu instid0(VALU_DEP_2) | instskip(NEXT) | instid1(SALU_CYCLE_1)
	s_and_b32 s0, vcc_lo, s0
	v_cndmask_b32_e64 v6, 0, 1, s0
	s_delay_alu instid0(VALU_DEP_1)
	v_add_nc_u32_e32 v5, v5, v6
; %bb.2917:
	s_or_b32 exec_lo, exec_lo, s2
	s_mov_b32 s0, 0
	s_mov_b32 s2, -1
	global_store_b8 v[2:3], v5, off
.LBB73_2918:
	s_mov_b32 s3, 0
.LBB73_2919:
	s_delay_alu instid0(SALU_CYCLE_1)
	s_and_b32 vcc_lo, exec_lo, s3
	s_cbranch_vccz .LBB73_2922
; %bb.2920:
	v_cmp_eq_u16_e32 vcc_lo, 29, v12
	s_mov_b32 s0, -1
	s_cbranch_vccz .LBB73_2922
; %bb.2921:
	v_trunc_f32_e32 v5, v7
	s_mov_b32 s0, 0
	s_mov_b32 s2, -1
	s_delay_alu instid0(VALU_DEP_1) | instskip(NEXT) | instid1(VALU_DEP_1)
	v_mul_f32_e32 v6, 0x2f800000, v5
	v_floor_f32_e32 v6, v6
	s_delay_alu instid0(VALU_DEP_1) | instskip(SKIP_1) | instid1(VALU_DEP_2)
	v_fmamk_f32 v5, v6, 0xcf800000, v5
	v_cvt_u32_f32_e32 v6, v6
	v_cvt_u32_f32_e32 v5, v5
	global_store_b64 v[2:3], v[5:6], off
.LBB73_2922:
	s_mov_b32 s3, 0
.LBB73_2923:
	s_delay_alu instid0(SALU_CYCLE_1)
	s_and_b32 vcc_lo, exec_lo, s3
	s_cbranch_vccz .LBB73_2939
; %bb.2924:
	v_cmp_gt_i16_e32 vcc_lo, 27, v12
	s_mov_b32 s2, -1
	s_cbranch_vccnz .LBB73_2930
; %bb.2925:
	v_cmp_lt_i16_e32 vcc_lo, 27, v12
	v_cvt_u32_f32_e32 v5, v7
	s_cbranch_vccz .LBB73_2927
; %bb.2926:
	s_mov_b32 s2, 0
	global_store_b32 v[2:3], v5, off
.LBB73_2927:
	s_and_not1_b32 vcc_lo, exec_lo, s2
	s_cbranch_vccnz .LBB73_2929
; %bb.2928:
	global_store_b16 v[2:3], v5, off
.LBB73_2929:
	s_mov_b32 s2, 0
.LBB73_2930:
	s_delay_alu instid0(SALU_CYCLE_1)
	s_and_not1_b32 vcc_lo, exec_lo, s2
	s_cbranch_vccnz .LBB73_2938
; %bb.2931:
	v_and_b32_e32 v5, 0x7fffffff, v7
	v_mov_b32_e32 v6, 0x80
	s_mov_b32 s2, exec_lo
	s_delay_alu instid0(VALU_DEP_2)
	v_cmpx_gt_u32_e32 0x43800000, v5
	s_cbranch_execz .LBB73_2937
; %bb.2932:
	v_cmp_lt_u32_e32 vcc_lo, 0x3bffffff, v5
	s_mov_b32 s3, 0
                                        ; implicit-def: $vgpr5
	s_and_saveexec_b32 s6, vcc_lo
	s_delay_alu instid0(SALU_CYCLE_1)
	s_xor_b32 s6, exec_lo, s6
	s_cbranch_execz .LBB73_3274
; %bb.2933:
	v_bfe_u32 v5, v7, 20, 1
	s_mov_b32 s3, exec_lo
	s_delay_alu instid0(VALU_DEP_1) | instskip(NEXT) | instid1(VALU_DEP_1)
	v_add3_u32 v5, v7, v5, 0x487ffff
	v_lshrrev_b32_e32 v5, 20, v5
	s_or_saveexec_b32 s6, s6
                                        ; implicit-def: $sgpr7
	s_delay_alu instid0(SALU_CYCLE_1)
	s_xor_b32 exec_lo, exec_lo, s6
	s_cbranch_execnz .LBB73_3275
.LBB73_2934:
	s_or_b32 exec_lo, exec_lo, s6
	v_mov_b32_e32 v6, s7
	s_and_saveexec_b32 s6, s3
.LBB73_2935:
	v_lshrrev_b32_e32 v6, 24, v7
	s_delay_alu instid0(VALU_DEP_1)
	v_and_or_b32 v6, 0x80, v6, v5
.LBB73_2936:
	s_or_b32 exec_lo, exec_lo, s6
.LBB73_2937:
	s_delay_alu instid0(SALU_CYCLE_1)
	s_or_b32 exec_lo, exec_lo, s2
	global_store_b8 v[2:3], v6, off
.LBB73_2938:
	s_mov_b32 s2, -1
.LBB73_2939:
	s_mov_b32 s3, 0
.LBB73_2940:
	s_delay_alu instid0(SALU_CYCLE_1)
	s_and_b32 vcc_lo, exec_lo, s3
	s_cbranch_vccz .LBB73_2980
; %bb.2941:
	v_cmp_lt_i16_e32 vcc_lo, 22, v12
	s_mov_b32 s1, -1
	s_cbranch_vccz .LBB73_2973
; %bb.2942:
	v_cmp_gt_i16_e32 vcc_lo, 24, v12
	s_cbranch_vccnz .LBB73_2962
; %bb.2943:
	v_cmp_lt_i16_e32 vcc_lo, 24, v12
	s_cbranch_vccz .LBB73_2951
; %bb.2944:
	v_and_b32_e32 v5, 0x7fffffff, v7
	v_mov_b32_e32 v6, 0x80
	s_mov_b32 s1, exec_lo
	s_delay_alu instid0(VALU_DEP_2)
	v_cmpx_gt_u32_e32 0x47800000, v5
	s_cbranch_execz .LBB73_2950
; %bb.2945:
	v_cmp_lt_u32_e32 vcc_lo, 0x37ffffff, v5
	s_mov_b32 s2, 0
                                        ; implicit-def: $vgpr5
	s_and_saveexec_b32 s3, vcc_lo
	s_delay_alu instid0(SALU_CYCLE_1)
	s_xor_b32 s3, exec_lo, s3
	s_cbranch_execz .LBB73_3280
; %bb.2946:
	v_bfe_u32 v5, v7, 21, 1
	s_mov_b32 s2, exec_lo
	s_delay_alu instid0(VALU_DEP_1) | instskip(NEXT) | instid1(VALU_DEP_1)
	v_add3_u32 v5, v7, v5, 0x88fffff
	v_lshrrev_b32_e32 v5, 21, v5
	s_or_saveexec_b32 s3, s3
                                        ; implicit-def: $sgpr6
	s_delay_alu instid0(SALU_CYCLE_1)
	s_xor_b32 exec_lo, exec_lo, s3
	s_cbranch_execnz .LBB73_3281
.LBB73_2947:
	s_or_b32 exec_lo, exec_lo, s3
	v_mov_b32_e32 v6, s6
	s_and_saveexec_b32 s3, s2
.LBB73_2948:
	v_lshrrev_b32_e32 v6, 24, v7
	s_delay_alu instid0(VALU_DEP_1)
	v_and_or_b32 v6, 0x80, v6, v5
.LBB73_2949:
	s_or_b32 exec_lo, exec_lo, s3
.LBB73_2950:
	s_delay_alu instid0(SALU_CYCLE_1)
	s_or_b32 exec_lo, exec_lo, s1
	s_mov_b32 s1, 0
	global_store_b8 v[2:3], v6, off
.LBB73_2951:
	s_and_b32 vcc_lo, exec_lo, s1
	s_cbranch_vccz .LBB73_2961
; %bb.2952:
	v_and_b32_e32 v6, 0x7fffffff, v7
	s_mov_b32 s1, exec_lo
                                        ; implicit-def: $vgpr5
	s_delay_alu instid0(VALU_DEP_1)
	v_cmpx_gt_u32_e32 0x43f00000, v6
	s_xor_b32 s1, exec_lo, s1
	s_cbranch_execz .LBB73_2958
; %bb.2953:
	s_mov_b32 s2, exec_lo
                                        ; implicit-def: $vgpr5
	v_cmpx_lt_u32_e32 0x3c7fffff, v6
	s_xor_b32 s2, exec_lo, s2
; %bb.2954:
	v_bfe_u32 v5, v7, 20, 1
	s_delay_alu instid0(VALU_DEP_1) | instskip(NEXT) | instid1(VALU_DEP_1)
	v_add3_u32 v5, v7, v5, 0x407ffff
	v_and_b32_e32 v6, 0xff00000, v5
	v_lshrrev_b32_e32 v5, 20, v5
	s_delay_alu instid0(VALU_DEP_2) | instskip(NEXT) | instid1(VALU_DEP_2)
	v_cmp_ne_u32_e32 vcc_lo, 0x7f00000, v6
	v_cndmask_b32_e32 v5, 0x7e, v5, vcc_lo
; %bb.2955:
	s_and_not1_saveexec_b32 s2, s2
; %bb.2956:
	v_add_f32_e64 v5, 0x46800000, |v7|
; %bb.2957:
	s_or_b32 exec_lo, exec_lo, s2
                                        ; implicit-def: $vgpr6
.LBB73_2958:
	s_and_not1_saveexec_b32 s1, s1
; %bb.2959:
	v_mov_b32_e32 v5, 0x7f
	v_cmp_lt_u32_e32 vcc_lo, 0x7f800000, v6
	s_delay_alu instid0(VALU_DEP_2)
	v_cndmask_b32_e32 v5, 0x7e, v5, vcc_lo
; %bb.2960:
	s_or_b32 exec_lo, exec_lo, s1
	v_lshrrev_b32_e32 v6, 24, v7
	s_delay_alu instid0(VALU_DEP_1)
	v_and_or_b32 v5, 0x80, v6, v5
	global_store_b8 v[2:3], v5, off
.LBB73_2961:
	s_mov_b32 s1, 0
.LBB73_2962:
	s_delay_alu instid0(SALU_CYCLE_1)
	s_and_not1_b32 vcc_lo, exec_lo, s1
	s_cbranch_vccnz .LBB73_2972
; %bb.2963:
	v_and_b32_e32 v6, 0x7fffffff, v7
	s_mov_b32 s1, exec_lo
                                        ; implicit-def: $vgpr5
	s_delay_alu instid0(VALU_DEP_1)
	v_cmpx_gt_u32_e32 0x47800000, v6
	s_xor_b32 s1, exec_lo, s1
	s_cbranch_execz .LBB73_2969
; %bb.2964:
	s_mov_b32 s2, exec_lo
                                        ; implicit-def: $vgpr5
	v_cmpx_lt_u32_e32 0x387fffff, v6
	s_xor_b32 s2, exec_lo, s2
; %bb.2965:
	v_bfe_u32 v5, v7, 21, 1
	s_delay_alu instid0(VALU_DEP_1) | instskip(NEXT) | instid1(VALU_DEP_1)
	v_add3_u32 v5, v7, v5, 0x80fffff
	v_lshrrev_b32_e32 v5, 21, v5
; %bb.2966:
	s_and_not1_saveexec_b32 s2, s2
; %bb.2967:
	v_add_f32_e64 v5, 0x43000000, |v7|
; %bb.2968:
	s_or_b32 exec_lo, exec_lo, s2
                                        ; implicit-def: $vgpr6
.LBB73_2969:
	s_and_not1_saveexec_b32 s1, s1
; %bb.2970:
	v_mov_b32_e32 v5, 0x7f
	v_cmp_lt_u32_e32 vcc_lo, 0x7f800000, v6
	s_delay_alu instid0(VALU_DEP_2)
	v_cndmask_b32_e32 v5, 0x7c, v5, vcc_lo
; %bb.2971:
	s_or_b32 exec_lo, exec_lo, s1
	v_lshrrev_b32_e32 v6, 24, v7
	s_delay_alu instid0(VALU_DEP_1)
	v_and_or_b32 v5, 0x80, v6, v5
	global_store_b8 v[2:3], v5, off
.LBB73_2972:
	s_mov_b32 s1, 0
	s_mov_b32 s2, -1
.LBB73_2973:
	s_and_not1_b32 vcc_lo, exec_lo, s1
	s_mov_b32 s1, 0
	s_cbranch_vccnz .LBB73_2980
; %bb.2974:
	v_cmp_lt_i16_e32 vcc_lo, 14, v12
	s_mov_b32 s1, -1
	s_cbranch_vccz .LBB73_2978
; %bb.2975:
	v_cmp_eq_u16_e32 vcc_lo, 15, v12
	s_mov_b32 s0, -1
	s_cbranch_vccz .LBB73_2977
; %bb.2976:
	v_bfe_u32 v5, v7, 16, 1
	v_cmp_o_f32_e32 vcc_lo, v7, v7
	s_mov_b32 s0, 0
	s_mov_b32 s2, -1
	s_delay_alu instid0(VALU_DEP_2) | instskip(NEXT) | instid1(VALU_DEP_1)
	v_add3_u32 v5, v7, v5, 0x7fff
	v_lshrrev_b32_e32 v5, 16, v5
	s_delay_alu instid0(VALU_DEP_1)
	v_cndmask_b32_e32 v5, 0x7fc0, v5, vcc_lo
	global_store_b16 v[2:3], v5, off
.LBB73_2977:
	s_mov_b32 s1, 0
.LBB73_2978:
	s_delay_alu instid0(SALU_CYCLE_1)
	s_and_b32 vcc_lo, exec_lo, s1
	s_mov_b32 s1, 0
	s_cbranch_vccz .LBB73_2980
; %bb.2979:
	v_cmp_ne_u16_e64 s0, 11, v12
	s_mov_b32 s1, -1
.LBB73_2980:
	s_delay_alu instid0(VALU_DEP_1)
	s_and_b32 vcc_lo, exec_lo, s0
	s_cbranch_vccnz .LBB73_3278
; %bb.2981:
	s_and_not1_b32 vcc_lo, exec_lo, s1
	s_cbranch_vccnz .LBB73_2983
.LBB73_2982:
	v_cmp_neq_f32_e32 vcc_lo, 0, v7
	s_mov_b32 s2, -1
	v_cndmask_b32_e64 v5, 0, 1, vcc_lo
	global_store_b8 v[2:3], v5, off
.LBB73_2983:
	s_mov_b32 s0, 0
.LBB73_2984:
	s_delay_alu instid0(SALU_CYCLE_1)
	s_and_b32 vcc_lo, exec_lo, s0
	s_cbranch_vccz .LBB73_3023
; %bb.2985:
	v_cmp_gt_i16_e32 vcc_lo, 5, v12
	s_mov_b32 s0, -1
	s_cbranch_vccnz .LBB73_3006
; %bb.2986:
	v_cmp_gt_i16_e32 vcc_lo, 8, v12
	s_cbranch_vccnz .LBB73_2996
; %bb.2987:
	v_cmp_gt_i16_e32 vcc_lo, 9, v12
	s_cbranch_vccnz .LBB73_2993
; %bb.2988:
	v_cmp_lt_i16_e32 vcc_lo, 9, v12
	s_cbranch_vccz .LBB73_2990
; %bb.2989:
	v_cvt_f64_f32_e32 v[13:14], v7
	v_mov_b32_e32 v15, 0
	s_mov_b32 s0, 0
	s_delay_alu instid0(VALU_DEP_1)
	v_mov_b32_e32 v16, v15
	global_store_b128 v[2:3], v[13:16], off
.LBB73_2990:
	s_and_not1_b32 vcc_lo, exec_lo, s0
	s_cbranch_vccnz .LBB73_2992
; %bb.2991:
	v_mov_b32_e32 v8, 0
	global_store_b64 v[2:3], v[7:8], off
.LBB73_2992:
	s_mov_b32 s0, 0
.LBB73_2993:
	s_delay_alu instid0(SALU_CYCLE_1)
	s_and_not1_b32 vcc_lo, exec_lo, s0
	s_cbranch_vccnz .LBB73_2995
; %bb.2994:
	v_cvt_f16_f32_e32 v5, v7
	s_delay_alu instid0(VALU_DEP_1)
	v_and_b32_e32 v5, 0xffff, v5
	global_store_b32 v[2:3], v5, off
.LBB73_2995:
	s_mov_b32 s0, 0
.LBB73_2996:
	s_delay_alu instid0(SALU_CYCLE_1)
	s_and_not1_b32 vcc_lo, exec_lo, s0
	s_cbranch_vccnz .LBB73_3005
; %bb.2997:
	v_cmp_gt_i16_e32 vcc_lo, 6, v12
	s_mov_b32 s0, -1
	s_cbranch_vccnz .LBB73_3003
; %bb.2998:
	v_cmp_lt_i16_e32 vcc_lo, 6, v12
	s_cbranch_vccz .LBB73_3000
; %bb.2999:
	v_cvt_f64_f32_e32 v[5:6], v7
	s_mov_b32 s0, 0
	global_store_b64 v[2:3], v[5:6], off
.LBB73_3000:
	s_and_not1_b32 vcc_lo, exec_lo, s0
	s_cbranch_vccnz .LBB73_3002
; %bb.3001:
	global_store_b32 v[2:3], v7, off
.LBB73_3002:
	s_mov_b32 s0, 0
.LBB73_3003:
	s_delay_alu instid0(SALU_CYCLE_1)
	s_and_not1_b32 vcc_lo, exec_lo, s0
	s_cbranch_vccnz .LBB73_3005
; %bb.3004:
	v_cvt_f16_f32_e32 v5, v7
	global_store_b16 v[2:3], v5, off
.LBB73_3005:
	s_mov_b32 s0, 0
.LBB73_3006:
	s_delay_alu instid0(SALU_CYCLE_1)
	s_and_not1_b32 vcc_lo, exec_lo, s0
	s_cbranch_vccnz .LBB73_3022
; %bb.3007:
	v_cmp_gt_i16_e32 vcc_lo, 2, v12
	s_mov_b32 s0, -1
	s_cbranch_vccnz .LBB73_3017
; %bb.3008:
	v_cmp_gt_i16_e32 vcc_lo, 3, v12
	s_cbranch_vccnz .LBB73_3014
; %bb.3009:
	v_cmp_lt_i16_e32 vcc_lo, 3, v12
	s_cbranch_vccz .LBB73_3011
; %bb.3010:
	v_trunc_f32_e32 v5, v7
	s_mov_b32 s0, 0
	s_delay_alu instid0(VALU_DEP_1) | instskip(SKIP_1) | instid1(VALU_DEP_2)
	v_mul_f32_e64 v6, 0x2f800000, |v5|
	v_ashrrev_i32_e32 v10, 31, v5
	v_floor_f32_e32 v6, v6
	s_delay_alu instid0(VALU_DEP_1) | instskip(SKIP_1) | instid1(VALU_DEP_2)
	v_fma_f32 v8, 0xcf800000, v6, |v5|
	v_cvt_u32_f32_e32 v6, v6
	v_cvt_u32_f32_e32 v5, v8
	s_delay_alu instid0(VALU_DEP_2) | instskip(NEXT) | instid1(VALU_DEP_2)
	v_xor_b32_e32 v6, v6, v10
	v_xor_b32_e32 v5, v5, v10
	s_delay_alu instid0(VALU_DEP_1) | instskip(NEXT) | instid1(VALU_DEP_3)
	v_sub_co_u32 v5, vcc_lo, v5, v10
	v_sub_co_ci_u32_e32 v6, vcc_lo, v6, v10, vcc_lo
	global_store_b64 v[2:3], v[5:6], off
.LBB73_3011:
	s_and_not1_b32 vcc_lo, exec_lo, s0
	s_cbranch_vccnz .LBB73_3013
; %bb.3012:
	v_cvt_i32_f32_e32 v5, v7
	global_store_b32 v[2:3], v5, off
.LBB73_3013:
	s_mov_b32 s0, 0
.LBB73_3014:
	s_delay_alu instid0(SALU_CYCLE_1)
	s_and_not1_b32 vcc_lo, exec_lo, s0
	s_cbranch_vccnz .LBB73_3016
; %bb.3015:
	v_cvt_i32_f32_e32 v5, v7
	global_store_b16 v[2:3], v5, off
.LBB73_3016:
	s_mov_b32 s0, 0
.LBB73_3017:
	s_delay_alu instid0(SALU_CYCLE_1)
	s_and_not1_b32 vcc_lo, exec_lo, s0
	s_cbranch_vccnz .LBB73_3022
; %bb.3018:
	v_cmp_lt_i16_e32 vcc_lo, 0, v12
	s_mov_b32 s0, -1
	s_cbranch_vccz .LBB73_3020
; %bb.3019:
	v_cvt_i32_f32_e32 v5, v7
	s_mov_b32 s0, 0
	global_store_b8 v[2:3], v5, off
.LBB73_3020:
	s_and_not1_b32 vcc_lo, exec_lo, s0
	s_cbranch_vccnz .LBB73_3022
; %bb.3021:
	v_trunc_f32_e32 v5, v7
	s_delay_alu instid0(VALU_DEP_1) | instskip(NEXT) | instid1(VALU_DEP_1)
	v_mul_f32_e64 v6, 0x2f800000, |v5|
	v_floor_f32_e32 v6, v6
	s_delay_alu instid0(VALU_DEP_1) | instskip(SKIP_1) | instid1(VALU_DEP_2)
	v_fma_f32 v6, 0xcf800000, v6, |v5|
	v_ashrrev_i32_e32 v5, 31, v5
	v_cvt_u32_f32_e32 v6, v6
	s_delay_alu instid0(VALU_DEP_1) | instskip(NEXT) | instid1(VALU_DEP_1)
	v_xor_b32_e32 v6, v6, v5
	v_sub_nc_u32_e32 v5, v6, v5
	global_store_b8 v[2:3], v5, off
.LBB73_3022:
	s_mov_b32 s2, -1
.LBB73_3023:
	s_delay_alu instid0(SALU_CYCLE_1)
	s_and_not1_b32 vcc_lo, exec_lo, s2
	s_cbranch_vccnz .LBB73_3263
; %bb.3024:
	v_cmp_gt_i16_e32 vcc_lo, 11, v12
	v_add_co_u32 v1, s0, s4, v1
	s_delay_alu instid0(VALU_DEP_1)
	v_add_co_ci_u32_e64 v2, null, s5, 0, s0
	s_mov_b32 s2, 0
	s_mov_b32 s0, -1
	s_cbranch_vccnz .LBB73_3102
; %bb.3025:
	v_cmp_lt_i16_e32 vcc_lo, 25, v12
	s_mov_b32 s3, -1
	s_mov_b32 s1, 0
	s_mov_b32 s0, 0
	s_cbranch_vccz .LBB73_3058
; %bb.3026:
	v_cmp_lt_i16_e32 vcc_lo, 28, v12
	s_cbranch_vccz .LBB73_3041
; %bb.3027:
	v_cmp_lt_i16_e32 vcc_lo, 43, v12
	;; [unrolled: 3-line block ×3, first 2 shown]
	s_cbranch_vccz .LBB73_3031
; %bb.3029:
	v_cmp_eq_u16_e32 vcc_lo, 46, v12
	s_mov_b32 s0, -1
	s_mov_b32 s3, 0
	s_cbranch_vccz .LBB73_3031
; %bb.3030:
	v_bfe_u32 v3, v9, 16, 1
	v_cmp_o_f32_e32 vcc_lo, v9, v9
	s_mov_b32 s0, 0
	s_mov_b32 s2, -1
	s_delay_alu instid0(VALU_DEP_2) | instskip(NEXT) | instid1(VALU_DEP_1)
	v_add3_u32 v3, v9, v3, 0x7fff
	v_lshrrev_b32_e32 v3, 16, v3
	s_delay_alu instid0(VALU_DEP_1)
	v_cndmask_b32_e32 v3, 0x7fc0, v3, vcc_lo
	global_store_b32 v[1:2], v3, off
.LBB73_3031:
	s_and_b32 vcc_lo, exec_lo, s3
	s_cbranch_vccz .LBB73_3036
; %bb.3032:
	v_cmp_eq_u16_e32 vcc_lo, 44, v12
	s_mov_b32 s0, -1
	s_cbranch_vccz .LBB73_3036
; %bb.3033:
	v_bfe_u32 v5, v9, 23, 8
	v_mov_b32_e32 v3, 0xff
	s_mov_b32 s2, exec_lo
	s_delay_alu instid0(VALU_DEP_2)
	v_cmpx_ne_u32_e32 0xff, v5
; %bb.3034:
	v_and_b32_e32 v3, 0x400000, v9
	v_and_or_b32 v5, 0x3fffff, v9, v5
	s_delay_alu instid0(VALU_DEP_2) | instskip(NEXT) | instid1(VALU_DEP_2)
	v_cmp_ne_u32_e32 vcc_lo, 0, v3
	v_cmp_ne_u32_e64 s0, 0, v5
	v_lshrrev_b32_e32 v3, 23, v9
	s_delay_alu instid0(VALU_DEP_2) | instskip(NEXT) | instid1(SALU_CYCLE_1)
	s_and_b32 s0, vcc_lo, s0
	v_cndmask_b32_e64 v5, 0, 1, s0
	s_delay_alu instid0(VALU_DEP_1)
	v_add_nc_u32_e32 v3, v3, v5
; %bb.3035:
	s_or_b32 exec_lo, exec_lo, s2
	s_mov_b32 s0, 0
	s_mov_b32 s2, -1
	global_store_b8 v[1:2], v3, off
.LBB73_3036:
	s_mov_b32 s3, 0
.LBB73_3037:
	s_delay_alu instid0(SALU_CYCLE_1)
	s_and_b32 vcc_lo, exec_lo, s3
	s_cbranch_vccz .LBB73_3040
; %bb.3038:
	v_cmp_eq_u16_e32 vcc_lo, 29, v12
	s_mov_b32 s0, -1
	s_cbranch_vccz .LBB73_3040
; %bb.3039:
	v_trunc_f32_e32 v3, v9
	s_mov_b32 s0, 0
	s_mov_b32 s2, -1
	s_delay_alu instid0(VALU_DEP_1) | instskip(NEXT) | instid1(VALU_DEP_1)
	v_mul_f32_e32 v5, 0x2f800000, v3
	v_floor_f32_e32 v5, v5
	s_delay_alu instid0(VALU_DEP_1) | instskip(SKIP_1) | instid1(VALU_DEP_2)
	v_fmamk_f32 v3, v5, 0xcf800000, v3
	v_cvt_u32_f32_e32 v6, v5
	v_cvt_u32_f32_e32 v5, v3
	global_store_b64 v[1:2], v[5:6], off
.LBB73_3040:
	s_mov_b32 s3, 0
.LBB73_3041:
	s_delay_alu instid0(SALU_CYCLE_1)
	s_and_b32 vcc_lo, exec_lo, s3
	s_cbranch_vccz .LBB73_3057
; %bb.3042:
	v_cmp_gt_i16_e32 vcc_lo, 27, v12
	s_mov_b32 s2, -1
	s_cbranch_vccnz .LBB73_3048
; %bb.3043:
	v_cmp_lt_i16_e32 vcc_lo, 27, v12
	s_cbranch_vccz .LBB73_3045
; %bb.3044:
	v_cvt_u32_f32_e32 v3, v9
	s_mov_b32 s2, 0
	global_store_b32 v[1:2], v3, off
.LBB73_3045:
	s_and_not1_b32 vcc_lo, exec_lo, s2
	s_cbranch_vccnz .LBB73_3047
; %bb.3046:
	v_cvt_u32_f32_e32 v3, v9
	global_store_b16 v[1:2], v3, off
.LBB73_3047:
	s_mov_b32 s2, 0
.LBB73_3048:
	s_delay_alu instid0(SALU_CYCLE_1)
	s_and_not1_b32 vcc_lo, exec_lo, s2
	s_cbranch_vccnz .LBB73_3056
; %bb.3049:
	v_and_b32_e32 v3, 0x7fffffff, v9
	v_mov_b32_e32 v5, 0x80
	s_mov_b32 s2, exec_lo
	s_delay_alu instid0(VALU_DEP_2)
	v_cmpx_gt_u32_e32 0x43800000, v3
	s_cbranch_execz .LBB73_3055
; %bb.3050:
	v_cmp_lt_u32_e32 vcc_lo, 0x3bffffff, v3
	s_mov_b32 s3, 0
                                        ; implicit-def: $vgpr3
	s_and_saveexec_b32 s6, vcc_lo
	s_delay_alu instid0(SALU_CYCLE_1)
	s_xor_b32 s6, exec_lo, s6
	s_cbranch_execz .LBB73_3282
; %bb.3051:
	v_bfe_u32 v3, v9, 20, 1
	s_mov_b32 s3, exec_lo
	s_delay_alu instid0(VALU_DEP_1) | instskip(NEXT) | instid1(VALU_DEP_1)
	v_add3_u32 v3, v9, v3, 0x487ffff
	v_lshrrev_b32_e32 v3, 20, v3
	s_or_saveexec_b32 s6, s6
                                        ; implicit-def: $sgpr7
	s_delay_alu instid0(SALU_CYCLE_1)
	s_xor_b32 exec_lo, exec_lo, s6
	s_cbranch_execnz .LBB73_3283
.LBB73_3052:
	s_or_b32 exec_lo, exec_lo, s6
	v_mov_b32_e32 v5, s7
	s_and_saveexec_b32 s6, s3
.LBB73_3053:
	v_lshrrev_b32_e32 v5, 24, v9
	s_delay_alu instid0(VALU_DEP_1)
	v_and_or_b32 v5, 0x80, v5, v3
.LBB73_3054:
	s_or_b32 exec_lo, exec_lo, s6
.LBB73_3055:
	s_delay_alu instid0(SALU_CYCLE_1)
	s_or_b32 exec_lo, exec_lo, s2
	global_store_b8 v[1:2], v5, off
.LBB73_3056:
	s_mov_b32 s2, -1
.LBB73_3057:
	s_mov_b32 s3, 0
.LBB73_3058:
	s_delay_alu instid0(SALU_CYCLE_1)
	s_and_b32 vcc_lo, exec_lo, s3
	s_cbranch_vccz .LBB73_3098
; %bb.3059:
	v_cmp_lt_i16_e32 vcc_lo, 22, v12
	s_mov_b32 s1, -1
	s_cbranch_vccz .LBB73_3091
; %bb.3060:
	v_cmp_gt_i16_e32 vcc_lo, 24, v12
	s_cbranch_vccnz .LBB73_3080
; %bb.3061:
	v_cmp_lt_i16_e32 vcc_lo, 24, v12
	s_cbranch_vccz .LBB73_3069
; %bb.3062:
	v_and_b32_e32 v3, 0x7fffffff, v9
	v_mov_b32_e32 v5, 0x80
	s_mov_b32 s1, exec_lo
	s_delay_alu instid0(VALU_DEP_2)
	v_cmpx_gt_u32_e32 0x47800000, v3
	s_cbranch_execz .LBB73_3068
; %bb.3063:
	v_cmp_lt_u32_e32 vcc_lo, 0x37ffffff, v3
	s_mov_b32 s2, 0
                                        ; implicit-def: $vgpr3
	s_and_saveexec_b32 s3, vcc_lo
	s_delay_alu instid0(SALU_CYCLE_1)
	s_xor_b32 s3, exec_lo, s3
	s_cbranch_execz .LBB73_3288
; %bb.3064:
	v_bfe_u32 v3, v9, 21, 1
	s_mov_b32 s2, exec_lo
	s_delay_alu instid0(VALU_DEP_1) | instskip(NEXT) | instid1(VALU_DEP_1)
	v_add3_u32 v3, v9, v3, 0x88fffff
	v_lshrrev_b32_e32 v3, 21, v3
	s_or_saveexec_b32 s3, s3
                                        ; implicit-def: $sgpr6
	s_delay_alu instid0(SALU_CYCLE_1)
	s_xor_b32 exec_lo, exec_lo, s3
	s_cbranch_execnz .LBB73_3289
.LBB73_3065:
	s_or_b32 exec_lo, exec_lo, s3
	v_mov_b32_e32 v5, s6
	s_and_saveexec_b32 s3, s2
.LBB73_3066:
	v_lshrrev_b32_e32 v5, 24, v9
	s_delay_alu instid0(VALU_DEP_1)
	v_and_or_b32 v5, 0x80, v5, v3
.LBB73_3067:
	s_or_b32 exec_lo, exec_lo, s3
.LBB73_3068:
	s_delay_alu instid0(SALU_CYCLE_1)
	s_or_b32 exec_lo, exec_lo, s1
	s_mov_b32 s1, 0
	global_store_b8 v[1:2], v5, off
.LBB73_3069:
	s_and_b32 vcc_lo, exec_lo, s1
	s_cbranch_vccz .LBB73_3079
; %bb.3070:
	v_and_b32_e32 v5, 0x7fffffff, v9
	s_mov_b32 s1, exec_lo
                                        ; implicit-def: $vgpr3
	s_delay_alu instid0(VALU_DEP_1)
	v_cmpx_gt_u32_e32 0x43f00000, v5
	s_xor_b32 s1, exec_lo, s1
	s_cbranch_execz .LBB73_3076
; %bb.3071:
	s_mov_b32 s2, exec_lo
                                        ; implicit-def: $vgpr3
	v_cmpx_lt_u32_e32 0x3c7fffff, v5
	s_xor_b32 s2, exec_lo, s2
; %bb.3072:
	v_bfe_u32 v3, v9, 20, 1
	s_delay_alu instid0(VALU_DEP_1) | instskip(NEXT) | instid1(VALU_DEP_1)
	v_add3_u32 v3, v9, v3, 0x407ffff
	v_and_b32_e32 v5, 0xff00000, v3
	v_lshrrev_b32_e32 v3, 20, v3
	s_delay_alu instid0(VALU_DEP_2) | instskip(NEXT) | instid1(VALU_DEP_2)
	v_cmp_ne_u32_e32 vcc_lo, 0x7f00000, v5
	v_cndmask_b32_e32 v3, 0x7e, v3, vcc_lo
; %bb.3073:
	s_and_not1_saveexec_b32 s2, s2
; %bb.3074:
	v_add_f32_e64 v3, 0x46800000, |v9|
; %bb.3075:
	s_or_b32 exec_lo, exec_lo, s2
                                        ; implicit-def: $vgpr5
.LBB73_3076:
	s_and_not1_saveexec_b32 s1, s1
; %bb.3077:
	v_mov_b32_e32 v3, 0x7f
	v_cmp_lt_u32_e32 vcc_lo, 0x7f800000, v5
	s_delay_alu instid0(VALU_DEP_2)
	v_cndmask_b32_e32 v3, 0x7e, v3, vcc_lo
; %bb.3078:
	s_or_b32 exec_lo, exec_lo, s1
	v_lshrrev_b32_e32 v5, 24, v9
	s_delay_alu instid0(VALU_DEP_1)
	v_and_or_b32 v3, 0x80, v5, v3
	global_store_b8 v[1:2], v3, off
.LBB73_3079:
	s_mov_b32 s1, 0
.LBB73_3080:
	s_delay_alu instid0(SALU_CYCLE_1)
	s_and_not1_b32 vcc_lo, exec_lo, s1
	s_cbranch_vccnz .LBB73_3090
; %bb.3081:
	v_and_b32_e32 v5, 0x7fffffff, v9
	s_mov_b32 s1, exec_lo
                                        ; implicit-def: $vgpr3
	s_delay_alu instid0(VALU_DEP_1)
	v_cmpx_gt_u32_e32 0x47800000, v5
	s_xor_b32 s1, exec_lo, s1
	s_cbranch_execz .LBB73_3087
; %bb.3082:
	s_mov_b32 s2, exec_lo
                                        ; implicit-def: $vgpr3
	v_cmpx_lt_u32_e32 0x387fffff, v5
	s_xor_b32 s2, exec_lo, s2
; %bb.3083:
	v_bfe_u32 v3, v9, 21, 1
	s_delay_alu instid0(VALU_DEP_1) | instskip(NEXT) | instid1(VALU_DEP_1)
	v_add3_u32 v3, v9, v3, 0x80fffff
	v_lshrrev_b32_e32 v3, 21, v3
; %bb.3084:
	s_and_not1_saveexec_b32 s2, s2
; %bb.3085:
	v_add_f32_e64 v3, 0x43000000, |v9|
; %bb.3086:
	s_or_b32 exec_lo, exec_lo, s2
                                        ; implicit-def: $vgpr5
.LBB73_3087:
	s_and_not1_saveexec_b32 s1, s1
; %bb.3088:
	v_mov_b32_e32 v3, 0x7f
	v_cmp_lt_u32_e32 vcc_lo, 0x7f800000, v5
	s_delay_alu instid0(VALU_DEP_2)
	v_cndmask_b32_e32 v3, 0x7c, v3, vcc_lo
; %bb.3089:
	s_or_b32 exec_lo, exec_lo, s1
	v_lshrrev_b32_e32 v5, 24, v9
	s_delay_alu instid0(VALU_DEP_1)
	v_and_or_b32 v3, 0x80, v5, v3
	global_store_b8 v[1:2], v3, off
.LBB73_3090:
	s_mov_b32 s1, 0
	s_mov_b32 s2, -1
.LBB73_3091:
	s_and_not1_b32 vcc_lo, exec_lo, s1
	s_mov_b32 s1, 0
	s_cbranch_vccnz .LBB73_3098
; %bb.3092:
	v_cmp_lt_i16_e32 vcc_lo, 14, v12
	s_mov_b32 s1, -1
	s_cbranch_vccz .LBB73_3096
; %bb.3093:
	v_cmp_eq_u16_e32 vcc_lo, 15, v12
	s_mov_b32 s0, -1
	s_cbranch_vccz .LBB73_3095
; %bb.3094:
	v_bfe_u32 v3, v9, 16, 1
	v_cmp_o_f32_e32 vcc_lo, v9, v9
	s_mov_b32 s0, 0
	s_mov_b32 s2, -1
	s_delay_alu instid0(VALU_DEP_2) | instskip(NEXT) | instid1(VALU_DEP_1)
	v_add3_u32 v3, v9, v3, 0x7fff
	v_lshrrev_b32_e32 v3, 16, v3
	s_delay_alu instid0(VALU_DEP_1)
	v_cndmask_b32_e32 v3, 0x7fc0, v3, vcc_lo
	global_store_b16 v[1:2], v3, off
.LBB73_3095:
	s_mov_b32 s1, 0
.LBB73_3096:
	s_delay_alu instid0(SALU_CYCLE_1)
	s_and_b32 vcc_lo, exec_lo, s1
	s_mov_b32 s1, 0
	s_cbranch_vccz .LBB73_3098
; %bb.3097:
	v_cmp_ne_u16_e64 s0, 11, v12
	s_mov_b32 s1, -1
.LBB73_3098:
	s_delay_alu instid0(VALU_DEP_1)
	s_and_b32 vcc_lo, exec_lo, s0
	s_cbranch_vccnz .LBB73_3286
; %bb.3099:
	s_and_not1_b32 vcc_lo, exec_lo, s1
	s_cbranch_vccnz .LBB73_3101
.LBB73_3100:
	v_cmp_neq_f32_e32 vcc_lo, 0, v9
	s_mov_b32 s2, -1
	v_cndmask_b32_e64 v3, 0, 1, vcc_lo
	global_store_b8 v[1:2], v3, off
.LBB73_3101:
	s_mov_b32 s0, 0
.LBB73_3102:
	s_delay_alu instid0(SALU_CYCLE_1)
	s_and_b32 vcc_lo, exec_lo, s0
	s_cbranch_vccz .LBB73_3141
; %bb.3103:
	v_cmp_gt_i16_e32 vcc_lo, 5, v12
	s_mov_b32 s0, -1
	s_cbranch_vccnz .LBB73_3124
; %bb.3104:
	v_cmp_gt_i16_e32 vcc_lo, 8, v12
	s_cbranch_vccnz .LBB73_3114
; %bb.3105:
	v_cmp_gt_i16_e32 vcc_lo, 9, v12
	s_cbranch_vccnz .LBB73_3111
; %bb.3106:
	v_cmp_lt_i16_e32 vcc_lo, 9, v12
	s_cbranch_vccz .LBB73_3108
; %bb.3107:
	v_cvt_f64_f32_e32 v[5:6], v9
	v_mov_b32_e32 v7, 0
	s_mov_b32 s0, 0
	s_delay_alu instid0(VALU_DEP_1)
	v_mov_b32_e32 v8, v7
	global_store_b128 v[1:2], v[5:8], off
.LBB73_3108:
	s_and_not1_b32 vcc_lo, exec_lo, s0
	s_cbranch_vccnz .LBB73_3110
; %bb.3109:
	v_mov_b32_e32 v10, 0
	global_store_b64 v[1:2], v[9:10], off
.LBB73_3110:
	s_mov_b32 s0, 0
.LBB73_3111:
	s_delay_alu instid0(SALU_CYCLE_1)
	s_and_not1_b32 vcc_lo, exec_lo, s0
	s_cbranch_vccnz .LBB73_3113
; %bb.3112:
	v_cvt_f16_f32_e32 v3, v9
	s_delay_alu instid0(VALU_DEP_1)
	v_and_b32_e32 v3, 0xffff, v3
	global_store_b32 v[1:2], v3, off
.LBB73_3113:
	s_mov_b32 s0, 0
.LBB73_3114:
	s_delay_alu instid0(SALU_CYCLE_1)
	s_and_not1_b32 vcc_lo, exec_lo, s0
	s_cbranch_vccnz .LBB73_3123
; %bb.3115:
	v_cmp_gt_i16_e32 vcc_lo, 6, v12
	s_mov_b32 s0, -1
	s_cbranch_vccnz .LBB73_3121
; %bb.3116:
	v_cmp_lt_i16_e32 vcc_lo, 6, v12
	s_cbranch_vccz .LBB73_3118
; %bb.3117:
	v_cvt_f64_f32_e32 v[5:6], v9
	s_mov_b32 s0, 0
	global_store_b64 v[1:2], v[5:6], off
.LBB73_3118:
	s_and_not1_b32 vcc_lo, exec_lo, s0
	s_cbranch_vccnz .LBB73_3120
; %bb.3119:
	global_store_b32 v[1:2], v9, off
.LBB73_3120:
	s_mov_b32 s0, 0
.LBB73_3121:
	s_delay_alu instid0(SALU_CYCLE_1)
	s_and_not1_b32 vcc_lo, exec_lo, s0
	s_cbranch_vccnz .LBB73_3123
; %bb.3122:
	v_cvt_f16_f32_e32 v3, v9
	global_store_b16 v[1:2], v3, off
.LBB73_3123:
	s_mov_b32 s0, 0
.LBB73_3124:
	s_delay_alu instid0(SALU_CYCLE_1)
	s_and_not1_b32 vcc_lo, exec_lo, s0
	s_cbranch_vccnz .LBB73_3140
; %bb.3125:
	v_cmp_gt_i16_e32 vcc_lo, 2, v12
	s_mov_b32 s0, -1
	s_cbranch_vccnz .LBB73_3135
; %bb.3126:
	v_cmp_gt_i16_e32 vcc_lo, 3, v12
	s_cbranch_vccnz .LBB73_3132
; %bb.3127:
	v_cmp_lt_i16_e32 vcc_lo, 3, v12
	s_cbranch_vccz .LBB73_3129
; %bb.3128:
	v_trunc_f32_e32 v3, v9
	s_mov_b32 s0, 0
	s_delay_alu instid0(VALU_DEP_1) | instskip(NEXT) | instid1(VALU_DEP_1)
	v_mul_f32_e64 v5, 0x2f800000, |v3|
	v_floor_f32_e32 v5, v5
	s_delay_alu instid0(VALU_DEP_1) | instskip(SKIP_2) | instid1(VALU_DEP_3)
	v_fma_f32 v6, 0xcf800000, v5, |v3|
	v_ashrrev_i32_e32 v3, 31, v3
	v_cvt_u32_f32_e32 v5, v5
	v_cvt_u32_f32_e32 v6, v6
	s_delay_alu instid0(VALU_DEP_2) | instskip(NEXT) | instid1(VALU_DEP_2)
	v_xor_b32_e32 v7, v5, v3
	v_xor_b32_e32 v6, v6, v3
	s_delay_alu instid0(VALU_DEP_1) | instskip(NEXT) | instid1(VALU_DEP_3)
	v_sub_co_u32 v5, vcc_lo, v6, v3
	v_sub_co_ci_u32_e32 v6, vcc_lo, v7, v3, vcc_lo
	global_store_b64 v[1:2], v[5:6], off
.LBB73_3129:
	s_and_not1_b32 vcc_lo, exec_lo, s0
	s_cbranch_vccnz .LBB73_3131
; %bb.3130:
	v_cvt_i32_f32_e32 v3, v9
	global_store_b32 v[1:2], v3, off
.LBB73_3131:
	s_mov_b32 s0, 0
.LBB73_3132:
	s_delay_alu instid0(SALU_CYCLE_1)
	s_and_not1_b32 vcc_lo, exec_lo, s0
	s_cbranch_vccnz .LBB73_3134
; %bb.3133:
	v_cvt_i32_f32_e32 v3, v9
	global_store_b16 v[1:2], v3, off
.LBB73_3134:
	s_mov_b32 s0, 0
.LBB73_3135:
	s_delay_alu instid0(SALU_CYCLE_1)
	s_and_not1_b32 vcc_lo, exec_lo, s0
	s_cbranch_vccnz .LBB73_3140
; %bb.3136:
	v_cmp_lt_i16_e32 vcc_lo, 0, v12
	s_mov_b32 s0, -1
	s_cbranch_vccz .LBB73_3138
; %bb.3137:
	v_cvt_i32_f32_e32 v3, v9
	s_mov_b32 s0, 0
	global_store_b8 v[1:2], v3, off
.LBB73_3138:
	s_and_not1_b32 vcc_lo, exec_lo, s0
	s_cbranch_vccnz .LBB73_3140
; %bb.3139:
	v_trunc_f32_e32 v3, v9
	s_delay_alu instid0(VALU_DEP_1) | instskip(NEXT) | instid1(VALU_DEP_1)
	v_mul_f32_e64 v5, 0x2f800000, |v3|
	v_floor_f32_e32 v5, v5
	s_delay_alu instid0(VALU_DEP_1) | instskip(SKIP_1) | instid1(VALU_DEP_2)
	v_fma_f32 v5, 0xcf800000, v5, |v3|
	v_ashrrev_i32_e32 v3, 31, v3
	v_cvt_u32_f32_e32 v5, v5
	s_delay_alu instid0(VALU_DEP_1) | instskip(NEXT) | instid1(VALU_DEP_1)
	v_xor_b32_e32 v5, v5, v3
	v_sub_nc_u32_e32 v3, v5, v3
	global_store_b8 v[1:2], v3, off
.LBB73_3140:
	s_mov_b32 s2, -1
.LBB73_3141:
	s_delay_alu instid0(SALU_CYCLE_1)
	s_and_not1_b32 vcc_lo, exec_lo, s2
	s_cbranch_vccnz .LBB73_3263
; %bb.3142:
	v_cmp_gt_i16_e32 vcc_lo, 11, v12
	v_add_co_u32 v0, s0, s4, v0
	s_delay_alu instid0(VALU_DEP_1)
	v_add_co_ci_u32_e64 v1, null, s5, 0, s0
	s_mov_b32 s1, 0
	s_mov_b32 s0, -1
	s_cbranch_vccnz .LBB73_3219
; %bb.3143:
	v_cmp_lt_i16_e32 vcc_lo, 25, v12
	s_mov_b32 s2, -1
	s_mov_b32 s0, 0
	s_cbranch_vccz .LBB73_3176
; %bb.3144:
	v_cmp_lt_i16_e32 vcc_lo, 28, v12
	s_cbranch_vccz .LBB73_3160
; %bb.3145:
	v_cmp_lt_i16_e32 vcc_lo, 43, v12
	s_cbranch_vccz .LBB73_3156
; %bb.3146:
	v_cmp_lt_i16_e32 vcc_lo, 45, v12
	s_cbranch_vccz .LBB73_3150
; %bb.3147:
	v_cmp_eq_u16_e32 vcc_lo, 46, v12
	s_mov_b32 s0, -1
	s_cbranch_vccz .LBB73_3149
; %bb.3148:
	v_bfe_u32 v2, v4, 16, 1
	v_cmp_o_f32_e32 vcc_lo, v4, v4
	s_mov_b32 s0, 0
	s_delay_alu instid0(VALU_DEP_2) | instskip(NEXT) | instid1(VALU_DEP_1)
	v_add3_u32 v2, v4, v2, 0x7fff
	v_lshrrev_b32_e32 v2, 16, v2
	s_delay_alu instid0(VALU_DEP_1)
	v_cndmask_b32_e32 v2, 0x7fc0, v2, vcc_lo
	global_store_b32 v[0:1], v2, off
.LBB73_3149:
	s_mov_b32 s2, 0
.LBB73_3150:
	s_delay_alu instid0(SALU_CYCLE_1)
	s_and_b32 vcc_lo, exec_lo, s2
	s_cbranch_vccz .LBB73_3155
; %bb.3151:
	v_cmp_eq_u16_e32 vcc_lo, 44, v12
	s_mov_b32 s0, -1
	s_cbranch_vccz .LBB73_3155
; %bb.3152:
	v_bfe_u32 v3, v4, 23, 8
	v_mov_b32_e32 v2, 0xff
	s_mov_b32 s2, exec_lo
	s_delay_alu instid0(VALU_DEP_2)
	v_cmpx_ne_u32_e32 0xff, v3
; %bb.3153:
	v_and_b32_e32 v2, 0x400000, v4
	v_and_or_b32 v3, 0x3fffff, v4, v3
	s_delay_alu instid0(VALU_DEP_2) | instskip(NEXT) | instid1(VALU_DEP_2)
	v_cmp_ne_u32_e32 vcc_lo, 0, v2
	v_cmp_ne_u32_e64 s0, 0, v3
	v_lshrrev_b32_e32 v2, 23, v4
	s_delay_alu instid0(VALU_DEP_2) | instskip(NEXT) | instid1(SALU_CYCLE_1)
	s_and_b32 s0, vcc_lo, s0
	v_cndmask_b32_e64 v3, 0, 1, s0
	s_delay_alu instid0(VALU_DEP_1)
	v_add_nc_u32_e32 v2, v2, v3
; %bb.3154:
	s_or_b32 exec_lo, exec_lo, s2
	s_mov_b32 s0, 0
	global_store_b8 v[0:1], v2, off
.LBB73_3155:
	s_mov_b32 s2, 0
.LBB73_3156:
	s_delay_alu instid0(SALU_CYCLE_1)
	s_and_b32 vcc_lo, exec_lo, s2
	s_cbranch_vccz .LBB73_3159
; %bb.3157:
	v_cmp_eq_u16_e32 vcc_lo, 29, v12
	s_mov_b32 s0, -1
	s_cbranch_vccz .LBB73_3159
; %bb.3158:
	v_trunc_f32_e32 v2, v4
	s_mov_b32 s0, 0
	s_delay_alu instid0(VALU_DEP_1) | instskip(NEXT) | instid1(VALU_DEP_1)
	v_mul_f32_e32 v3, 0x2f800000, v2
	v_floor_f32_e32 v3, v3
	s_delay_alu instid0(VALU_DEP_1) | instskip(SKIP_1) | instid1(VALU_DEP_2)
	v_fmamk_f32 v2, v3, 0xcf800000, v2
	v_cvt_u32_f32_e32 v3, v3
	v_cvt_u32_f32_e32 v2, v2
	global_store_b64 v[0:1], v[2:3], off
.LBB73_3159:
	s_mov_b32 s2, 0
.LBB73_3160:
	s_delay_alu instid0(SALU_CYCLE_1)
	s_and_b32 vcc_lo, exec_lo, s2
	s_cbranch_vccz .LBB73_3175
; %bb.3161:
	v_cmp_gt_i16_e32 vcc_lo, 27, v12
	s_mov_b32 s2, -1
	s_cbranch_vccnz .LBB73_3167
; %bb.3162:
	v_cmp_lt_i16_e32 vcc_lo, 27, v12
	s_cbranch_vccz .LBB73_3164
; %bb.3163:
	v_cvt_u32_f32_e32 v2, v4
	s_mov_b32 s2, 0
	global_store_b32 v[0:1], v2, off
.LBB73_3164:
	s_and_not1_b32 vcc_lo, exec_lo, s2
	s_cbranch_vccnz .LBB73_3166
; %bb.3165:
	v_cvt_u32_f32_e32 v2, v4
	global_store_b16 v[0:1], v2, off
.LBB73_3166:
	s_mov_b32 s2, 0
.LBB73_3167:
	s_delay_alu instid0(SALU_CYCLE_1)
	s_and_not1_b32 vcc_lo, exec_lo, s2
	s_cbranch_vccnz .LBB73_3175
; %bb.3168:
	v_and_b32_e32 v2, 0x7fffffff, v4
	v_mov_b32_e32 v3, 0x80
	s_mov_b32 s2, exec_lo
	s_delay_alu instid0(VALU_DEP_2)
	v_cmpx_gt_u32_e32 0x43800000, v2
	s_cbranch_execz .LBB73_3174
; %bb.3169:
	v_cmp_lt_u32_e32 vcc_lo, 0x3bffffff, v2
	s_mov_b32 s3, 0
                                        ; implicit-def: $vgpr2
	s_and_saveexec_b32 s4, vcc_lo
	s_delay_alu instid0(SALU_CYCLE_1)
	s_xor_b32 s4, exec_lo, s4
	s_cbranch_execz .LBB73_3290
; %bb.3170:
	v_bfe_u32 v2, v4, 20, 1
	s_mov_b32 s3, exec_lo
	s_delay_alu instid0(VALU_DEP_1) | instskip(NEXT) | instid1(VALU_DEP_1)
	v_add3_u32 v2, v4, v2, 0x487ffff
	v_lshrrev_b32_e32 v2, 20, v2
	s_or_saveexec_b32 s4, s4
                                        ; implicit-def: $sgpr5
	s_delay_alu instid0(SALU_CYCLE_1)
	s_xor_b32 exec_lo, exec_lo, s4
	s_cbranch_execnz .LBB73_3291
.LBB73_3171:
	s_or_b32 exec_lo, exec_lo, s4
	v_mov_b32_e32 v3, s5
	s_and_saveexec_b32 s4, s3
.LBB73_3172:
	v_lshrrev_b32_e32 v3, 24, v4
	s_delay_alu instid0(VALU_DEP_1)
	v_and_or_b32 v3, 0x80, v3, v2
.LBB73_3173:
	s_or_b32 exec_lo, exec_lo, s4
.LBB73_3174:
	s_delay_alu instid0(SALU_CYCLE_1)
	s_or_b32 exec_lo, exec_lo, s2
	global_store_b8 v[0:1], v3, off
.LBB73_3175:
	s_mov_b32 s2, 0
.LBB73_3176:
	s_delay_alu instid0(SALU_CYCLE_1)
	s_and_b32 vcc_lo, exec_lo, s2
	s_cbranch_vccz .LBB73_3216
; %bb.3177:
	v_cmp_lt_i16_e32 vcc_lo, 22, v12
	s_mov_b32 s1, -1
	s_cbranch_vccz .LBB73_3209
; %bb.3178:
	v_cmp_gt_i16_e32 vcc_lo, 24, v12
	s_cbranch_vccnz .LBB73_3198
; %bb.3179:
	v_cmp_lt_i16_e32 vcc_lo, 24, v12
	s_cbranch_vccz .LBB73_3187
; %bb.3180:
	v_and_b32_e32 v2, 0x7fffffff, v4
	v_mov_b32_e32 v3, 0x80
	s_mov_b32 s1, exec_lo
	s_delay_alu instid0(VALU_DEP_2)
	v_cmpx_gt_u32_e32 0x47800000, v2
	s_cbranch_execz .LBB73_3186
; %bb.3181:
	v_cmp_lt_u32_e32 vcc_lo, 0x37ffffff, v2
	s_mov_b32 s2, 0
                                        ; implicit-def: $vgpr2
	s_and_saveexec_b32 s3, vcc_lo
	s_delay_alu instid0(SALU_CYCLE_1)
	s_xor_b32 s3, exec_lo, s3
	s_cbranch_execz .LBB73_3296
; %bb.3182:
	v_bfe_u32 v2, v4, 21, 1
	s_mov_b32 s2, exec_lo
	s_delay_alu instid0(VALU_DEP_1) | instskip(NEXT) | instid1(VALU_DEP_1)
	v_add3_u32 v2, v4, v2, 0x88fffff
	v_lshrrev_b32_e32 v2, 21, v2
	s_or_saveexec_b32 s3, s3
                                        ; implicit-def: $sgpr4
	s_delay_alu instid0(SALU_CYCLE_1)
	s_xor_b32 exec_lo, exec_lo, s3
	s_cbranch_execnz .LBB73_3297
.LBB73_3183:
	s_or_b32 exec_lo, exec_lo, s3
	v_mov_b32_e32 v3, s4
	s_and_saveexec_b32 s3, s2
.LBB73_3184:
	v_lshrrev_b32_e32 v3, 24, v4
	s_delay_alu instid0(VALU_DEP_1)
	v_and_or_b32 v3, 0x80, v3, v2
.LBB73_3185:
	s_or_b32 exec_lo, exec_lo, s3
.LBB73_3186:
	s_delay_alu instid0(SALU_CYCLE_1)
	s_or_b32 exec_lo, exec_lo, s1
	s_mov_b32 s1, 0
	global_store_b8 v[0:1], v3, off
.LBB73_3187:
	s_and_b32 vcc_lo, exec_lo, s1
	s_cbranch_vccz .LBB73_3197
; %bb.3188:
	v_and_b32_e32 v3, 0x7fffffff, v4
	s_mov_b32 s1, exec_lo
                                        ; implicit-def: $vgpr2
	s_delay_alu instid0(VALU_DEP_1)
	v_cmpx_gt_u32_e32 0x43f00000, v3
	s_xor_b32 s1, exec_lo, s1
	s_cbranch_execz .LBB73_3194
; %bb.3189:
	s_mov_b32 s2, exec_lo
                                        ; implicit-def: $vgpr2
	v_cmpx_lt_u32_e32 0x3c7fffff, v3
	s_xor_b32 s2, exec_lo, s2
; %bb.3190:
	v_bfe_u32 v2, v4, 20, 1
	s_delay_alu instid0(VALU_DEP_1) | instskip(NEXT) | instid1(VALU_DEP_1)
	v_add3_u32 v2, v4, v2, 0x407ffff
	v_and_b32_e32 v3, 0xff00000, v2
	v_lshrrev_b32_e32 v2, 20, v2
	s_delay_alu instid0(VALU_DEP_2) | instskip(NEXT) | instid1(VALU_DEP_2)
	v_cmp_ne_u32_e32 vcc_lo, 0x7f00000, v3
	v_cndmask_b32_e32 v2, 0x7e, v2, vcc_lo
; %bb.3191:
	s_and_not1_saveexec_b32 s2, s2
; %bb.3192:
	v_add_f32_e64 v2, 0x46800000, |v4|
; %bb.3193:
	s_or_b32 exec_lo, exec_lo, s2
                                        ; implicit-def: $vgpr3
.LBB73_3194:
	s_and_not1_saveexec_b32 s1, s1
; %bb.3195:
	v_mov_b32_e32 v2, 0x7f
	v_cmp_lt_u32_e32 vcc_lo, 0x7f800000, v3
	s_delay_alu instid0(VALU_DEP_2)
	v_cndmask_b32_e32 v2, 0x7e, v2, vcc_lo
; %bb.3196:
	s_or_b32 exec_lo, exec_lo, s1
	v_lshrrev_b32_e32 v3, 24, v4
	s_delay_alu instid0(VALU_DEP_1)
	v_and_or_b32 v2, 0x80, v3, v2
	global_store_b8 v[0:1], v2, off
.LBB73_3197:
	s_mov_b32 s1, 0
.LBB73_3198:
	s_delay_alu instid0(SALU_CYCLE_1)
	s_and_not1_b32 vcc_lo, exec_lo, s1
	s_cbranch_vccnz .LBB73_3208
; %bb.3199:
	v_and_b32_e32 v3, 0x7fffffff, v4
	s_mov_b32 s1, exec_lo
                                        ; implicit-def: $vgpr2
	s_delay_alu instid0(VALU_DEP_1)
	v_cmpx_gt_u32_e32 0x47800000, v3
	s_xor_b32 s1, exec_lo, s1
	s_cbranch_execz .LBB73_3205
; %bb.3200:
	s_mov_b32 s2, exec_lo
                                        ; implicit-def: $vgpr2
	v_cmpx_lt_u32_e32 0x387fffff, v3
	s_xor_b32 s2, exec_lo, s2
; %bb.3201:
	v_bfe_u32 v2, v4, 21, 1
	s_delay_alu instid0(VALU_DEP_1) | instskip(NEXT) | instid1(VALU_DEP_1)
	v_add3_u32 v2, v4, v2, 0x80fffff
	v_lshrrev_b32_e32 v2, 21, v2
; %bb.3202:
	s_and_not1_saveexec_b32 s2, s2
; %bb.3203:
	v_add_f32_e64 v2, 0x43000000, |v4|
; %bb.3204:
	s_or_b32 exec_lo, exec_lo, s2
                                        ; implicit-def: $vgpr3
.LBB73_3205:
	s_and_not1_saveexec_b32 s1, s1
; %bb.3206:
	v_mov_b32_e32 v2, 0x7f
	v_cmp_lt_u32_e32 vcc_lo, 0x7f800000, v3
	s_delay_alu instid0(VALU_DEP_2)
	v_cndmask_b32_e32 v2, 0x7c, v2, vcc_lo
; %bb.3207:
	s_or_b32 exec_lo, exec_lo, s1
	v_lshrrev_b32_e32 v3, 24, v4
	s_delay_alu instid0(VALU_DEP_1)
	v_and_or_b32 v2, 0x80, v3, v2
	global_store_b8 v[0:1], v2, off
.LBB73_3208:
	s_mov_b32 s1, 0
.LBB73_3209:
	s_delay_alu instid0(SALU_CYCLE_1)
	s_and_not1_b32 vcc_lo, exec_lo, s1
	s_mov_b32 s1, 0
	s_cbranch_vccnz .LBB73_3216
; %bb.3210:
	v_cmp_lt_i16_e32 vcc_lo, 14, v12
	s_mov_b32 s1, -1
	s_cbranch_vccz .LBB73_3214
; %bb.3211:
	v_cmp_eq_u16_e32 vcc_lo, 15, v12
	s_mov_b32 s0, -1
	s_cbranch_vccz .LBB73_3213
; %bb.3212:
	v_bfe_u32 v2, v4, 16, 1
	v_cmp_o_f32_e32 vcc_lo, v4, v4
	s_mov_b32 s0, 0
	s_delay_alu instid0(VALU_DEP_2) | instskip(NEXT) | instid1(VALU_DEP_1)
	v_add3_u32 v2, v4, v2, 0x7fff
	v_lshrrev_b32_e32 v2, 16, v2
	s_delay_alu instid0(VALU_DEP_1)
	v_cndmask_b32_e32 v2, 0x7fc0, v2, vcc_lo
	global_store_b16 v[0:1], v2, off
.LBB73_3213:
	s_mov_b32 s1, 0
.LBB73_3214:
	s_delay_alu instid0(SALU_CYCLE_1)
	s_and_b32 vcc_lo, exec_lo, s1
	s_mov_b32 s1, 0
	s_cbranch_vccz .LBB73_3216
; %bb.3215:
	v_cmp_ne_u16_e64 s0, 11, v12
	s_mov_b32 s1, -1
.LBB73_3216:
	s_delay_alu instid0(VALU_DEP_1)
	s_and_b32 vcc_lo, exec_lo, s0
	s_cbranch_vccnz .LBB73_3294
.LBB73_3217:
	s_mov_b32 s0, 0
	s_branch .LBB73_3219
.LBB73_3218:
	s_mov_b32 s0, 0
	s_mov_b32 s1, 0
                                        ; implicit-def: $vgpr0_vgpr1
                                        ; implicit-def: $vgpr12
                                        ; implicit-def: $vgpr4
.LBB73_3219:
	s_and_b32 s2, s0, exec_lo
	s_and_not1_b32 s0, s8, exec_lo
	s_and_b32 s3, s10, exec_lo
	s_and_b32 s26, s1, exec_lo
	s_or_b32 s8, s0, s3
.LBB73_3220:
	s_or_b32 exec_lo, exec_lo, s9
	s_and_saveexec_b32 s0, s8
	s_cbranch_execz .LBB73_3223
; %bb.3221:
	; divergent unreachable
	s_or_b32 exec_lo, exec_lo, s0
	s_and_saveexec_b32 s0, s26
	s_delay_alu instid0(SALU_CYCLE_1)
	s_xor_b32 s0, exec_lo, s0
	s_cbranch_execnz .LBB73_3224
.LBB73_3222:
	s_or_b32 exec_lo, exec_lo, s0
	s_and_saveexec_b32 s0, s2
	s_cbranch_execnz .LBB73_3225
	s_branch .LBB73_3262
.LBB73_3223:
	s_or_b32 exec_lo, exec_lo, s0
	s_and_saveexec_b32 s0, s26
	s_delay_alu instid0(SALU_CYCLE_1)
	s_xor_b32 s0, exec_lo, s0
	s_cbranch_execz .LBB73_3222
.LBB73_3224:
	s_waitcnt vmcnt(0)
	s_delay_alu instid0(VALU_DEP_1)
	v_cmp_neq_f32_e32 vcc_lo, 0, v4
	v_cndmask_b32_e64 v2, 0, 1, vcc_lo
	global_store_b8 v[0:1], v2, off
	s_or_b32 exec_lo, exec_lo, s0
	s_and_saveexec_b32 s0, s2
	s_cbranch_execz .LBB73_3262
.LBB73_3225:
	s_waitcnt vmcnt(0)
	s_delay_alu instid0(VALU_DEP_1)
	v_cmp_gt_i16_e32 vcc_lo, 5, v12
	s_mov_b32 s0, -1
	s_cbranch_vccnz .LBB73_3246
; %bb.3226:
	v_cmp_gt_i16_e32 vcc_lo, 8, v12
	s_cbranch_vccnz .LBB73_3236
; %bb.3227:
	v_cmp_gt_i16_e32 vcc_lo, 9, v12
	s_cbranch_vccnz .LBB73_3233
; %bb.3228:
	v_cmp_lt_i16_e32 vcc_lo, 9, v12
	s_cbranch_vccz .LBB73_3230
; %bb.3229:
	v_cvt_f64_f32_e32 v[5:6], v4
	v_mov_b32_e32 v7, 0
	s_mov_b32 s0, 0
	s_delay_alu instid0(VALU_DEP_1)
	v_mov_b32_e32 v8, v7
	global_store_b128 v[0:1], v[5:8], off
.LBB73_3230:
	s_and_not1_b32 vcc_lo, exec_lo, s0
	s_cbranch_vccnz .LBB73_3232
; %bb.3231:
	v_mov_b32_e32 v5, 0
	global_store_b64 v[0:1], v[4:5], off
.LBB73_3232:
	s_mov_b32 s0, 0
.LBB73_3233:
	s_delay_alu instid0(SALU_CYCLE_1)
	s_and_not1_b32 vcc_lo, exec_lo, s0
	s_cbranch_vccnz .LBB73_3235
; %bb.3234:
	v_cvt_f16_f32_e32 v2, v4
	s_delay_alu instid0(VALU_DEP_1)
	v_and_b32_e32 v2, 0xffff, v2
	global_store_b32 v[0:1], v2, off
.LBB73_3235:
	s_mov_b32 s0, 0
.LBB73_3236:
	s_delay_alu instid0(SALU_CYCLE_1)
	s_and_not1_b32 vcc_lo, exec_lo, s0
	s_cbranch_vccnz .LBB73_3245
; %bb.3237:
	v_cmp_gt_i16_e32 vcc_lo, 6, v12
	s_mov_b32 s0, -1
	s_cbranch_vccnz .LBB73_3243
; %bb.3238:
	v_cmp_lt_i16_e32 vcc_lo, 6, v12
	s_cbranch_vccz .LBB73_3240
; %bb.3239:
	v_cvt_f64_f32_e32 v[2:3], v4
	s_mov_b32 s0, 0
	global_store_b64 v[0:1], v[2:3], off
.LBB73_3240:
	s_and_not1_b32 vcc_lo, exec_lo, s0
	s_cbranch_vccnz .LBB73_3242
; %bb.3241:
	global_store_b32 v[0:1], v4, off
.LBB73_3242:
	s_mov_b32 s0, 0
.LBB73_3243:
	s_delay_alu instid0(SALU_CYCLE_1)
	s_and_not1_b32 vcc_lo, exec_lo, s0
	s_cbranch_vccnz .LBB73_3245
; %bb.3244:
	v_cvt_f16_f32_e32 v2, v4
	global_store_b16 v[0:1], v2, off
.LBB73_3245:
	s_mov_b32 s0, 0
.LBB73_3246:
	s_delay_alu instid0(SALU_CYCLE_1)
	s_and_not1_b32 vcc_lo, exec_lo, s0
	s_cbranch_vccnz .LBB73_3262
; %bb.3247:
	v_cmp_gt_i16_e32 vcc_lo, 2, v12
	s_mov_b32 s0, -1
	s_cbranch_vccnz .LBB73_3257
; %bb.3248:
	v_cmp_gt_i16_e32 vcc_lo, 3, v12
	s_cbranch_vccnz .LBB73_3254
; %bb.3249:
	v_cmp_lt_i16_e32 vcc_lo, 3, v12
	s_cbranch_vccz .LBB73_3251
; %bb.3250:
	v_trunc_f32_e32 v2, v4
	s_mov_b32 s0, 0
	s_delay_alu instid0(VALU_DEP_1) | instskip(SKIP_1) | instid1(VALU_DEP_2)
	v_mul_f32_e64 v3, 0x2f800000, |v2|
	v_ashrrev_i32_e32 v6, 31, v2
	v_floor_f32_e32 v3, v3
	s_delay_alu instid0(VALU_DEP_1) | instskip(SKIP_1) | instid1(VALU_DEP_2)
	v_fma_f32 v5, 0xcf800000, v3, |v2|
	v_cvt_u32_f32_e32 v3, v3
	v_cvt_u32_f32_e32 v2, v5
	s_delay_alu instid0(VALU_DEP_2) | instskip(NEXT) | instid1(VALU_DEP_2)
	v_xor_b32_e32 v3, v3, v6
	v_xor_b32_e32 v2, v2, v6
	s_delay_alu instid0(VALU_DEP_1) | instskip(NEXT) | instid1(VALU_DEP_3)
	v_sub_co_u32 v2, vcc_lo, v2, v6
	v_sub_co_ci_u32_e32 v3, vcc_lo, v3, v6, vcc_lo
	global_store_b64 v[0:1], v[2:3], off
.LBB73_3251:
	s_and_not1_b32 vcc_lo, exec_lo, s0
	s_cbranch_vccnz .LBB73_3253
; %bb.3252:
	v_cvt_i32_f32_e32 v2, v4
	global_store_b32 v[0:1], v2, off
.LBB73_3253:
	s_mov_b32 s0, 0
.LBB73_3254:
	s_delay_alu instid0(SALU_CYCLE_1)
	s_and_not1_b32 vcc_lo, exec_lo, s0
	s_cbranch_vccnz .LBB73_3256
; %bb.3255:
	v_cvt_i32_f32_e32 v2, v4
	global_store_b16 v[0:1], v2, off
.LBB73_3256:
	s_mov_b32 s0, 0
.LBB73_3257:
	s_delay_alu instid0(SALU_CYCLE_1)
	s_and_not1_b32 vcc_lo, exec_lo, s0
	s_cbranch_vccnz .LBB73_3262
; %bb.3258:
	v_cmp_lt_i16_e32 vcc_lo, 0, v12
	s_mov_b32 s0, -1
	s_cbranch_vccz .LBB73_3260
; %bb.3259:
	v_cvt_i32_f32_e32 v2, v4
	s_mov_b32 s0, 0
	global_store_b8 v[0:1], v2, off
.LBB73_3260:
	s_and_not1_b32 vcc_lo, exec_lo, s0
	s_cbranch_vccnz .LBB73_3262
; %bb.3261:
	v_trunc_f32_e32 v2, v4
	s_delay_alu instid0(VALU_DEP_1) | instskip(NEXT) | instid1(VALU_DEP_1)
	v_mul_f32_e64 v3, 0x2f800000, |v2|
	v_floor_f32_e32 v3, v3
	s_delay_alu instid0(VALU_DEP_1) | instskip(SKIP_1) | instid1(VALU_DEP_2)
	v_fma_f32 v3, 0xcf800000, v3, |v2|
	v_ashrrev_i32_e32 v2, 31, v2
	v_cvt_u32_f32_e32 v3, v3
	s_delay_alu instid0(VALU_DEP_1) | instskip(NEXT) | instid1(VALU_DEP_1)
	v_xor_b32_e32 v3, v3, v2
	v_sub_nc_u32_e32 v2, v3, v2
	global_store_b8 v[0:1], v2, off
	s_nop 0
	s_sendmsg sendmsg(MSG_DEALLOC_VGPRS)
	s_endpgm
.LBB73_3262:
	s_nop 0
	s_sendmsg sendmsg(MSG_DEALLOC_VGPRS)
	s_endpgm
.LBB73_3263:
	s_mov_b32 s0, 0
	s_mov_b32 s1, 0
                                        ; implicit-def: $vgpr0_vgpr1
                                        ; implicit-def: $vgpr12
	s_branch .LBB73_3219
.LBB73_3264:
	s_cbranch_execnz .LBB73_3268
; %bb.3265:
	s_or_b32 s10, s10, exec_lo
                                        ; implicit-def: $vgpr4
	s_cbranch_execz .LBB73_2724
	s_branch .LBB73_2725
.LBB73_3266:
	s_or_saveexec_b32 s6, s6
                                        ; implicit-def: $sgpr7
	s_delay_alu instid0(SALU_CYCLE_1)
	s_xor_b32 exec_lo, exec_lo, s6
	s_cbranch_execz .LBB73_2816
.LBB73_3267:
	v_add_f32_e64 v3, 0x46000000, |v5|
	s_and_not1_b32 s3, s3, exec_lo
	s_mov_b32 s7, 0
	s_delay_alu instid0(VALU_DEP_1) | instskip(NEXT) | instid1(VALU_DEP_1)
	v_and_b32_e32 v3, 0xff, v3
	v_cmp_ne_u32_e32 vcc_lo, 0, v3
	s_and_b32 s11, vcc_lo, exec_lo
	s_delay_alu instid0(SALU_CYCLE_1)
	s_or_b32 s3, s3, s11
	s_or_b32 exec_lo, exec_lo, s6
	v_mov_b32_e32 v6, s7
	s_and_saveexec_b32 s6, s3
	s_cbranch_execnz .LBB73_2817
	s_branch .LBB73_2818
.LBB73_3268:
	s_trap 2
	s_sendmsg_rtn_b32 s0, sendmsg(MSG_RTN_GET_DOORBELL)
	s_mov_b32 ttmp2, m0
	s_waitcnt lgkmcnt(0)
	s_and_b32 s0, s0, 0x3ff
	s_delay_alu instid0(SALU_CYCLE_1) | instskip(NEXT) | instid1(SALU_CYCLE_1)
	s_bitset1_b32 s0, 10
	s_mov_b32 m0, s0
	s_sendmsg sendmsg(MSG_INTERRUPT)
	s_mov_b32 m0, ttmp2
.LBB73_3269:                            ; =>This Inner Loop Header: Depth=1
	s_sethalt 5
	s_branch .LBB73_3269
.LBB73_3270:
	s_cbranch_execnz .LBB73_3276
; %bb.3271:
	s_or_b32 s10, s10, exec_lo
	s_cbranch_execz .LBB73_2864
	s_branch .LBB73_2865
.LBB73_3272:
	s_or_saveexec_b32 s3, s3
                                        ; implicit-def: $sgpr6
	s_delay_alu instid0(SALU_CYCLE_1)
	s_xor_b32 exec_lo, exec_lo, s3
	s_cbranch_execz .LBB73_2829
.LBB73_3273:
	v_add_f32_e64 v3, 0x42800000, |v5|
	s_and_not1_b32 s2, s2, exec_lo
	s_mov_b32 s6, 0
	s_delay_alu instid0(VALU_DEP_1) | instskip(NEXT) | instid1(VALU_DEP_1)
	v_and_b32_e32 v3, 0xff, v3
	v_cmp_ne_u32_e32 vcc_lo, 0, v3
	s_and_b32 s7, vcc_lo, exec_lo
	s_delay_alu instid0(SALU_CYCLE_1)
	s_or_b32 s2, s2, s7
	s_or_b32 exec_lo, exec_lo, s3
	v_mov_b32_e32 v6, s6
	s_and_saveexec_b32 s3, s2
	s_cbranch_execnz .LBB73_2830
	s_branch .LBB73_2831
.LBB73_3274:
	s_or_saveexec_b32 s6, s6
                                        ; implicit-def: $sgpr7
	s_delay_alu instid0(SALU_CYCLE_1)
	s_xor_b32 exec_lo, exec_lo, s6
	s_cbranch_execz .LBB73_2934
.LBB73_3275:
	v_add_f32_e64 v5, 0x46000000, |v7|
	s_and_not1_b32 s3, s3, exec_lo
	s_mov_b32 s7, 0
	s_delay_alu instid0(VALU_DEP_1) | instskip(NEXT) | instid1(VALU_DEP_1)
	v_and_b32_e32 v5, 0xff, v5
	v_cmp_ne_u32_e32 vcc_lo, 0, v5
	s_and_b32 s11, vcc_lo, exec_lo
	s_delay_alu instid0(SALU_CYCLE_1)
	s_or_b32 s3, s3, s11
	s_or_b32 exec_lo, exec_lo, s6
	v_mov_b32_e32 v6, s7
	s_and_saveexec_b32 s6, s3
	s_cbranch_execnz .LBB73_2935
	s_branch .LBB73_2936
.LBB73_3276:
	s_trap 2
	s_sendmsg_rtn_b32 s0, sendmsg(MSG_RTN_GET_DOORBELL)
	s_mov_b32 ttmp2, m0
	s_waitcnt lgkmcnt(0)
	s_and_b32 s0, s0, 0x3ff
	s_delay_alu instid0(SALU_CYCLE_1) | instskip(NEXT) | instid1(SALU_CYCLE_1)
	s_bitset1_b32 s0, 10
	s_mov_b32 m0, s0
	s_sendmsg sendmsg(MSG_INTERRUPT)
	s_mov_b32 m0, ttmp2
.LBB73_3277:                            ; =>This Inner Loop Header: Depth=1
	s_sethalt 5
	s_branch .LBB73_3277
.LBB73_3278:
	s_cbranch_execnz .LBB73_3284
; %bb.3279:
	s_or_b32 s10, s10, exec_lo
	s_cbranch_execz .LBB73_2982
	s_branch .LBB73_2983
.LBB73_3280:
	s_or_saveexec_b32 s3, s3
                                        ; implicit-def: $sgpr6
	s_delay_alu instid0(SALU_CYCLE_1)
	s_xor_b32 exec_lo, exec_lo, s3
	s_cbranch_execz .LBB73_2947
.LBB73_3281:
	v_add_f32_e64 v5, 0x42800000, |v7|
	s_and_not1_b32 s2, s2, exec_lo
	s_mov_b32 s6, 0
	s_delay_alu instid0(VALU_DEP_1) | instskip(NEXT) | instid1(VALU_DEP_1)
	v_and_b32_e32 v5, 0xff, v5
	v_cmp_ne_u32_e32 vcc_lo, 0, v5
	s_and_b32 s7, vcc_lo, exec_lo
	s_delay_alu instid0(SALU_CYCLE_1)
	s_or_b32 s2, s2, s7
	s_or_b32 exec_lo, exec_lo, s3
	v_mov_b32_e32 v6, s6
	s_and_saveexec_b32 s3, s2
	s_cbranch_execnz .LBB73_2948
	s_branch .LBB73_2949
.LBB73_3282:
	s_or_saveexec_b32 s6, s6
                                        ; implicit-def: $sgpr7
	s_delay_alu instid0(SALU_CYCLE_1)
	s_xor_b32 exec_lo, exec_lo, s6
	s_cbranch_execz .LBB73_3052
.LBB73_3283:
	v_add_f32_e64 v3, 0x46000000, |v9|
	s_and_not1_b32 s3, s3, exec_lo
	s_mov_b32 s7, 0
	s_delay_alu instid0(VALU_DEP_1) | instskip(NEXT) | instid1(VALU_DEP_1)
	v_and_b32_e32 v3, 0xff, v3
	v_cmp_ne_u32_e32 vcc_lo, 0, v3
	s_and_b32 s11, vcc_lo, exec_lo
	s_delay_alu instid0(SALU_CYCLE_1)
	s_or_b32 s3, s3, s11
	s_or_b32 exec_lo, exec_lo, s6
	v_mov_b32_e32 v5, s7
	s_and_saveexec_b32 s6, s3
	s_cbranch_execnz .LBB73_3053
	s_branch .LBB73_3054
.LBB73_3284:
	s_trap 2
	s_sendmsg_rtn_b32 s0, sendmsg(MSG_RTN_GET_DOORBELL)
	s_mov_b32 ttmp2, m0
	s_waitcnt lgkmcnt(0)
	s_and_b32 s0, s0, 0x3ff
	s_delay_alu instid0(SALU_CYCLE_1) | instskip(NEXT) | instid1(SALU_CYCLE_1)
	s_bitset1_b32 s0, 10
	s_mov_b32 m0, s0
	s_sendmsg sendmsg(MSG_INTERRUPT)
	s_mov_b32 m0, ttmp2
.LBB73_3285:                            ; =>This Inner Loop Header: Depth=1
	s_sethalt 5
	s_branch .LBB73_3285
.LBB73_3286:
	s_cbranch_execnz .LBB73_3292
; %bb.3287:
	s_or_b32 s10, s10, exec_lo
	s_cbranch_execz .LBB73_3100
	s_branch .LBB73_3101
.LBB73_3288:
	s_or_saveexec_b32 s3, s3
                                        ; implicit-def: $sgpr6
	s_delay_alu instid0(SALU_CYCLE_1)
	s_xor_b32 exec_lo, exec_lo, s3
	s_cbranch_execz .LBB73_3065
.LBB73_3289:
	v_add_f32_e64 v3, 0x42800000, |v9|
	s_and_not1_b32 s2, s2, exec_lo
	s_mov_b32 s6, 0
	s_delay_alu instid0(VALU_DEP_1) | instskip(NEXT) | instid1(VALU_DEP_1)
	v_and_b32_e32 v3, 0xff, v3
	v_cmp_ne_u32_e32 vcc_lo, 0, v3
	s_and_b32 s7, vcc_lo, exec_lo
	s_delay_alu instid0(SALU_CYCLE_1)
	s_or_b32 s2, s2, s7
	s_or_b32 exec_lo, exec_lo, s3
	v_mov_b32_e32 v5, s6
	s_and_saveexec_b32 s3, s2
	s_cbranch_execnz .LBB73_3066
	s_branch .LBB73_3067
.LBB73_3290:
	s_or_saveexec_b32 s4, s4
                                        ; implicit-def: $sgpr5
	s_delay_alu instid0(SALU_CYCLE_1)
	s_xor_b32 exec_lo, exec_lo, s4
	s_cbranch_execz .LBB73_3171
.LBB73_3291:
	v_add_f32_e64 v2, 0x46000000, |v4|
	s_and_not1_b32 s3, s3, exec_lo
	s_mov_b32 s5, 0
	s_delay_alu instid0(VALU_DEP_1) | instskip(NEXT) | instid1(VALU_DEP_1)
	v_and_b32_e32 v2, 0xff, v2
	v_cmp_ne_u32_e32 vcc_lo, 0, v2
	s_and_b32 s6, vcc_lo, exec_lo
	s_delay_alu instid0(SALU_CYCLE_1)
	s_or_b32 s3, s3, s6
	s_or_b32 exec_lo, exec_lo, s4
	v_mov_b32_e32 v3, s5
	s_and_saveexec_b32 s4, s3
	s_cbranch_execnz .LBB73_3172
	s_branch .LBB73_3173
.LBB73_3292:
	s_trap 2
	s_sendmsg_rtn_b32 s0, sendmsg(MSG_RTN_GET_DOORBELL)
	s_mov_b32 ttmp2, m0
	s_waitcnt lgkmcnt(0)
	s_and_b32 s0, s0, 0x3ff
	s_delay_alu instid0(SALU_CYCLE_1) | instskip(NEXT) | instid1(SALU_CYCLE_1)
	s_bitset1_b32 s0, 10
	s_mov_b32 m0, s0
	s_sendmsg sendmsg(MSG_INTERRUPT)
	s_mov_b32 m0, ttmp2
.LBB73_3293:                            ; =>This Inner Loop Header: Depth=1
	s_sethalt 5
	s_branch .LBB73_3293
.LBB73_3294:
	s_cbranch_execnz .LBB73_3298
; %bb.3295:
	s_mov_b32 s1, 0
	s_or_b32 s10, s10, exec_lo
	s_branch .LBB73_3217
.LBB73_3296:
	s_or_saveexec_b32 s3, s3
                                        ; implicit-def: $sgpr4
	s_delay_alu instid0(SALU_CYCLE_1)
	s_xor_b32 exec_lo, exec_lo, s3
	s_cbranch_execz .LBB73_3183
.LBB73_3297:
	v_add_f32_e64 v2, 0x42800000, |v4|
	s_and_not1_b32 s2, s2, exec_lo
	s_mov_b32 s4, 0
	s_delay_alu instid0(VALU_DEP_1) | instskip(NEXT) | instid1(VALU_DEP_1)
	v_and_b32_e32 v2, 0xff, v2
	v_cmp_ne_u32_e32 vcc_lo, 0, v2
	s_and_b32 s5, vcc_lo, exec_lo
	s_delay_alu instid0(SALU_CYCLE_1)
	s_or_b32 s2, s2, s5
	s_or_b32 exec_lo, exec_lo, s3
	v_mov_b32_e32 v3, s4
	s_and_saveexec_b32 s3, s2
	s_cbranch_execnz .LBB73_3184
	s_branch .LBB73_3185
.LBB73_3298:
	s_trap 2
	s_sendmsg_rtn_b32 s0, sendmsg(MSG_RTN_GET_DOORBELL)
	s_mov_b32 ttmp2, m0
	s_waitcnt lgkmcnt(0)
	s_and_b32 s0, s0, 0x3ff
	s_delay_alu instid0(SALU_CYCLE_1) | instskip(NEXT) | instid1(SALU_CYCLE_1)
	s_bitset1_b32 s0, 10
	s_mov_b32 m0, s0
	s_sendmsg sendmsg(MSG_INTERRUPT)
	s_mov_b32 m0, ttmp2
.LBB73_3299:                            ; =>This Inner Loop Header: Depth=1
	s_sethalt 5
	s_branch .LBB73_3299
	.section	.rodata,"a",@progbits
	.p2align	6, 0x0
	.amdhsa_kernel _ZN2at6native32elementwise_kernel_manual_unrollILi128ELi4EZNS0_15gpu_kernel_implINS0_13BinaryFunctorIfffZZZNS0_12_GLOBAL__N_132hermite_polynomial_h_kernel_cudaERNS_18TensorIteratorBaseEENKUlvE_clEvENKUlvE0_clEvEUlffE_EEEEvS6_RKT_EUlibE0_EEviT1_
		.amdhsa_group_segment_fixed_size 0
		.amdhsa_private_segment_fixed_size 0
		.amdhsa_kernarg_size 432
		.amdhsa_user_sgpr_count 15
		.amdhsa_user_sgpr_dispatch_ptr 0
		.amdhsa_user_sgpr_queue_ptr 0
		.amdhsa_user_sgpr_kernarg_segment_ptr 1
		.amdhsa_user_sgpr_dispatch_id 0
		.amdhsa_user_sgpr_private_segment_size 0
		.amdhsa_wavefront_size32 1
		.amdhsa_uses_dynamic_stack 0
		.amdhsa_enable_private_segment 0
		.amdhsa_system_sgpr_workgroup_id_x 1
		.amdhsa_system_sgpr_workgroup_id_y 0
		.amdhsa_system_sgpr_workgroup_id_z 0
		.amdhsa_system_sgpr_workgroup_info 0
		.amdhsa_system_vgpr_workitem_id 0
		.amdhsa_next_free_vgpr 20
		.amdhsa_next_free_sgpr 58
		.amdhsa_reserve_vcc 1
		.amdhsa_float_round_mode_32 0
		.amdhsa_float_round_mode_16_64 0
		.amdhsa_float_denorm_mode_32 3
		.amdhsa_float_denorm_mode_16_64 3
		.amdhsa_dx10_clamp 1
		.amdhsa_ieee_mode 1
		.amdhsa_fp16_overflow 0
		.amdhsa_workgroup_processor_mode 1
		.amdhsa_memory_ordered 1
		.amdhsa_forward_progress 0
		.amdhsa_shared_vgpr_count 0
		.amdhsa_exception_fp_ieee_invalid_op 0
		.amdhsa_exception_fp_denorm_src 0
		.amdhsa_exception_fp_ieee_div_zero 0
		.amdhsa_exception_fp_ieee_overflow 0
		.amdhsa_exception_fp_ieee_underflow 0
		.amdhsa_exception_fp_ieee_inexact 0
		.amdhsa_exception_int_div_zero 0
	.end_amdhsa_kernel
	.section	.text._ZN2at6native32elementwise_kernel_manual_unrollILi128ELi4EZNS0_15gpu_kernel_implINS0_13BinaryFunctorIfffZZZNS0_12_GLOBAL__N_132hermite_polynomial_h_kernel_cudaERNS_18TensorIteratorBaseEENKUlvE_clEvENKUlvE0_clEvEUlffE_EEEEvS6_RKT_EUlibE0_EEviT1_,"axG",@progbits,_ZN2at6native32elementwise_kernel_manual_unrollILi128ELi4EZNS0_15gpu_kernel_implINS0_13BinaryFunctorIfffZZZNS0_12_GLOBAL__N_132hermite_polynomial_h_kernel_cudaERNS_18TensorIteratorBaseEENKUlvE_clEvENKUlvE0_clEvEUlffE_EEEEvS6_RKT_EUlibE0_EEviT1_,comdat
.Lfunc_end73:
	.size	_ZN2at6native32elementwise_kernel_manual_unrollILi128ELi4EZNS0_15gpu_kernel_implINS0_13BinaryFunctorIfffZZZNS0_12_GLOBAL__N_132hermite_polynomial_h_kernel_cudaERNS_18TensorIteratorBaseEENKUlvE_clEvENKUlvE0_clEvEUlffE_EEEEvS6_RKT_EUlibE0_EEviT1_, .Lfunc_end73-_ZN2at6native32elementwise_kernel_manual_unrollILi128ELi4EZNS0_15gpu_kernel_implINS0_13BinaryFunctorIfffZZZNS0_12_GLOBAL__N_132hermite_polynomial_h_kernel_cudaERNS_18TensorIteratorBaseEENKUlvE_clEvENKUlvE0_clEvEUlffE_EEEEvS6_RKT_EUlibE0_EEviT1_
                                        ; -- End function
	.section	.AMDGPU.csdata,"",@progbits
; Kernel info:
; codeLenInByte = 61476
; NumSgprs: 60
; NumVgprs: 20
; ScratchSize: 0
; MemoryBound: 1
; FloatMode: 240
; IeeeMode: 1
; LDSByteSize: 0 bytes/workgroup (compile time only)
; SGPRBlocks: 7
; VGPRBlocks: 2
; NumSGPRsForWavesPerEU: 60
; NumVGPRsForWavesPerEU: 20
; Occupancy: 16
; WaveLimiterHint : 1
; COMPUTE_PGM_RSRC2:SCRATCH_EN: 0
; COMPUTE_PGM_RSRC2:USER_SGPR: 15
; COMPUTE_PGM_RSRC2:TRAP_HANDLER: 0
; COMPUTE_PGM_RSRC2:TGID_X_EN: 1
; COMPUTE_PGM_RSRC2:TGID_Y_EN: 0
; COMPUTE_PGM_RSRC2:TGID_Z_EN: 0
; COMPUTE_PGM_RSRC2:TIDIG_COMP_CNT: 0
	.text
	.p2alignl 7, 3214868480
	.fill 96, 4, 3214868480
	.type	__hip_cuid_d3803947bd5c0fb3,@object ; @__hip_cuid_d3803947bd5c0fb3
	.section	.bss,"aw",@nobits
	.globl	__hip_cuid_d3803947bd5c0fb3
__hip_cuid_d3803947bd5c0fb3:
	.byte	0                               ; 0x0
	.size	__hip_cuid_d3803947bd5c0fb3, 1

	.ident	"AMD clang version 19.0.0git (https://github.com/RadeonOpenCompute/llvm-project roc-6.4.0 25133 c7fe45cf4b819c5991fe208aaa96edf142730f1d)"
	.section	".note.GNU-stack","",@progbits
	.addrsig
	.addrsig_sym __hip_cuid_d3803947bd5c0fb3
	.amdgpu_metadata
---
amdhsa.kernels:
  - .args:
      - .offset:         0
        .size:           4
        .value_kind:     by_value
      - .offset:         8
        .size:           16
        .value_kind:     by_value
      - .offset:         24
        .size:           16
        .value_kind:     by_value
    .group_segment_fixed_size: 0
    .kernarg_segment_align: 8
    .kernarg_segment_size: 40
    .language:       OpenCL C
    .language_version:
      - 2
      - 0
    .max_flat_workgroup_size: 256
    .name:           _ZN2at6native29vectorized_elementwise_kernelILi16ENS0_13AUnaryFunctorIdddZZZNS0_12_GLOBAL__N_132hermite_polynomial_h_kernel_cudaERNS_18TensorIteratorBaseEENKUlvE_clEvENKUlvE_clEvEUlddE_EESt5arrayIPcLm2EEEEviT0_T1_
    .private_segment_fixed_size: 0
    .sgpr_count:     18
    .sgpr_spill_count: 0
    .symbol:         _ZN2at6native29vectorized_elementwise_kernelILi16ENS0_13AUnaryFunctorIdddZZZNS0_12_GLOBAL__N_132hermite_polynomial_h_kernel_cudaERNS_18TensorIteratorBaseEENKUlvE_clEvENKUlvE_clEvEUlddE_EESt5arrayIPcLm2EEEEviT0_T1_.kd
    .uniform_work_group_size: 1
    .uses_dynamic_stack: false
    .vgpr_count:     25
    .vgpr_spill_count: 0
    .wavefront_size: 32
    .workgroup_processor_mode: 1
  - .args:
      - .offset:         0
        .size:           4
        .value_kind:     by_value
      - .offset:         8
        .size:           16
        .value_kind:     by_value
      - .offset:         24
        .size:           16
        .value_kind:     by_value
    .group_segment_fixed_size: 0
    .kernarg_segment_align: 8
    .kernarg_segment_size: 40
    .language:       OpenCL C
    .language_version:
      - 2
      - 0
    .max_flat_workgroup_size: 256
    .name:           _ZN2at6native29vectorized_elementwise_kernelILi8ENS0_13AUnaryFunctorIdddZZZNS0_12_GLOBAL__N_132hermite_polynomial_h_kernel_cudaERNS_18TensorIteratorBaseEENKUlvE_clEvENKUlvE_clEvEUlddE_EESt5arrayIPcLm2EEEEviT0_T1_
    .private_segment_fixed_size: 0
    .sgpr_count:     18
    .sgpr_spill_count: 0
    .symbol:         _ZN2at6native29vectorized_elementwise_kernelILi8ENS0_13AUnaryFunctorIdddZZZNS0_12_GLOBAL__N_132hermite_polynomial_h_kernel_cudaERNS_18TensorIteratorBaseEENKUlvE_clEvENKUlvE_clEvEUlddE_EESt5arrayIPcLm2EEEEviT0_T1_.kd
    .uniform_work_group_size: 1
    .uses_dynamic_stack: false
    .vgpr_count:     25
    .vgpr_spill_count: 0
    .wavefront_size: 32
    .workgroup_processor_mode: 1
  - .args:
      - .offset:         0
        .size:           4
        .value_kind:     by_value
      - .offset:         8
        .size:           16
        .value_kind:     by_value
      - .offset:         24
        .size:           16
        .value_kind:     by_value
    .group_segment_fixed_size: 0
    .kernarg_segment_align: 8
    .kernarg_segment_size: 40
    .language:       OpenCL C
    .language_version:
      - 2
      - 0
    .max_flat_workgroup_size: 256
    .name:           _ZN2at6native29vectorized_elementwise_kernelILi4ENS0_13AUnaryFunctorIdddZZZNS0_12_GLOBAL__N_132hermite_polynomial_h_kernel_cudaERNS_18TensorIteratorBaseEENKUlvE_clEvENKUlvE_clEvEUlddE_EESt5arrayIPcLm2EEEEviT0_T1_
    .private_segment_fixed_size: 0
    .sgpr_count:     18
    .sgpr_spill_count: 0
    .symbol:         _ZN2at6native29vectorized_elementwise_kernelILi4ENS0_13AUnaryFunctorIdddZZZNS0_12_GLOBAL__N_132hermite_polynomial_h_kernel_cudaERNS_18TensorIteratorBaseEENKUlvE_clEvENKUlvE_clEvEUlddE_EESt5arrayIPcLm2EEEEviT0_T1_.kd
    .uniform_work_group_size: 1
    .uses_dynamic_stack: false
    .vgpr_count:     25
    .vgpr_spill_count: 0
    .wavefront_size: 32
    .workgroup_processor_mode: 1
  - .args:
      - .offset:         0
        .size:           4
        .value_kind:     by_value
      - .offset:         8
        .size:           16
        .value_kind:     by_value
      - .offset:         24
        .size:           16
        .value_kind:     by_value
    .group_segment_fixed_size: 0
    .kernarg_segment_align: 8
    .kernarg_segment_size: 40
    .language:       OpenCL C
    .language_version:
      - 2
      - 0
    .max_flat_workgroup_size: 256
    .name:           _ZN2at6native29vectorized_elementwise_kernelILi2ENS0_13AUnaryFunctorIdddZZZNS0_12_GLOBAL__N_132hermite_polynomial_h_kernel_cudaERNS_18TensorIteratorBaseEENKUlvE_clEvENKUlvE_clEvEUlddE_EESt5arrayIPcLm2EEEEviT0_T1_
    .private_segment_fixed_size: 0
    .sgpr_count:     18
    .sgpr_spill_count: 0
    .symbol:         _ZN2at6native29vectorized_elementwise_kernelILi2ENS0_13AUnaryFunctorIdddZZZNS0_12_GLOBAL__N_132hermite_polynomial_h_kernel_cudaERNS_18TensorIteratorBaseEENKUlvE_clEvENKUlvE_clEvEUlddE_EESt5arrayIPcLm2EEEEviT0_T1_.kd
    .uniform_work_group_size: 1
    .uses_dynamic_stack: false
    .vgpr_count:     25
    .vgpr_spill_count: 0
    .wavefront_size: 32
    .workgroup_processor_mode: 1
  - .args:
      - .offset:         0
        .size:           4
        .value_kind:     by_value
      - .offset:         8
        .size:           16
        .value_kind:     by_value
      - .offset:         24
        .size:           16
        .value_kind:     by_value
      - .offset:         40
        .size:           1
        .value_kind:     by_value
      - .offset:         41
        .size:           1
        .value_kind:     by_value
      - .offset:         42
        .size:           1
        .value_kind:     by_value
      - .offset:         43
        .size:           1
        .value_kind:     by_value
    .group_segment_fixed_size: 0
    .kernarg_segment_align: 8
    .kernarg_segment_size: 44
    .language:       OpenCL C
    .language_version:
      - 2
      - 0
    .max_flat_workgroup_size: 256
    .name:           _ZN2at6native27unrolled_elementwise_kernelINS0_13AUnaryFunctorIdddZZZNS0_12_GLOBAL__N_132hermite_polynomial_h_kernel_cudaERNS_18TensorIteratorBaseEENKUlvE_clEvENKUlvE_clEvEUlddE_EESt5arrayIPcLm2EELi4E23TrivialOffsetCalculatorILi1EjESE_NS0_6memory15LoadWithoutCastENSF_16StoreWithoutCastEEEviT_T0_T2_T3_T4_T5_
    .private_segment_fixed_size: 0
    .sgpr_count:     18
    .sgpr_spill_count: 0
    .symbol:         _ZN2at6native27unrolled_elementwise_kernelINS0_13AUnaryFunctorIdddZZZNS0_12_GLOBAL__N_132hermite_polynomial_h_kernel_cudaERNS_18TensorIteratorBaseEENKUlvE_clEvENKUlvE_clEvEUlddE_EESt5arrayIPcLm2EELi4E23TrivialOffsetCalculatorILi1EjESE_NS0_6memory15LoadWithoutCastENSF_16StoreWithoutCastEEEviT_T0_T2_T3_T4_T5_.kd
    .uniform_work_group_size: 1
    .uses_dynamic_stack: false
    .vgpr_count:     25
    .vgpr_spill_count: 0
    .wavefront_size: 32
    .workgroup_processor_mode: 1
  - .args:
      - .offset:         0
        .size:           4
        .value_kind:     by_value
      - .offset:         8
        .size:           360
        .value_kind:     by_value
    .group_segment_fixed_size: 0
    .kernarg_segment_align: 8
    .kernarg_segment_size: 368
    .language:       OpenCL C
    .language_version:
      - 2
      - 0
    .max_flat_workgroup_size: 128
    .name:           _ZN2at6native32elementwise_kernel_manual_unrollILi128ELi4EZNS0_22gpu_kernel_impl_nocastINS0_13AUnaryFunctorIdddZZZNS0_12_GLOBAL__N_132hermite_polynomial_h_kernel_cudaERNS_18TensorIteratorBaseEENKUlvE_clEvENKUlvE_clEvEUlddE_EEEEvS6_RKT_EUlibE_EEviT1_
    .private_segment_fixed_size: 0
    .sgpr_count:     58
    .sgpr_spill_count: 0
    .symbol:         _ZN2at6native32elementwise_kernel_manual_unrollILi128ELi4EZNS0_22gpu_kernel_impl_nocastINS0_13AUnaryFunctorIdddZZZNS0_12_GLOBAL__N_132hermite_polynomial_h_kernel_cudaERNS_18TensorIteratorBaseEENKUlvE_clEvENKUlvE_clEvEUlddE_EEEEvS6_RKT_EUlibE_EEviT1_.kd
    .uniform_work_group_size: 1
    .uses_dynamic_stack: false
    .vgpr_count:     24
    .vgpr_spill_count: 0
    .wavefront_size: 32
    .workgroup_processor_mode: 1
  - .args:
      - .offset:         0
        .size:           4
        .value_kind:     by_value
      - .offset:         8
        .size:           48
        .value_kind:     by_value
    .group_segment_fixed_size: 0
    .kernarg_segment_align: 8
    .kernarg_segment_size: 56
    .language:       OpenCL C
    .language_version:
      - 2
      - 0
    .max_flat_workgroup_size: 128
    .name:           _ZN2at6native32elementwise_kernel_manual_unrollILi128ELi4EZNS0_15gpu_kernel_implINS0_13AUnaryFunctorIdddZZZNS0_12_GLOBAL__N_132hermite_polynomial_h_kernel_cudaERNS_18TensorIteratorBaseEENKUlvE_clEvENKUlvE_clEvEUlddE_EEEEvS6_RKT_EUlibE_EEviT1_
    .private_segment_fixed_size: 0
    .sgpr_count:     30
    .sgpr_spill_count: 0
    .symbol:         _ZN2at6native32elementwise_kernel_manual_unrollILi128ELi4EZNS0_15gpu_kernel_implINS0_13AUnaryFunctorIdddZZZNS0_12_GLOBAL__N_132hermite_polynomial_h_kernel_cudaERNS_18TensorIteratorBaseEENKUlvE_clEvENKUlvE_clEvEUlddE_EEEEvS6_RKT_EUlibE_EEviT1_.kd
    .uniform_work_group_size: 1
    .uses_dynamic_stack: false
    .vgpr_count:     19
    .vgpr_spill_count: 0
    .wavefront_size: 32
    .workgroup_processor_mode: 1
  - .args:
      - .offset:         0
        .size:           4
        .value_kind:     by_value
      - .offset:         8
        .size:           368
        .value_kind:     by_value
    .group_segment_fixed_size: 0
    .kernarg_segment_align: 8
    .kernarg_segment_size: 376
    .language:       OpenCL C
    .language_version:
      - 2
      - 0
    .max_flat_workgroup_size: 128
    .name:           _ZN2at6native32elementwise_kernel_manual_unrollILi128ELi4EZNS0_15gpu_kernel_implINS0_13AUnaryFunctorIdddZZZNS0_12_GLOBAL__N_132hermite_polynomial_h_kernel_cudaERNS_18TensorIteratorBaseEENKUlvE_clEvENKUlvE_clEvEUlddE_EEEEvS6_RKT_EUlibE0_EEviT1_
    .private_segment_fixed_size: 0
    .sgpr_count:     70
    .sgpr_spill_count: 0
    .symbol:         _ZN2at6native32elementwise_kernel_manual_unrollILi128ELi4EZNS0_15gpu_kernel_implINS0_13AUnaryFunctorIdddZZZNS0_12_GLOBAL__N_132hermite_polynomial_h_kernel_cudaERNS_18TensorIteratorBaseEENKUlvE_clEvENKUlvE_clEvEUlddE_EEEEvS6_RKT_EUlibE0_EEviT1_.kd
    .uniform_work_group_size: 1
    .uses_dynamic_stack: false
    .vgpr_count:     25
    .vgpr_spill_count: 0
    .wavefront_size: 32
    .workgroup_processor_mode: 1
  - .args:
      - .offset:         0
        .size:           4
        .value_kind:     by_value
      - .offset:         8
        .size:           16
        .value_kind:     by_value
      - .offset:         24
        .size:           16
        .value_kind:     by_value
    .group_segment_fixed_size: 0
    .kernarg_segment_align: 8
    .kernarg_segment_size: 40
    .language:       OpenCL C
    .language_version:
      - 2
      - 0
    .max_flat_workgroup_size: 256
    .name:           _ZN2at6native29vectorized_elementwise_kernelILi16ENS0_13BUnaryFunctorIdddZZZNS0_12_GLOBAL__N_132hermite_polynomial_h_kernel_cudaERNS_18TensorIteratorBaseEENKUlvE_clEvENKUlvE_clEvEUlddE_EESt5arrayIPcLm2EEEEviT0_T1_
    .private_segment_fixed_size: 0
    .sgpr_count:     20
    .sgpr_spill_count: 0
    .symbol:         _ZN2at6native29vectorized_elementwise_kernelILi16ENS0_13BUnaryFunctorIdddZZZNS0_12_GLOBAL__N_132hermite_polynomial_h_kernel_cudaERNS_18TensorIteratorBaseEENKUlvE_clEvENKUlvE_clEvEUlddE_EESt5arrayIPcLm2EEEEviT0_T1_.kd
    .uniform_work_group_size: 1
    .uses_dynamic_stack: false
    .vgpr_count:     26
    .vgpr_spill_count: 0
    .wavefront_size: 32
    .workgroup_processor_mode: 1
  - .args:
      - .offset:         0
        .size:           4
        .value_kind:     by_value
      - .offset:         8
        .size:           16
        .value_kind:     by_value
      - .offset:         24
        .size:           16
        .value_kind:     by_value
    .group_segment_fixed_size: 0
    .kernarg_segment_align: 8
    .kernarg_segment_size: 40
    .language:       OpenCL C
    .language_version:
      - 2
      - 0
    .max_flat_workgroup_size: 256
    .name:           _ZN2at6native29vectorized_elementwise_kernelILi8ENS0_13BUnaryFunctorIdddZZZNS0_12_GLOBAL__N_132hermite_polynomial_h_kernel_cudaERNS_18TensorIteratorBaseEENKUlvE_clEvENKUlvE_clEvEUlddE_EESt5arrayIPcLm2EEEEviT0_T1_
    .private_segment_fixed_size: 0
    .sgpr_count:     20
    .sgpr_spill_count: 0
    .symbol:         _ZN2at6native29vectorized_elementwise_kernelILi8ENS0_13BUnaryFunctorIdddZZZNS0_12_GLOBAL__N_132hermite_polynomial_h_kernel_cudaERNS_18TensorIteratorBaseEENKUlvE_clEvENKUlvE_clEvEUlddE_EESt5arrayIPcLm2EEEEviT0_T1_.kd
    .uniform_work_group_size: 1
    .uses_dynamic_stack: false
    .vgpr_count:     26
    .vgpr_spill_count: 0
    .wavefront_size: 32
    .workgroup_processor_mode: 1
  - .args:
      - .offset:         0
        .size:           4
        .value_kind:     by_value
      - .offset:         8
        .size:           16
        .value_kind:     by_value
      - .offset:         24
        .size:           16
        .value_kind:     by_value
    .group_segment_fixed_size: 0
    .kernarg_segment_align: 8
    .kernarg_segment_size: 40
    .language:       OpenCL C
    .language_version:
      - 2
      - 0
    .max_flat_workgroup_size: 256
    .name:           _ZN2at6native29vectorized_elementwise_kernelILi4ENS0_13BUnaryFunctorIdddZZZNS0_12_GLOBAL__N_132hermite_polynomial_h_kernel_cudaERNS_18TensorIteratorBaseEENKUlvE_clEvENKUlvE_clEvEUlddE_EESt5arrayIPcLm2EEEEviT0_T1_
    .private_segment_fixed_size: 0
    .sgpr_count:     20
    .sgpr_spill_count: 0
    .symbol:         _ZN2at6native29vectorized_elementwise_kernelILi4ENS0_13BUnaryFunctorIdddZZZNS0_12_GLOBAL__N_132hermite_polynomial_h_kernel_cudaERNS_18TensorIteratorBaseEENKUlvE_clEvENKUlvE_clEvEUlddE_EESt5arrayIPcLm2EEEEviT0_T1_.kd
    .uniform_work_group_size: 1
    .uses_dynamic_stack: false
    .vgpr_count:     26
    .vgpr_spill_count: 0
    .wavefront_size: 32
    .workgroup_processor_mode: 1
  - .args:
      - .offset:         0
        .size:           4
        .value_kind:     by_value
      - .offset:         8
        .size:           16
        .value_kind:     by_value
      - .offset:         24
        .size:           16
        .value_kind:     by_value
    .group_segment_fixed_size: 0
    .kernarg_segment_align: 8
    .kernarg_segment_size: 40
    .language:       OpenCL C
    .language_version:
      - 2
      - 0
    .max_flat_workgroup_size: 256
    .name:           _ZN2at6native29vectorized_elementwise_kernelILi2ENS0_13BUnaryFunctorIdddZZZNS0_12_GLOBAL__N_132hermite_polynomial_h_kernel_cudaERNS_18TensorIteratorBaseEENKUlvE_clEvENKUlvE_clEvEUlddE_EESt5arrayIPcLm2EEEEviT0_T1_
    .private_segment_fixed_size: 0
    .sgpr_count:     20
    .sgpr_spill_count: 0
    .symbol:         _ZN2at6native29vectorized_elementwise_kernelILi2ENS0_13BUnaryFunctorIdddZZZNS0_12_GLOBAL__N_132hermite_polynomial_h_kernel_cudaERNS_18TensorIteratorBaseEENKUlvE_clEvENKUlvE_clEvEUlddE_EESt5arrayIPcLm2EEEEviT0_T1_.kd
    .uniform_work_group_size: 1
    .uses_dynamic_stack: false
    .vgpr_count:     26
    .vgpr_spill_count: 0
    .wavefront_size: 32
    .workgroup_processor_mode: 1
  - .args:
      - .offset:         0
        .size:           4
        .value_kind:     by_value
      - .offset:         8
        .size:           16
        .value_kind:     by_value
      - .offset:         24
        .size:           16
        .value_kind:     by_value
      - .offset:         40
        .size:           1
        .value_kind:     by_value
      - .offset:         41
        .size:           1
        .value_kind:     by_value
      - .offset:         42
        .size:           1
        .value_kind:     by_value
      - .offset:         43
        .size:           1
        .value_kind:     by_value
    .group_segment_fixed_size: 0
    .kernarg_segment_align: 8
    .kernarg_segment_size: 44
    .language:       OpenCL C
    .language_version:
      - 2
      - 0
    .max_flat_workgroup_size: 256
    .name:           _ZN2at6native27unrolled_elementwise_kernelINS0_13BUnaryFunctorIdddZZZNS0_12_GLOBAL__N_132hermite_polynomial_h_kernel_cudaERNS_18TensorIteratorBaseEENKUlvE_clEvENKUlvE_clEvEUlddE_EESt5arrayIPcLm2EELi4E23TrivialOffsetCalculatorILi1EjESE_NS0_6memory15LoadWithoutCastENSF_16StoreWithoutCastEEEviT_T0_T2_T3_T4_T5_
    .private_segment_fixed_size: 0
    .sgpr_count:     18
    .sgpr_spill_count: 0
    .symbol:         _ZN2at6native27unrolled_elementwise_kernelINS0_13BUnaryFunctorIdddZZZNS0_12_GLOBAL__N_132hermite_polynomial_h_kernel_cudaERNS_18TensorIteratorBaseEENKUlvE_clEvENKUlvE_clEvEUlddE_EESt5arrayIPcLm2EELi4E23TrivialOffsetCalculatorILi1EjESE_NS0_6memory15LoadWithoutCastENSF_16StoreWithoutCastEEEviT_T0_T2_T3_T4_T5_.kd
    .uniform_work_group_size: 1
    .uses_dynamic_stack: false
    .vgpr_count:     26
    .vgpr_spill_count: 0
    .wavefront_size: 32
    .workgroup_processor_mode: 1
  - .args:
      - .offset:         0
        .size:           4
        .value_kind:     by_value
      - .offset:         8
        .size:           360
        .value_kind:     by_value
    .group_segment_fixed_size: 0
    .kernarg_segment_align: 8
    .kernarg_segment_size: 368
    .language:       OpenCL C
    .language_version:
      - 2
      - 0
    .max_flat_workgroup_size: 128
    .name:           _ZN2at6native32elementwise_kernel_manual_unrollILi128ELi4EZNS0_22gpu_kernel_impl_nocastINS0_13BUnaryFunctorIdddZZZNS0_12_GLOBAL__N_132hermite_polynomial_h_kernel_cudaERNS_18TensorIteratorBaseEENKUlvE_clEvENKUlvE_clEvEUlddE_EEEEvS6_RKT_EUlibE_EEviT1_
    .private_segment_fixed_size: 0
    .sgpr_count:     66
    .sgpr_spill_count: 0
    .symbol:         _ZN2at6native32elementwise_kernel_manual_unrollILi128ELi4EZNS0_22gpu_kernel_impl_nocastINS0_13BUnaryFunctorIdddZZZNS0_12_GLOBAL__N_132hermite_polynomial_h_kernel_cudaERNS_18TensorIteratorBaseEENKUlvE_clEvENKUlvE_clEvEUlddE_EEEEvS6_RKT_EUlibE_EEviT1_.kd
    .uniform_work_group_size: 1
    .uses_dynamic_stack: false
    .vgpr_count:     24
    .vgpr_spill_count: 0
    .wavefront_size: 32
    .workgroup_processor_mode: 1
  - .args:
      - .offset:         0
        .size:           4
        .value_kind:     by_value
      - .offset:         8
        .size:           48
        .value_kind:     by_value
    .group_segment_fixed_size: 0
    .kernarg_segment_align: 8
    .kernarg_segment_size: 56
    .language:       OpenCL C
    .language_version:
      - 2
      - 0
    .max_flat_workgroup_size: 128
    .name:           _ZN2at6native32elementwise_kernel_manual_unrollILi128ELi4EZNS0_15gpu_kernel_implINS0_13BUnaryFunctorIdddZZZNS0_12_GLOBAL__N_132hermite_polynomial_h_kernel_cudaERNS_18TensorIteratorBaseEENKUlvE_clEvENKUlvE_clEvEUlddE_EEEEvS6_RKT_EUlibE_EEviT1_
    .private_segment_fixed_size: 0
    .sgpr_count:     37
    .sgpr_spill_count: 0
    .symbol:         _ZN2at6native32elementwise_kernel_manual_unrollILi128ELi4EZNS0_15gpu_kernel_implINS0_13BUnaryFunctorIdddZZZNS0_12_GLOBAL__N_132hermite_polynomial_h_kernel_cudaERNS_18TensorIteratorBaseEENKUlvE_clEvENKUlvE_clEvEUlddE_EEEEvS6_RKT_EUlibE_EEviT1_.kd
    .uniform_work_group_size: 1
    .uses_dynamic_stack: false
    .vgpr_count:     20
    .vgpr_spill_count: 0
    .wavefront_size: 32
    .workgroup_processor_mode: 1
  - .args:
      - .offset:         0
        .size:           4
        .value_kind:     by_value
      - .offset:         8
        .size:           368
        .value_kind:     by_value
    .group_segment_fixed_size: 0
    .kernarg_segment_align: 8
    .kernarg_segment_size: 376
    .language:       OpenCL C
    .language_version:
      - 2
      - 0
    .max_flat_workgroup_size: 128
    .name:           _ZN2at6native32elementwise_kernel_manual_unrollILi128ELi4EZNS0_15gpu_kernel_implINS0_13BUnaryFunctorIdddZZZNS0_12_GLOBAL__N_132hermite_polynomial_h_kernel_cudaERNS_18TensorIteratorBaseEENKUlvE_clEvENKUlvE_clEvEUlddE_EEEEvS6_RKT_EUlibE0_EEviT1_
    .private_segment_fixed_size: 0
    .sgpr_count:     74
    .sgpr_spill_count: 0
    .symbol:         _ZN2at6native32elementwise_kernel_manual_unrollILi128ELi4EZNS0_15gpu_kernel_implINS0_13BUnaryFunctorIdddZZZNS0_12_GLOBAL__N_132hermite_polynomial_h_kernel_cudaERNS_18TensorIteratorBaseEENKUlvE_clEvENKUlvE_clEvEUlddE_EEEEvS6_RKT_EUlibE0_EEviT1_.kd
    .uniform_work_group_size: 1
    .uses_dynamic_stack: false
    .vgpr_count:     25
    .vgpr_spill_count: 0
    .wavefront_size: 32
    .workgroup_processor_mode: 1
  - .args:
      - .offset:         0
        .size:           4
        .value_kind:     by_value
      - .offset:         4
        .size:           1
        .value_kind:     by_value
      - .offset:         8
        .size:           24
        .value_kind:     by_value
    .group_segment_fixed_size: 0
    .kernarg_segment_align: 8
    .kernarg_segment_size: 32
    .language:       OpenCL C
    .language_version:
      - 2
      - 0
    .max_flat_workgroup_size: 256
    .name:           _ZN2at6native29vectorized_elementwise_kernelILi16ENS0_13BinaryFunctorIdddZZZNS0_12_GLOBAL__N_132hermite_polynomial_h_kernel_cudaERNS_18TensorIteratorBaseEENKUlvE_clEvENKUlvE_clEvEUlddE_EESt5arrayIPcLm3EEEEviT0_T1_
    .private_segment_fixed_size: 0
    .sgpr_count:     19
    .sgpr_spill_count: 0
    .symbol:         _ZN2at6native29vectorized_elementwise_kernelILi16ENS0_13BinaryFunctorIdddZZZNS0_12_GLOBAL__N_132hermite_polynomial_h_kernel_cudaERNS_18TensorIteratorBaseEENKUlvE_clEvENKUlvE_clEvEUlddE_EESt5arrayIPcLm3EEEEviT0_T1_.kd
    .uniform_work_group_size: 1
    .uses_dynamic_stack: false
    .vgpr_count:     29
    .vgpr_spill_count: 0
    .wavefront_size: 32
    .workgroup_processor_mode: 1
  - .args:
      - .offset:         0
        .size:           4
        .value_kind:     by_value
      - .offset:         4
        .size:           1
        .value_kind:     by_value
      - .offset:         8
        .size:           24
        .value_kind:     by_value
    .group_segment_fixed_size: 0
    .kernarg_segment_align: 8
    .kernarg_segment_size: 32
    .language:       OpenCL C
    .language_version:
      - 2
      - 0
    .max_flat_workgroup_size: 256
    .name:           _ZN2at6native29vectorized_elementwise_kernelILi8ENS0_13BinaryFunctorIdddZZZNS0_12_GLOBAL__N_132hermite_polynomial_h_kernel_cudaERNS_18TensorIteratorBaseEENKUlvE_clEvENKUlvE_clEvEUlddE_EESt5arrayIPcLm3EEEEviT0_T1_
    .private_segment_fixed_size: 0
    .sgpr_count:     19
    .sgpr_spill_count: 0
    .symbol:         _ZN2at6native29vectorized_elementwise_kernelILi8ENS0_13BinaryFunctorIdddZZZNS0_12_GLOBAL__N_132hermite_polynomial_h_kernel_cudaERNS_18TensorIteratorBaseEENKUlvE_clEvENKUlvE_clEvEUlddE_EESt5arrayIPcLm3EEEEviT0_T1_.kd
    .uniform_work_group_size: 1
    .uses_dynamic_stack: false
    .vgpr_count:     29
    .vgpr_spill_count: 0
    .wavefront_size: 32
    .workgroup_processor_mode: 1
  - .args:
      - .offset:         0
        .size:           4
        .value_kind:     by_value
      - .offset:         4
        .size:           1
        .value_kind:     by_value
      - .offset:         8
        .size:           24
        .value_kind:     by_value
    .group_segment_fixed_size: 0
    .kernarg_segment_align: 8
    .kernarg_segment_size: 32
    .language:       OpenCL C
    .language_version:
      - 2
      - 0
    .max_flat_workgroup_size: 256
    .name:           _ZN2at6native29vectorized_elementwise_kernelILi4ENS0_13BinaryFunctorIdddZZZNS0_12_GLOBAL__N_132hermite_polynomial_h_kernel_cudaERNS_18TensorIteratorBaseEENKUlvE_clEvENKUlvE_clEvEUlddE_EESt5arrayIPcLm3EEEEviT0_T1_
    .private_segment_fixed_size: 0
    .sgpr_count:     19
    .sgpr_spill_count: 0
    .symbol:         _ZN2at6native29vectorized_elementwise_kernelILi4ENS0_13BinaryFunctorIdddZZZNS0_12_GLOBAL__N_132hermite_polynomial_h_kernel_cudaERNS_18TensorIteratorBaseEENKUlvE_clEvENKUlvE_clEvEUlddE_EESt5arrayIPcLm3EEEEviT0_T1_.kd
    .uniform_work_group_size: 1
    .uses_dynamic_stack: false
    .vgpr_count:     29
    .vgpr_spill_count: 0
    .wavefront_size: 32
    .workgroup_processor_mode: 1
  - .args:
      - .offset:         0
        .size:           4
        .value_kind:     by_value
      - .offset:         4
        .size:           1
        .value_kind:     by_value
      - .offset:         8
        .size:           24
        .value_kind:     by_value
    .group_segment_fixed_size: 0
    .kernarg_segment_align: 8
    .kernarg_segment_size: 32
    .language:       OpenCL C
    .language_version:
      - 2
      - 0
    .max_flat_workgroup_size: 256
    .name:           _ZN2at6native29vectorized_elementwise_kernelILi2ENS0_13BinaryFunctorIdddZZZNS0_12_GLOBAL__N_132hermite_polynomial_h_kernel_cudaERNS_18TensorIteratorBaseEENKUlvE_clEvENKUlvE_clEvEUlddE_EESt5arrayIPcLm3EEEEviT0_T1_
    .private_segment_fixed_size: 0
    .sgpr_count:     19
    .sgpr_spill_count: 0
    .symbol:         _ZN2at6native29vectorized_elementwise_kernelILi2ENS0_13BinaryFunctorIdddZZZNS0_12_GLOBAL__N_132hermite_polynomial_h_kernel_cudaERNS_18TensorIteratorBaseEENKUlvE_clEvENKUlvE_clEvEUlddE_EESt5arrayIPcLm3EEEEviT0_T1_.kd
    .uniform_work_group_size: 1
    .uses_dynamic_stack: false
    .vgpr_count:     29
    .vgpr_spill_count: 0
    .wavefront_size: 32
    .workgroup_processor_mode: 1
  - .args:
      - .offset:         0
        .size:           4
        .value_kind:     by_value
      - .offset:         4
        .size:           1
        .value_kind:     by_value
      - .offset:         8
        .size:           24
        .value_kind:     by_value
      - .offset:         32
        .size:           1
        .value_kind:     by_value
      - .offset:         33
        .size:           1
        .value_kind:     by_value
      - .offset:         34
        .size:           1
        .value_kind:     by_value
      - .offset:         35
        .size:           1
        .value_kind:     by_value
    .group_segment_fixed_size: 0
    .kernarg_segment_align: 8
    .kernarg_segment_size: 36
    .language:       OpenCL C
    .language_version:
      - 2
      - 0
    .max_flat_workgroup_size: 256
    .name:           _ZN2at6native27unrolled_elementwise_kernelINS0_13BinaryFunctorIdddZZZNS0_12_GLOBAL__N_132hermite_polynomial_h_kernel_cudaERNS_18TensorIteratorBaseEENKUlvE_clEvENKUlvE_clEvEUlddE_EESt5arrayIPcLm3EELi4E23TrivialOffsetCalculatorILi2EjESD_ILi1EjENS0_6memory15LoadWithoutCastENSG_16StoreWithoutCastEEEviT_T0_T2_T3_T4_T5_
    .private_segment_fixed_size: 0
    .sgpr_count:     18
    .sgpr_spill_count: 0
    .symbol:         _ZN2at6native27unrolled_elementwise_kernelINS0_13BinaryFunctorIdddZZZNS0_12_GLOBAL__N_132hermite_polynomial_h_kernel_cudaERNS_18TensorIteratorBaseEENKUlvE_clEvENKUlvE_clEvEUlddE_EESt5arrayIPcLm3EELi4E23TrivialOffsetCalculatorILi2EjESD_ILi1EjENS0_6memory15LoadWithoutCastENSG_16StoreWithoutCastEEEviT_T0_T2_T3_T4_T5_.kd
    .uniform_work_group_size: 1
    .uses_dynamic_stack: false
    .vgpr_count:     29
    .vgpr_spill_count: 0
    .wavefront_size: 32
    .workgroup_processor_mode: 1
  - .args:
      - .offset:         0
        .size:           4
        .value_kind:     by_value
      - .offset:         8
        .size:           424
        .value_kind:     by_value
    .group_segment_fixed_size: 0
    .kernarg_segment_align: 8
    .kernarg_segment_size: 432
    .language:       OpenCL C
    .language_version:
      - 2
      - 0
    .max_flat_workgroup_size: 128
    .name:           _ZN2at6native32elementwise_kernel_manual_unrollILi128ELi4EZNS0_22gpu_kernel_impl_nocastINS0_13BinaryFunctorIdddZZZNS0_12_GLOBAL__N_132hermite_polynomial_h_kernel_cudaERNS_18TensorIteratorBaseEENKUlvE_clEvENKUlvE_clEvEUlddE_EEEEvS6_RKT_EUlibE_EEviT1_
    .private_segment_fixed_size: 0
    .sgpr_count:     46
    .sgpr_spill_count: 0
    .symbol:         _ZN2at6native32elementwise_kernel_manual_unrollILi128ELi4EZNS0_22gpu_kernel_impl_nocastINS0_13BinaryFunctorIdddZZZNS0_12_GLOBAL__N_132hermite_polynomial_h_kernel_cudaERNS_18TensorIteratorBaseEENKUlvE_clEvENKUlvE_clEvEUlddE_EEEEvS6_RKT_EUlibE_EEviT1_.kd
    .uniform_work_group_size: 1
    .uses_dynamic_stack: false
    .vgpr_count:     22
    .vgpr_spill_count: 0
    .wavefront_size: 32
    .workgroup_processor_mode: 1
  - .args:
      - .offset:         0
        .size:           4
        .value_kind:     by_value
      - .offset:         8
        .size:           40
        .value_kind:     by_value
    .group_segment_fixed_size: 0
    .kernarg_segment_align: 8
    .kernarg_segment_size: 48
    .language:       OpenCL C
    .language_version:
      - 2
      - 0
    .max_flat_workgroup_size: 128
    .name:           _ZN2at6native32elementwise_kernel_manual_unrollILi128ELi4EZNS0_15gpu_kernel_implINS0_13BinaryFunctorIdddZZZNS0_12_GLOBAL__N_132hermite_polynomial_h_kernel_cudaERNS_18TensorIteratorBaseEENKUlvE_clEvENKUlvE_clEvEUlddE_EEEEvS6_RKT_EUlibE_EEviT1_
    .private_segment_fixed_size: 0
    .sgpr_count:     33
    .sgpr_spill_count: 0
    .symbol:         _ZN2at6native32elementwise_kernel_manual_unrollILi128ELi4EZNS0_15gpu_kernel_implINS0_13BinaryFunctorIdddZZZNS0_12_GLOBAL__N_132hermite_polynomial_h_kernel_cudaERNS_18TensorIteratorBaseEENKUlvE_clEvENKUlvE_clEvEUlddE_EEEEvS6_RKT_EUlibE_EEviT1_.kd
    .uniform_work_group_size: 1
    .uses_dynamic_stack: false
    .vgpr_count:     22
    .vgpr_spill_count: 0
    .wavefront_size: 32
    .workgroup_processor_mode: 1
  - .args:
      - .offset:         0
        .size:           4
        .value_kind:     by_value
      - .offset:         8
        .size:           424
        .value_kind:     by_value
    .group_segment_fixed_size: 0
    .kernarg_segment_align: 8
    .kernarg_segment_size: 432
    .language:       OpenCL C
    .language_version:
      - 2
      - 0
    .max_flat_workgroup_size: 128
    .name:           _ZN2at6native32elementwise_kernel_manual_unrollILi128ELi4EZNS0_15gpu_kernel_implINS0_13BinaryFunctorIdddZZZNS0_12_GLOBAL__N_132hermite_polynomial_h_kernel_cudaERNS_18TensorIteratorBaseEENKUlvE_clEvENKUlvE_clEvEUlddE_EEEEvS6_RKT_EUlibE0_EEviT1_
    .private_segment_fixed_size: 0
    .sgpr_count:     60
    .sgpr_spill_count: 0
    .symbol:         _ZN2at6native32elementwise_kernel_manual_unrollILi128ELi4EZNS0_15gpu_kernel_implINS0_13BinaryFunctorIdddZZZNS0_12_GLOBAL__N_132hermite_polynomial_h_kernel_cudaERNS_18TensorIteratorBaseEENKUlvE_clEvENKUlvE_clEvEUlddE_EEEEvS6_RKT_EUlibE0_EEviT1_.kd
    .uniform_work_group_size: 1
    .uses_dynamic_stack: false
    .vgpr_count:     25
    .vgpr_spill_count: 0
    .wavefront_size: 32
    .workgroup_processor_mode: 1
  - .args:
      - .offset:         0
        .size:           4
        .value_kind:     by_value
      - .offset:         4
        .size:           8
        .value_kind:     by_value
      - .offset:         16
        .size:           16
        .value_kind:     by_value
    .group_segment_fixed_size: 0
    .kernarg_segment_align: 8
    .kernarg_segment_size: 32
    .language:       OpenCL C
    .language_version:
      - 2
      - 0
    .max_flat_workgroup_size: 256
    .name:           _ZN2at6native29vectorized_elementwise_kernelILi16ENS0_13AUnaryFunctorIfffZZZNS0_12_GLOBAL__N_132hermite_polynomial_h_kernel_cudaERNS_18TensorIteratorBaseEENKUlvE_clEvENKUlvE0_clEvEUlffE_EESt5arrayIPcLm2EEEEviT0_T1_
    .private_segment_fixed_size: 0
    .sgpr_count:     20
    .sgpr_spill_count: 0
    .symbol:         _ZN2at6native29vectorized_elementwise_kernelILi16ENS0_13AUnaryFunctorIfffZZZNS0_12_GLOBAL__N_132hermite_polynomial_h_kernel_cudaERNS_18TensorIteratorBaseEENKUlvE_clEvENKUlvE0_clEvEUlffE_EESt5arrayIPcLm2EEEEviT0_T1_.kd
    .uniform_work_group_size: 1
    .uses_dynamic_stack: false
    .vgpr_count:     14
    .vgpr_spill_count: 0
    .wavefront_size: 32
    .workgroup_processor_mode: 1
  - .args:
      - .offset:         0
        .size:           4
        .value_kind:     by_value
      - .offset:         4
        .size:           8
        .value_kind:     by_value
      - .offset:         16
        .size:           16
        .value_kind:     by_value
    .group_segment_fixed_size: 0
    .kernarg_segment_align: 8
    .kernarg_segment_size: 32
    .language:       OpenCL C
    .language_version:
      - 2
      - 0
    .max_flat_workgroup_size: 256
    .name:           _ZN2at6native29vectorized_elementwise_kernelILi8ENS0_13AUnaryFunctorIfffZZZNS0_12_GLOBAL__N_132hermite_polynomial_h_kernel_cudaERNS_18TensorIteratorBaseEENKUlvE_clEvENKUlvE0_clEvEUlffE_EESt5arrayIPcLm2EEEEviT0_T1_
    .private_segment_fixed_size: 0
    .sgpr_count:     20
    .sgpr_spill_count: 0
    .symbol:         _ZN2at6native29vectorized_elementwise_kernelILi8ENS0_13AUnaryFunctorIfffZZZNS0_12_GLOBAL__N_132hermite_polynomial_h_kernel_cudaERNS_18TensorIteratorBaseEENKUlvE_clEvENKUlvE0_clEvEUlffE_EESt5arrayIPcLm2EEEEviT0_T1_.kd
    .uniform_work_group_size: 1
    .uses_dynamic_stack: false
    .vgpr_count:     14
    .vgpr_spill_count: 0
    .wavefront_size: 32
    .workgroup_processor_mode: 1
  - .args:
      - .offset:         0
        .size:           4
        .value_kind:     by_value
      - .offset:         4
        .size:           8
        .value_kind:     by_value
      - .offset:         16
        .size:           16
        .value_kind:     by_value
    .group_segment_fixed_size: 0
    .kernarg_segment_align: 8
    .kernarg_segment_size: 32
    .language:       OpenCL C
    .language_version:
      - 2
      - 0
    .max_flat_workgroup_size: 256
    .name:           _ZN2at6native29vectorized_elementwise_kernelILi4ENS0_13AUnaryFunctorIfffZZZNS0_12_GLOBAL__N_132hermite_polynomial_h_kernel_cudaERNS_18TensorIteratorBaseEENKUlvE_clEvENKUlvE0_clEvEUlffE_EESt5arrayIPcLm2EEEEviT0_T1_
    .private_segment_fixed_size: 0
    .sgpr_count:     20
    .sgpr_spill_count: 0
    .symbol:         _ZN2at6native29vectorized_elementwise_kernelILi4ENS0_13AUnaryFunctorIfffZZZNS0_12_GLOBAL__N_132hermite_polynomial_h_kernel_cudaERNS_18TensorIteratorBaseEENKUlvE_clEvENKUlvE0_clEvEUlffE_EESt5arrayIPcLm2EEEEviT0_T1_.kd
    .uniform_work_group_size: 1
    .uses_dynamic_stack: false
    .vgpr_count:     14
    .vgpr_spill_count: 0
    .wavefront_size: 32
    .workgroup_processor_mode: 1
  - .args:
      - .offset:         0
        .size:           4
        .value_kind:     by_value
      - .offset:         4
        .size:           8
        .value_kind:     by_value
      - .offset:         16
        .size:           16
        .value_kind:     by_value
    .group_segment_fixed_size: 0
    .kernarg_segment_align: 8
    .kernarg_segment_size: 32
    .language:       OpenCL C
    .language_version:
      - 2
      - 0
    .max_flat_workgroup_size: 256
    .name:           _ZN2at6native29vectorized_elementwise_kernelILi2ENS0_13AUnaryFunctorIfffZZZNS0_12_GLOBAL__N_132hermite_polynomial_h_kernel_cudaERNS_18TensorIteratorBaseEENKUlvE_clEvENKUlvE0_clEvEUlffE_EESt5arrayIPcLm2EEEEviT0_T1_
    .private_segment_fixed_size: 0
    .sgpr_count:     20
    .sgpr_spill_count: 0
    .symbol:         _ZN2at6native29vectorized_elementwise_kernelILi2ENS0_13AUnaryFunctorIfffZZZNS0_12_GLOBAL__N_132hermite_polynomial_h_kernel_cudaERNS_18TensorIteratorBaseEENKUlvE_clEvENKUlvE0_clEvEUlffE_EESt5arrayIPcLm2EEEEviT0_T1_.kd
    .uniform_work_group_size: 1
    .uses_dynamic_stack: false
    .vgpr_count:     14
    .vgpr_spill_count: 0
    .wavefront_size: 32
    .workgroup_processor_mode: 1
  - .args:
      - .offset:         0
        .size:           4
        .value_kind:     by_value
      - .offset:         4
        .size:           8
        .value_kind:     by_value
      - .offset:         16
        .size:           16
        .value_kind:     by_value
      - .offset:         32
        .size:           1
        .value_kind:     by_value
      - .offset:         33
        .size:           1
        .value_kind:     by_value
      - .offset:         34
        .size:           1
        .value_kind:     by_value
      - .offset:         35
        .size:           1
        .value_kind:     by_value
    .group_segment_fixed_size: 0
    .kernarg_segment_align: 8
    .kernarg_segment_size: 36
    .language:       OpenCL C
    .language_version:
      - 2
      - 0
    .max_flat_workgroup_size: 256
    .name:           _ZN2at6native27unrolled_elementwise_kernelINS0_13AUnaryFunctorIfffZZZNS0_12_GLOBAL__N_132hermite_polynomial_h_kernel_cudaERNS_18TensorIteratorBaseEENKUlvE_clEvENKUlvE0_clEvEUlffE_EESt5arrayIPcLm2EELi4E23TrivialOffsetCalculatorILi1EjESE_NS0_6memory15LoadWithoutCastENSF_16StoreWithoutCastEEEviT_T0_T2_T3_T4_T5_
    .private_segment_fixed_size: 0
    .sgpr_count:     18
    .sgpr_spill_count: 0
    .symbol:         _ZN2at6native27unrolled_elementwise_kernelINS0_13AUnaryFunctorIfffZZZNS0_12_GLOBAL__N_132hermite_polynomial_h_kernel_cudaERNS_18TensorIteratorBaseEENKUlvE_clEvENKUlvE0_clEvEUlffE_EESt5arrayIPcLm2EELi4E23TrivialOffsetCalculatorILi1EjESE_NS0_6memory15LoadWithoutCastENSF_16StoreWithoutCastEEEviT_T0_T2_T3_T4_T5_.kd
    .uniform_work_group_size: 1
    .uses_dynamic_stack: false
    .vgpr_count:     14
    .vgpr_spill_count: 0
    .wavefront_size: 32
    .workgroup_processor_mode: 1
  - .args:
      - .offset:         0
        .size:           4
        .value_kind:     by_value
      - .offset:         8
        .size:           352
        .value_kind:     by_value
    .group_segment_fixed_size: 0
    .kernarg_segment_align: 8
    .kernarg_segment_size: 360
    .language:       OpenCL C
    .language_version:
      - 2
      - 0
    .max_flat_workgroup_size: 128
    .name:           _ZN2at6native32elementwise_kernel_manual_unrollILi128ELi4EZNS0_22gpu_kernel_impl_nocastINS0_13AUnaryFunctorIfffZZZNS0_12_GLOBAL__N_132hermite_polynomial_h_kernel_cudaERNS_18TensorIteratorBaseEENKUlvE_clEvENKUlvE0_clEvEUlffE_EEEEvS6_RKT_EUlibE_EEviT1_
    .private_segment_fixed_size: 0
    .sgpr_count:     58
    .sgpr_spill_count: 0
    .symbol:         _ZN2at6native32elementwise_kernel_manual_unrollILi128ELi4EZNS0_22gpu_kernel_impl_nocastINS0_13AUnaryFunctorIfffZZZNS0_12_GLOBAL__N_132hermite_polynomial_h_kernel_cudaERNS_18TensorIteratorBaseEENKUlvE_clEvENKUlvE0_clEvEUlffE_EEEEvS6_RKT_EUlibE_EEviT1_.kd
    .uniform_work_group_size: 1
    .uses_dynamic_stack: false
    .vgpr_count:     18
    .vgpr_spill_count: 0
    .wavefront_size: 32
    .workgroup_processor_mode: 1
  - .args:
      - .offset:         0
        .size:           4
        .value_kind:     by_value
      - .offset:         8
        .size:           40
        .value_kind:     by_value
    .group_segment_fixed_size: 0
    .kernarg_segment_align: 8
    .kernarg_segment_size: 48
    .language:       OpenCL C
    .language_version:
      - 2
      - 0
    .max_flat_workgroup_size: 128
    .name:           _ZN2at6native32elementwise_kernel_manual_unrollILi128ELi4EZNS0_15gpu_kernel_implINS0_13AUnaryFunctorIfffZZZNS0_12_GLOBAL__N_132hermite_polynomial_h_kernel_cudaERNS_18TensorIteratorBaseEENKUlvE_clEvENKUlvE0_clEvEUlffE_EEEEvS6_RKT_EUlibE_EEviT1_
    .private_segment_fixed_size: 0
    .sgpr_count:     31
    .sgpr_spill_count: 0
    .symbol:         _ZN2at6native32elementwise_kernel_manual_unrollILi128ELi4EZNS0_15gpu_kernel_implINS0_13AUnaryFunctorIfffZZZNS0_12_GLOBAL__N_132hermite_polynomial_h_kernel_cudaERNS_18TensorIteratorBaseEENKUlvE_clEvENKUlvE0_clEvEUlffE_EEEEvS6_RKT_EUlibE_EEviT1_.kd
    .uniform_work_group_size: 1
    .uses_dynamic_stack: false
    .vgpr_count:     14
    .vgpr_spill_count: 0
    .wavefront_size: 32
    .workgroup_processor_mode: 1
  - .args:
      - .offset:         0
        .size:           4
        .value_kind:     by_value
      - .offset:         8
        .size:           360
        .value_kind:     by_value
    .group_segment_fixed_size: 0
    .kernarg_segment_align: 8
    .kernarg_segment_size: 368
    .language:       OpenCL C
    .language_version:
      - 2
      - 0
    .max_flat_workgroup_size: 128
    .name:           _ZN2at6native32elementwise_kernel_manual_unrollILi128ELi4EZNS0_15gpu_kernel_implINS0_13AUnaryFunctorIfffZZZNS0_12_GLOBAL__N_132hermite_polynomial_h_kernel_cudaERNS_18TensorIteratorBaseEENKUlvE_clEvENKUlvE0_clEvEUlffE_EEEEvS6_RKT_EUlibE0_EEviT1_
    .private_segment_fixed_size: 0
    .sgpr_count:     70
    .sgpr_spill_count: 0
    .symbol:         _ZN2at6native32elementwise_kernel_manual_unrollILi128ELi4EZNS0_15gpu_kernel_implINS0_13AUnaryFunctorIfffZZZNS0_12_GLOBAL__N_132hermite_polynomial_h_kernel_cudaERNS_18TensorIteratorBaseEENKUlvE_clEvENKUlvE0_clEvEUlffE_EEEEvS6_RKT_EUlibE0_EEviT1_.kd
    .uniform_work_group_size: 1
    .uses_dynamic_stack: false
    .vgpr_count:     18
    .vgpr_spill_count: 0
    .wavefront_size: 32
    .workgroup_processor_mode: 1
  - .args:
      - .offset:         0
        .size:           4
        .value_kind:     by_value
      - .offset:         4
        .size:           8
        .value_kind:     by_value
      - .offset:         16
        .size:           16
        .value_kind:     by_value
    .group_segment_fixed_size: 0
    .kernarg_segment_align: 8
    .kernarg_segment_size: 32
    .language:       OpenCL C
    .language_version:
      - 2
      - 0
    .max_flat_workgroup_size: 256
    .name:           _ZN2at6native29vectorized_elementwise_kernelILi16ENS0_13BUnaryFunctorIfffZZZNS0_12_GLOBAL__N_132hermite_polynomial_h_kernel_cudaERNS_18TensorIteratorBaseEENKUlvE_clEvENKUlvE0_clEvEUlffE_EESt5arrayIPcLm2EEEEviT0_T1_
    .private_segment_fixed_size: 0
    .sgpr_count:     22
    .sgpr_spill_count: 0
    .symbol:         _ZN2at6native29vectorized_elementwise_kernelILi16ENS0_13BUnaryFunctorIfffZZZNS0_12_GLOBAL__N_132hermite_polynomial_h_kernel_cudaERNS_18TensorIteratorBaseEENKUlvE_clEvENKUlvE0_clEvEUlffE_EESt5arrayIPcLm2EEEEviT0_T1_.kd
    .uniform_work_group_size: 1
    .uses_dynamic_stack: false
    .vgpr_count:     14
    .vgpr_spill_count: 0
    .wavefront_size: 32
    .workgroup_processor_mode: 1
  - .args:
      - .offset:         0
        .size:           4
        .value_kind:     by_value
      - .offset:         4
        .size:           8
        .value_kind:     by_value
      - .offset:         16
        .size:           16
        .value_kind:     by_value
    .group_segment_fixed_size: 0
    .kernarg_segment_align: 8
    .kernarg_segment_size: 32
    .language:       OpenCL C
    .language_version:
      - 2
      - 0
    .max_flat_workgroup_size: 256
    .name:           _ZN2at6native29vectorized_elementwise_kernelILi8ENS0_13BUnaryFunctorIfffZZZNS0_12_GLOBAL__N_132hermite_polynomial_h_kernel_cudaERNS_18TensorIteratorBaseEENKUlvE_clEvENKUlvE0_clEvEUlffE_EESt5arrayIPcLm2EEEEviT0_T1_
    .private_segment_fixed_size: 0
    .sgpr_count:     22
    .sgpr_spill_count: 0
    .symbol:         _ZN2at6native29vectorized_elementwise_kernelILi8ENS0_13BUnaryFunctorIfffZZZNS0_12_GLOBAL__N_132hermite_polynomial_h_kernel_cudaERNS_18TensorIteratorBaseEENKUlvE_clEvENKUlvE0_clEvEUlffE_EESt5arrayIPcLm2EEEEviT0_T1_.kd
    .uniform_work_group_size: 1
    .uses_dynamic_stack: false
    .vgpr_count:     14
    .vgpr_spill_count: 0
    .wavefront_size: 32
    .workgroup_processor_mode: 1
  - .args:
      - .offset:         0
        .size:           4
        .value_kind:     by_value
      - .offset:         4
        .size:           8
        .value_kind:     by_value
      - .offset:         16
        .size:           16
        .value_kind:     by_value
    .group_segment_fixed_size: 0
    .kernarg_segment_align: 8
    .kernarg_segment_size: 32
    .language:       OpenCL C
    .language_version:
      - 2
      - 0
    .max_flat_workgroup_size: 256
    .name:           _ZN2at6native29vectorized_elementwise_kernelILi4ENS0_13BUnaryFunctorIfffZZZNS0_12_GLOBAL__N_132hermite_polynomial_h_kernel_cudaERNS_18TensorIteratorBaseEENKUlvE_clEvENKUlvE0_clEvEUlffE_EESt5arrayIPcLm2EEEEviT0_T1_
    .private_segment_fixed_size: 0
    .sgpr_count:     22
    .sgpr_spill_count: 0
    .symbol:         _ZN2at6native29vectorized_elementwise_kernelILi4ENS0_13BUnaryFunctorIfffZZZNS0_12_GLOBAL__N_132hermite_polynomial_h_kernel_cudaERNS_18TensorIteratorBaseEENKUlvE_clEvENKUlvE0_clEvEUlffE_EESt5arrayIPcLm2EEEEviT0_T1_.kd
    .uniform_work_group_size: 1
    .uses_dynamic_stack: false
    .vgpr_count:     14
    .vgpr_spill_count: 0
    .wavefront_size: 32
    .workgroup_processor_mode: 1
  - .args:
      - .offset:         0
        .size:           4
        .value_kind:     by_value
      - .offset:         4
        .size:           8
        .value_kind:     by_value
      - .offset:         16
        .size:           16
        .value_kind:     by_value
    .group_segment_fixed_size: 0
    .kernarg_segment_align: 8
    .kernarg_segment_size: 32
    .language:       OpenCL C
    .language_version:
      - 2
      - 0
    .max_flat_workgroup_size: 256
    .name:           _ZN2at6native29vectorized_elementwise_kernelILi2ENS0_13BUnaryFunctorIfffZZZNS0_12_GLOBAL__N_132hermite_polynomial_h_kernel_cudaERNS_18TensorIteratorBaseEENKUlvE_clEvENKUlvE0_clEvEUlffE_EESt5arrayIPcLm2EEEEviT0_T1_
    .private_segment_fixed_size: 0
    .sgpr_count:     22
    .sgpr_spill_count: 0
    .symbol:         _ZN2at6native29vectorized_elementwise_kernelILi2ENS0_13BUnaryFunctorIfffZZZNS0_12_GLOBAL__N_132hermite_polynomial_h_kernel_cudaERNS_18TensorIteratorBaseEENKUlvE_clEvENKUlvE0_clEvEUlffE_EESt5arrayIPcLm2EEEEviT0_T1_.kd
    .uniform_work_group_size: 1
    .uses_dynamic_stack: false
    .vgpr_count:     14
    .vgpr_spill_count: 0
    .wavefront_size: 32
    .workgroup_processor_mode: 1
  - .args:
      - .offset:         0
        .size:           4
        .value_kind:     by_value
      - .offset:         4
        .size:           8
        .value_kind:     by_value
      - .offset:         16
        .size:           16
        .value_kind:     by_value
      - .offset:         32
        .size:           1
        .value_kind:     by_value
      - .offset:         33
        .size:           1
        .value_kind:     by_value
      - .offset:         34
        .size:           1
        .value_kind:     by_value
      - .offset:         35
        .size:           1
        .value_kind:     by_value
    .group_segment_fixed_size: 0
    .kernarg_segment_align: 8
    .kernarg_segment_size: 36
    .language:       OpenCL C
    .language_version:
      - 2
      - 0
    .max_flat_workgroup_size: 256
    .name:           _ZN2at6native27unrolled_elementwise_kernelINS0_13BUnaryFunctorIfffZZZNS0_12_GLOBAL__N_132hermite_polynomial_h_kernel_cudaERNS_18TensorIteratorBaseEENKUlvE_clEvENKUlvE0_clEvEUlffE_EESt5arrayIPcLm2EELi4E23TrivialOffsetCalculatorILi1EjESE_NS0_6memory15LoadWithoutCastENSF_16StoreWithoutCastEEEviT_T0_T2_T3_T4_T5_
    .private_segment_fixed_size: 0
    .sgpr_count:     18
    .sgpr_spill_count: 0
    .symbol:         _ZN2at6native27unrolled_elementwise_kernelINS0_13BUnaryFunctorIfffZZZNS0_12_GLOBAL__N_132hermite_polynomial_h_kernel_cudaERNS_18TensorIteratorBaseEENKUlvE_clEvENKUlvE0_clEvEUlffE_EESt5arrayIPcLm2EELi4E23TrivialOffsetCalculatorILi1EjESE_NS0_6memory15LoadWithoutCastENSF_16StoreWithoutCastEEEviT_T0_T2_T3_T4_T5_.kd
    .uniform_work_group_size: 1
    .uses_dynamic_stack: false
    .vgpr_count:     14
    .vgpr_spill_count: 0
    .wavefront_size: 32
    .workgroup_processor_mode: 1
  - .args:
      - .offset:         0
        .size:           4
        .value_kind:     by_value
      - .offset:         8
        .size:           352
        .value_kind:     by_value
    .group_segment_fixed_size: 0
    .kernarg_segment_align: 8
    .kernarg_segment_size: 360
    .language:       OpenCL C
    .language_version:
      - 2
      - 0
    .max_flat_workgroup_size: 128
    .name:           _ZN2at6native32elementwise_kernel_manual_unrollILi128ELi4EZNS0_22gpu_kernel_impl_nocastINS0_13BUnaryFunctorIfffZZZNS0_12_GLOBAL__N_132hermite_polynomial_h_kernel_cudaERNS_18TensorIteratorBaseEENKUlvE_clEvENKUlvE0_clEvEUlffE_EEEEvS6_RKT_EUlibE_EEviT1_
    .private_segment_fixed_size: 0
    .sgpr_count:     66
    .sgpr_spill_count: 0
    .symbol:         _ZN2at6native32elementwise_kernel_manual_unrollILi128ELi4EZNS0_22gpu_kernel_impl_nocastINS0_13BUnaryFunctorIfffZZZNS0_12_GLOBAL__N_132hermite_polynomial_h_kernel_cudaERNS_18TensorIteratorBaseEENKUlvE_clEvENKUlvE0_clEvEUlffE_EEEEvS6_RKT_EUlibE_EEviT1_.kd
    .uniform_work_group_size: 1
    .uses_dynamic_stack: false
    .vgpr_count:     18
    .vgpr_spill_count: 0
    .wavefront_size: 32
    .workgroup_processor_mode: 1
  - .args:
      - .offset:         0
        .size:           4
        .value_kind:     by_value
      - .offset:         8
        .size:           40
        .value_kind:     by_value
    .group_segment_fixed_size: 0
    .kernarg_segment_align: 8
    .kernarg_segment_size: 48
    .language:       OpenCL C
    .language_version:
      - 2
      - 0
    .max_flat_workgroup_size: 128
    .name:           _ZN2at6native32elementwise_kernel_manual_unrollILi128ELi4EZNS0_15gpu_kernel_implINS0_13BUnaryFunctorIfffZZZNS0_12_GLOBAL__N_132hermite_polynomial_h_kernel_cudaERNS_18TensorIteratorBaseEENKUlvE_clEvENKUlvE0_clEvEUlffE_EEEEvS6_RKT_EUlibE_EEviT1_
    .private_segment_fixed_size: 0
    .sgpr_count:     34
    .sgpr_spill_count: 0
    .symbol:         _ZN2at6native32elementwise_kernel_manual_unrollILi128ELi4EZNS0_15gpu_kernel_implINS0_13BUnaryFunctorIfffZZZNS0_12_GLOBAL__N_132hermite_polynomial_h_kernel_cudaERNS_18TensorIteratorBaseEENKUlvE_clEvENKUlvE0_clEvEUlffE_EEEEvS6_RKT_EUlibE_EEviT1_.kd
    .uniform_work_group_size: 1
    .uses_dynamic_stack: false
    .vgpr_count:     13
    .vgpr_spill_count: 0
    .wavefront_size: 32
    .workgroup_processor_mode: 1
  - .args:
      - .offset:         0
        .size:           4
        .value_kind:     by_value
      - .offset:         8
        .size:           360
        .value_kind:     by_value
    .group_segment_fixed_size: 0
    .kernarg_segment_align: 8
    .kernarg_segment_size: 368
    .language:       OpenCL C
    .language_version:
      - 2
      - 0
    .max_flat_workgroup_size: 128
    .name:           _ZN2at6native32elementwise_kernel_manual_unrollILi128ELi4EZNS0_15gpu_kernel_implINS0_13BUnaryFunctorIfffZZZNS0_12_GLOBAL__N_132hermite_polynomial_h_kernel_cudaERNS_18TensorIteratorBaseEENKUlvE_clEvENKUlvE0_clEvEUlffE_EEEEvS6_RKT_EUlibE0_EEviT1_
    .private_segment_fixed_size: 0
    .sgpr_count:     74
    .sgpr_spill_count: 0
    .symbol:         _ZN2at6native32elementwise_kernel_manual_unrollILi128ELi4EZNS0_15gpu_kernel_implINS0_13BUnaryFunctorIfffZZZNS0_12_GLOBAL__N_132hermite_polynomial_h_kernel_cudaERNS_18TensorIteratorBaseEENKUlvE_clEvENKUlvE0_clEvEUlffE_EEEEvS6_RKT_EUlibE0_EEviT1_.kd
    .uniform_work_group_size: 1
    .uses_dynamic_stack: false
    .vgpr_count:     18
    .vgpr_spill_count: 0
    .wavefront_size: 32
    .workgroup_processor_mode: 1
  - .args:
      - .offset:         0
        .size:           4
        .value_kind:     by_value
      - .offset:         4
        .size:           1
        .value_kind:     by_value
      - .offset:         8
        .size:           24
        .value_kind:     by_value
    .group_segment_fixed_size: 0
    .kernarg_segment_align: 8
    .kernarg_segment_size: 32
    .language:       OpenCL C
    .language_version:
      - 2
      - 0
    .max_flat_workgroup_size: 256
    .name:           _ZN2at6native29vectorized_elementwise_kernelILi16ENS0_13BinaryFunctorIfffZZZNS0_12_GLOBAL__N_132hermite_polynomial_h_kernel_cudaERNS_18TensorIteratorBaseEENKUlvE_clEvENKUlvE0_clEvEUlffE_EESt5arrayIPcLm3EEEEviT0_T1_
    .private_segment_fixed_size: 0
    .sgpr_count:     22
    .sgpr_spill_count: 0
    .symbol:         _ZN2at6native29vectorized_elementwise_kernelILi16ENS0_13BinaryFunctorIfffZZZNS0_12_GLOBAL__N_132hermite_polynomial_h_kernel_cudaERNS_18TensorIteratorBaseEENKUlvE_clEvENKUlvE0_clEvEUlffE_EESt5arrayIPcLm3EEEEviT0_T1_.kd
    .uniform_work_group_size: 1
    .uses_dynamic_stack: false
    .vgpr_count:     16
    .vgpr_spill_count: 0
    .wavefront_size: 32
    .workgroup_processor_mode: 1
  - .args:
      - .offset:         0
        .size:           4
        .value_kind:     by_value
      - .offset:         4
        .size:           1
        .value_kind:     by_value
      - .offset:         8
        .size:           24
        .value_kind:     by_value
    .group_segment_fixed_size: 0
    .kernarg_segment_align: 8
    .kernarg_segment_size: 32
    .language:       OpenCL C
    .language_version:
      - 2
      - 0
    .max_flat_workgroup_size: 256
    .name:           _ZN2at6native29vectorized_elementwise_kernelILi8ENS0_13BinaryFunctorIfffZZZNS0_12_GLOBAL__N_132hermite_polynomial_h_kernel_cudaERNS_18TensorIteratorBaseEENKUlvE_clEvENKUlvE0_clEvEUlffE_EESt5arrayIPcLm3EEEEviT0_T1_
    .private_segment_fixed_size: 0
    .sgpr_count:     22
    .sgpr_spill_count: 0
    .symbol:         _ZN2at6native29vectorized_elementwise_kernelILi8ENS0_13BinaryFunctorIfffZZZNS0_12_GLOBAL__N_132hermite_polynomial_h_kernel_cudaERNS_18TensorIteratorBaseEENKUlvE_clEvENKUlvE0_clEvEUlffE_EESt5arrayIPcLm3EEEEviT0_T1_.kd
    .uniform_work_group_size: 1
    .uses_dynamic_stack: false
    .vgpr_count:     16
    .vgpr_spill_count: 0
    .wavefront_size: 32
    .workgroup_processor_mode: 1
  - .args:
      - .offset:         0
        .size:           4
        .value_kind:     by_value
      - .offset:         4
        .size:           1
        .value_kind:     by_value
      - .offset:         8
        .size:           24
        .value_kind:     by_value
    .group_segment_fixed_size: 0
    .kernarg_segment_align: 8
    .kernarg_segment_size: 32
    .language:       OpenCL C
    .language_version:
      - 2
      - 0
    .max_flat_workgroup_size: 256
    .name:           _ZN2at6native29vectorized_elementwise_kernelILi4ENS0_13BinaryFunctorIfffZZZNS0_12_GLOBAL__N_132hermite_polynomial_h_kernel_cudaERNS_18TensorIteratorBaseEENKUlvE_clEvENKUlvE0_clEvEUlffE_EESt5arrayIPcLm3EEEEviT0_T1_
    .private_segment_fixed_size: 0
    .sgpr_count:     22
    .sgpr_spill_count: 0
    .symbol:         _ZN2at6native29vectorized_elementwise_kernelILi4ENS0_13BinaryFunctorIfffZZZNS0_12_GLOBAL__N_132hermite_polynomial_h_kernel_cudaERNS_18TensorIteratorBaseEENKUlvE_clEvENKUlvE0_clEvEUlffE_EESt5arrayIPcLm3EEEEviT0_T1_.kd
    .uniform_work_group_size: 1
    .uses_dynamic_stack: false
    .vgpr_count:     16
    .vgpr_spill_count: 0
    .wavefront_size: 32
    .workgroup_processor_mode: 1
  - .args:
      - .offset:         0
        .size:           4
        .value_kind:     by_value
      - .offset:         4
        .size:           1
        .value_kind:     by_value
      - .offset:         8
        .size:           24
        .value_kind:     by_value
    .group_segment_fixed_size: 0
    .kernarg_segment_align: 8
    .kernarg_segment_size: 32
    .language:       OpenCL C
    .language_version:
      - 2
      - 0
    .max_flat_workgroup_size: 256
    .name:           _ZN2at6native29vectorized_elementwise_kernelILi2ENS0_13BinaryFunctorIfffZZZNS0_12_GLOBAL__N_132hermite_polynomial_h_kernel_cudaERNS_18TensorIteratorBaseEENKUlvE_clEvENKUlvE0_clEvEUlffE_EESt5arrayIPcLm3EEEEviT0_T1_
    .private_segment_fixed_size: 0
    .sgpr_count:     22
    .sgpr_spill_count: 0
    .symbol:         _ZN2at6native29vectorized_elementwise_kernelILi2ENS0_13BinaryFunctorIfffZZZNS0_12_GLOBAL__N_132hermite_polynomial_h_kernel_cudaERNS_18TensorIteratorBaseEENKUlvE_clEvENKUlvE0_clEvEUlffE_EESt5arrayIPcLm3EEEEviT0_T1_.kd
    .uniform_work_group_size: 1
    .uses_dynamic_stack: false
    .vgpr_count:     16
    .vgpr_spill_count: 0
    .wavefront_size: 32
    .workgroup_processor_mode: 1
  - .args:
      - .offset:         0
        .size:           4
        .value_kind:     by_value
      - .offset:         4
        .size:           1
        .value_kind:     by_value
      - .offset:         8
        .size:           24
        .value_kind:     by_value
      - .offset:         32
        .size:           1
        .value_kind:     by_value
      - .offset:         33
        .size:           1
        .value_kind:     by_value
      - .offset:         34
        .size:           1
        .value_kind:     by_value
      - .offset:         35
        .size:           1
        .value_kind:     by_value
    .group_segment_fixed_size: 0
    .kernarg_segment_align: 8
    .kernarg_segment_size: 36
    .language:       OpenCL C
    .language_version:
      - 2
      - 0
    .max_flat_workgroup_size: 256
    .name:           _ZN2at6native27unrolled_elementwise_kernelINS0_13BinaryFunctorIfffZZZNS0_12_GLOBAL__N_132hermite_polynomial_h_kernel_cudaERNS_18TensorIteratorBaseEENKUlvE_clEvENKUlvE0_clEvEUlffE_EESt5arrayIPcLm3EELi4E23TrivialOffsetCalculatorILi2EjESD_ILi1EjENS0_6memory15LoadWithoutCastENSG_16StoreWithoutCastEEEviT_T0_T2_T3_T4_T5_
    .private_segment_fixed_size: 0
    .sgpr_count:     18
    .sgpr_spill_count: 0
    .symbol:         _ZN2at6native27unrolled_elementwise_kernelINS0_13BinaryFunctorIfffZZZNS0_12_GLOBAL__N_132hermite_polynomial_h_kernel_cudaERNS_18TensorIteratorBaseEENKUlvE_clEvENKUlvE0_clEvEUlffE_EESt5arrayIPcLm3EELi4E23TrivialOffsetCalculatorILi2EjESD_ILi1EjENS0_6memory15LoadWithoutCastENSG_16StoreWithoutCastEEEviT_T0_T2_T3_T4_T5_.kd
    .uniform_work_group_size: 1
    .uses_dynamic_stack: false
    .vgpr_count:     16
    .vgpr_spill_count: 0
    .wavefront_size: 32
    .workgroup_processor_mode: 1
  - .args:
      - .offset:         0
        .size:           4
        .value_kind:     by_value
      - .offset:         8
        .size:           424
        .value_kind:     by_value
    .group_segment_fixed_size: 0
    .kernarg_segment_align: 8
    .kernarg_segment_size: 432
    .language:       OpenCL C
    .language_version:
      - 2
      - 0
    .max_flat_workgroup_size: 128
    .name:           _ZN2at6native32elementwise_kernel_manual_unrollILi128ELi4EZNS0_22gpu_kernel_impl_nocastINS0_13BinaryFunctorIfffZZZNS0_12_GLOBAL__N_132hermite_polynomial_h_kernel_cudaERNS_18TensorIteratorBaseEENKUlvE_clEvENKUlvE0_clEvEUlffE_EEEEvS6_RKT_EUlibE_EEviT1_
    .private_segment_fixed_size: 0
    .sgpr_count:     46
    .sgpr_spill_count: 0
    .symbol:         _ZN2at6native32elementwise_kernel_manual_unrollILi128ELi4EZNS0_22gpu_kernel_impl_nocastINS0_13BinaryFunctorIfffZZZNS0_12_GLOBAL__N_132hermite_polynomial_h_kernel_cudaERNS_18TensorIteratorBaseEENKUlvE_clEvENKUlvE0_clEvEUlffE_EEEEvS6_RKT_EUlibE_EEviT1_.kd
    .uniform_work_group_size: 1
    .uses_dynamic_stack: false
    .vgpr_count:     20
    .vgpr_spill_count: 0
    .wavefront_size: 32
    .workgroup_processor_mode: 1
  - .args:
      - .offset:         0
        .size:           4
        .value_kind:     by_value
      - .offset:         4
        .size:           1
        .value_kind:     by_value
      - .offset:         8
        .size:           24
        .value_kind:     by_value
      - .offset:         32
        .size:           1
        .value_kind:     by_value
      - .offset:         33
        .size:           1
        .value_kind:     by_value
      - .offset:         36
        .size:           12
        .value_kind:     by_value
      - .offset:         48
        .size:           8
        .value_kind:     by_value
      - .offset:         56
        .size:           4
        .value_kind:     hidden_block_count_x
      - .offset:         60
        .size:           4
        .value_kind:     hidden_block_count_y
      - .offset:         64
        .size:           4
        .value_kind:     hidden_block_count_z
      - .offset:         68
        .size:           2
        .value_kind:     hidden_group_size_x
      - .offset:         70
        .size:           2
        .value_kind:     hidden_group_size_y
      - .offset:         72
        .size:           2
        .value_kind:     hidden_group_size_z
      - .offset:         74
        .size:           2
        .value_kind:     hidden_remainder_x
      - .offset:         76
        .size:           2
        .value_kind:     hidden_remainder_y
      - .offset:         78
        .size:           2
        .value_kind:     hidden_remainder_z
      - .offset:         96
        .size:           8
        .value_kind:     hidden_global_offset_x
      - .offset:         104
        .size:           8
        .value_kind:     hidden_global_offset_y
      - .offset:         112
        .size:           8
        .value_kind:     hidden_global_offset_z
      - .offset:         120
        .size:           2
        .value_kind:     hidden_grid_dims
    .group_segment_fixed_size: 0
    .kernarg_segment_align: 8
    .kernarg_segment_size: 312
    .language:       OpenCL C
    .language_version:
      - 2
      - 0
    .max_flat_workgroup_size: 512
    .name:           _ZN2at6native39vectorized_templated_elementwise_kernelILi8ENS0_13BinaryFunctorIfffZZZNS0_12_GLOBAL__N_132hermite_polynomial_h_kernel_cudaERNS_18TensorIteratorBaseEENKUlvE_clEvENKUlvE0_clEvEUlffE_EESt5arrayIPcLm3EE23TrivialOffsetCalculatorILi2EjESD_ILi1EjENS0_6memory12LoadWithCastILi2EEENSG_13StoreWithCastILi1EEEfJfN3c108BFloat16EEEEviT0_T1_T2_T3_T4_T5_
    .private_segment_fixed_size: 272
    .sgpr_count:     79
    .sgpr_spill_count: 0
    .symbol:         _ZN2at6native39vectorized_templated_elementwise_kernelILi8ENS0_13BinaryFunctorIfffZZZNS0_12_GLOBAL__N_132hermite_polynomial_h_kernel_cudaERNS_18TensorIteratorBaseEENKUlvE_clEvENKUlvE0_clEvEUlffE_EESt5arrayIPcLm3EE23TrivialOffsetCalculatorILi2EjESD_ILi1EjENS0_6memory12LoadWithCastILi2EEENSG_13StoreWithCastILi1EEEfJfN3c108BFloat16EEEEviT0_T1_T2_T3_T4_T5_.kd
    .uniform_work_group_size: 1
    .uses_dynamic_stack: false
    .vgpr_count:     68
    .vgpr_spill_count: 0
    .wavefront_size: 32
    .workgroup_processor_mode: 1
  - .args:
      - .offset:         0
        .size:           4
        .value_kind:     by_value
      - .offset:         4
        .size:           1
        .value_kind:     by_value
      - .offset:         8
        .size:           24
        .value_kind:     by_value
      - .offset:         32
        .size:           1
        .value_kind:     by_value
      - .offset:         33
        .size:           1
        .value_kind:     by_value
      - .offset:         36
        .size:           12
        .value_kind:     by_value
      - .offset:         48
        .size:           8
        .value_kind:     by_value
      - .offset:         56
        .size:           4
        .value_kind:     hidden_block_count_x
      - .offset:         60
        .size:           4
        .value_kind:     hidden_block_count_y
      - .offset:         64
        .size:           4
        .value_kind:     hidden_block_count_z
      - .offset:         68
        .size:           2
        .value_kind:     hidden_group_size_x
      - .offset:         70
        .size:           2
        .value_kind:     hidden_group_size_y
      - .offset:         72
        .size:           2
        .value_kind:     hidden_group_size_z
      - .offset:         74
        .size:           2
        .value_kind:     hidden_remainder_x
      - .offset:         76
        .size:           2
        .value_kind:     hidden_remainder_y
      - .offset:         78
        .size:           2
        .value_kind:     hidden_remainder_z
      - .offset:         96
        .size:           8
        .value_kind:     hidden_global_offset_x
      - .offset:         104
        .size:           8
        .value_kind:     hidden_global_offset_y
      - .offset:         112
        .size:           8
        .value_kind:     hidden_global_offset_z
      - .offset:         120
        .size:           2
        .value_kind:     hidden_grid_dims
    .group_segment_fixed_size: 0
    .kernarg_segment_align: 8
    .kernarg_segment_size: 312
    .language:       OpenCL C
    .language_version:
      - 2
      - 0
    .max_flat_workgroup_size: 512
    .name:           _ZN2at6native39vectorized_templated_elementwise_kernelILi4ENS0_13BinaryFunctorIfffZZZNS0_12_GLOBAL__N_132hermite_polynomial_h_kernel_cudaERNS_18TensorIteratorBaseEENKUlvE_clEvENKUlvE0_clEvEUlffE_EESt5arrayIPcLm3EE23TrivialOffsetCalculatorILi2EjESD_ILi1EjENS0_6memory12LoadWithCastILi2EEENSG_13StoreWithCastILi1EEEfJfN3c108BFloat16EEEEviT0_T1_T2_T3_T4_T5_
    .private_segment_fixed_size: 272
    .sgpr_count:     79
    .sgpr_spill_count: 0
    .symbol:         _ZN2at6native39vectorized_templated_elementwise_kernelILi4ENS0_13BinaryFunctorIfffZZZNS0_12_GLOBAL__N_132hermite_polynomial_h_kernel_cudaERNS_18TensorIteratorBaseEENKUlvE_clEvENKUlvE0_clEvEUlffE_EESt5arrayIPcLm3EE23TrivialOffsetCalculatorILi2EjESD_ILi1EjENS0_6memory12LoadWithCastILi2EEENSG_13StoreWithCastILi1EEEfJfN3c108BFloat16EEEEviT0_T1_T2_T3_T4_T5_.kd
    .uniform_work_group_size: 1
    .uses_dynamic_stack: false
    .vgpr_count:     68
    .vgpr_spill_count: 0
    .wavefront_size: 32
    .workgroup_processor_mode: 1
  - .args:
      - .offset:         0
        .size:           4
        .value_kind:     by_value
      - .offset:         4
        .size:           1
        .value_kind:     by_value
      - .offset:         8
        .size:           24
        .value_kind:     by_value
      - .offset:         32
        .size:           1
        .value_kind:     by_value
      - .offset:         33
        .size:           1
        .value_kind:     by_value
      - .offset:         36
        .size:           12
        .value_kind:     by_value
      - .offset:         48
        .size:           8
        .value_kind:     by_value
      - .offset:         56
        .size:           4
        .value_kind:     hidden_block_count_x
      - .offset:         60
        .size:           4
        .value_kind:     hidden_block_count_y
      - .offset:         64
        .size:           4
        .value_kind:     hidden_block_count_z
      - .offset:         68
        .size:           2
        .value_kind:     hidden_group_size_x
      - .offset:         70
        .size:           2
        .value_kind:     hidden_group_size_y
      - .offset:         72
        .size:           2
        .value_kind:     hidden_group_size_z
      - .offset:         74
        .size:           2
        .value_kind:     hidden_remainder_x
      - .offset:         76
        .size:           2
        .value_kind:     hidden_remainder_y
      - .offset:         78
        .size:           2
        .value_kind:     hidden_remainder_z
      - .offset:         96
        .size:           8
        .value_kind:     hidden_global_offset_x
      - .offset:         104
        .size:           8
        .value_kind:     hidden_global_offset_y
      - .offset:         112
        .size:           8
        .value_kind:     hidden_global_offset_z
      - .offset:         120
        .size:           2
        .value_kind:     hidden_grid_dims
    .group_segment_fixed_size: 0
    .kernarg_segment_align: 8
    .kernarg_segment_size: 312
    .language:       OpenCL C
    .language_version:
      - 2
      - 0
    .max_flat_workgroup_size: 512
    .name:           _ZN2at6native39vectorized_templated_elementwise_kernelILi2ENS0_13BinaryFunctorIfffZZZNS0_12_GLOBAL__N_132hermite_polynomial_h_kernel_cudaERNS_18TensorIteratorBaseEENKUlvE_clEvENKUlvE0_clEvEUlffE_EESt5arrayIPcLm3EE23TrivialOffsetCalculatorILi2EjESD_ILi1EjENS0_6memory12LoadWithCastILi2EEENSG_13StoreWithCastILi1EEEfJfN3c108BFloat16EEEEviT0_T1_T2_T3_T4_T5_
    .private_segment_fixed_size: 272
    .sgpr_count:     79
    .sgpr_spill_count: 0
    .symbol:         _ZN2at6native39vectorized_templated_elementwise_kernelILi2ENS0_13BinaryFunctorIfffZZZNS0_12_GLOBAL__N_132hermite_polynomial_h_kernel_cudaERNS_18TensorIteratorBaseEENKUlvE_clEvENKUlvE0_clEvEUlffE_EESt5arrayIPcLm3EE23TrivialOffsetCalculatorILi2EjESD_ILi1EjENS0_6memory12LoadWithCastILi2EEENSG_13StoreWithCastILi1EEEfJfN3c108BFloat16EEEEviT0_T1_T2_T3_T4_T5_.kd
    .uniform_work_group_size: 1
    .uses_dynamic_stack: false
    .vgpr_count:     68
    .vgpr_spill_count: 0
    .wavefront_size: 32
    .workgroup_processor_mode: 1
  - .args:
      - .offset:         0
        .size:           4
        .value_kind:     by_value
      - .offset:         4
        .size:           1
        .value_kind:     by_value
      - .offset:         8
        .size:           24
        .value_kind:     by_value
      - .offset:         32
        .size:           1
        .value_kind:     by_value
      - .offset:         33
        .size:           1
        .value_kind:     by_value
      - .offset:         36
        .size:           12
        .value_kind:     by_value
      - .offset:         48
        .size:           8
        .value_kind:     by_value
      - .offset:         56
        .size:           4
        .value_kind:     hidden_block_count_x
      - .offset:         60
        .size:           4
        .value_kind:     hidden_block_count_y
      - .offset:         64
        .size:           4
        .value_kind:     hidden_block_count_z
      - .offset:         68
        .size:           2
        .value_kind:     hidden_group_size_x
      - .offset:         70
        .size:           2
        .value_kind:     hidden_group_size_y
      - .offset:         72
        .size:           2
        .value_kind:     hidden_group_size_z
      - .offset:         74
        .size:           2
        .value_kind:     hidden_remainder_x
      - .offset:         76
        .size:           2
        .value_kind:     hidden_remainder_y
      - .offset:         78
        .size:           2
        .value_kind:     hidden_remainder_z
      - .offset:         96
        .size:           8
        .value_kind:     hidden_global_offset_x
      - .offset:         104
        .size:           8
        .value_kind:     hidden_global_offset_y
      - .offset:         112
        .size:           8
        .value_kind:     hidden_global_offset_z
      - .offset:         120
        .size:           2
        .value_kind:     hidden_grid_dims
    .group_segment_fixed_size: 0
    .kernarg_segment_align: 8
    .kernarg_segment_size: 312
    .language:       OpenCL C
    .language_version:
      - 2
      - 0
    .max_flat_workgroup_size: 512
    .name:           _ZN2at6native39vectorized_templated_elementwise_kernelILi8ENS0_13BinaryFunctorIfffZZZNS0_12_GLOBAL__N_132hermite_polynomial_h_kernel_cudaERNS_18TensorIteratorBaseEENKUlvE_clEvENKUlvE0_clEvEUlffE_EESt5arrayIPcLm3EE23TrivialOffsetCalculatorILi2EjESD_ILi1EjENS0_6memory12LoadWithCastILi2EEENSG_13StoreWithCastILi1EEEfJN3c108BFloat16EfEEEviT0_T1_T2_T3_T4_T5_
    .private_segment_fixed_size: 272
    .sgpr_count:     79
    .sgpr_spill_count: 0
    .symbol:         _ZN2at6native39vectorized_templated_elementwise_kernelILi8ENS0_13BinaryFunctorIfffZZZNS0_12_GLOBAL__N_132hermite_polynomial_h_kernel_cudaERNS_18TensorIteratorBaseEENKUlvE_clEvENKUlvE0_clEvEUlffE_EESt5arrayIPcLm3EE23TrivialOffsetCalculatorILi2EjESD_ILi1EjENS0_6memory12LoadWithCastILi2EEENSG_13StoreWithCastILi1EEEfJN3c108BFloat16EfEEEviT0_T1_T2_T3_T4_T5_.kd
    .uniform_work_group_size: 1
    .uses_dynamic_stack: false
    .vgpr_count:     68
    .vgpr_spill_count: 0
    .wavefront_size: 32
    .workgroup_processor_mode: 1
  - .args:
      - .offset:         0
        .size:           4
        .value_kind:     by_value
      - .offset:         4
        .size:           1
        .value_kind:     by_value
      - .offset:         8
        .size:           24
        .value_kind:     by_value
      - .offset:         32
        .size:           1
        .value_kind:     by_value
      - .offset:         33
        .size:           1
        .value_kind:     by_value
      - .offset:         36
        .size:           12
        .value_kind:     by_value
      - .offset:         48
        .size:           8
        .value_kind:     by_value
      - .offset:         56
        .size:           4
        .value_kind:     hidden_block_count_x
      - .offset:         60
        .size:           4
        .value_kind:     hidden_block_count_y
      - .offset:         64
        .size:           4
        .value_kind:     hidden_block_count_z
      - .offset:         68
        .size:           2
        .value_kind:     hidden_group_size_x
      - .offset:         70
        .size:           2
        .value_kind:     hidden_group_size_y
      - .offset:         72
        .size:           2
        .value_kind:     hidden_group_size_z
      - .offset:         74
        .size:           2
        .value_kind:     hidden_remainder_x
      - .offset:         76
        .size:           2
        .value_kind:     hidden_remainder_y
      - .offset:         78
        .size:           2
        .value_kind:     hidden_remainder_z
      - .offset:         96
        .size:           8
        .value_kind:     hidden_global_offset_x
      - .offset:         104
        .size:           8
        .value_kind:     hidden_global_offset_y
      - .offset:         112
        .size:           8
        .value_kind:     hidden_global_offset_z
      - .offset:         120
        .size:           2
        .value_kind:     hidden_grid_dims
    .group_segment_fixed_size: 0
    .kernarg_segment_align: 8
    .kernarg_segment_size: 312
    .language:       OpenCL C
    .language_version:
      - 2
      - 0
    .max_flat_workgroup_size: 512
    .name:           _ZN2at6native39vectorized_templated_elementwise_kernelILi4ENS0_13BinaryFunctorIfffZZZNS0_12_GLOBAL__N_132hermite_polynomial_h_kernel_cudaERNS_18TensorIteratorBaseEENKUlvE_clEvENKUlvE0_clEvEUlffE_EESt5arrayIPcLm3EE23TrivialOffsetCalculatorILi2EjESD_ILi1EjENS0_6memory12LoadWithCastILi2EEENSG_13StoreWithCastILi1EEEfJN3c108BFloat16EfEEEviT0_T1_T2_T3_T4_T5_
    .private_segment_fixed_size: 272
    .sgpr_count:     79
    .sgpr_spill_count: 0
    .symbol:         _ZN2at6native39vectorized_templated_elementwise_kernelILi4ENS0_13BinaryFunctorIfffZZZNS0_12_GLOBAL__N_132hermite_polynomial_h_kernel_cudaERNS_18TensorIteratorBaseEENKUlvE_clEvENKUlvE0_clEvEUlffE_EESt5arrayIPcLm3EE23TrivialOffsetCalculatorILi2EjESD_ILi1EjENS0_6memory12LoadWithCastILi2EEENSG_13StoreWithCastILi1EEEfJN3c108BFloat16EfEEEviT0_T1_T2_T3_T4_T5_.kd
    .uniform_work_group_size: 1
    .uses_dynamic_stack: false
    .vgpr_count:     68
    .vgpr_spill_count: 0
    .wavefront_size: 32
    .workgroup_processor_mode: 1
  - .args:
      - .offset:         0
        .size:           4
        .value_kind:     by_value
      - .offset:         4
        .size:           1
        .value_kind:     by_value
      - .offset:         8
        .size:           24
        .value_kind:     by_value
      - .offset:         32
        .size:           1
        .value_kind:     by_value
      - .offset:         33
        .size:           1
        .value_kind:     by_value
      - .offset:         36
        .size:           12
        .value_kind:     by_value
      - .offset:         48
        .size:           8
        .value_kind:     by_value
      - .offset:         56
        .size:           4
        .value_kind:     hidden_block_count_x
      - .offset:         60
        .size:           4
        .value_kind:     hidden_block_count_y
      - .offset:         64
        .size:           4
        .value_kind:     hidden_block_count_z
      - .offset:         68
        .size:           2
        .value_kind:     hidden_group_size_x
      - .offset:         70
        .size:           2
        .value_kind:     hidden_group_size_y
      - .offset:         72
        .size:           2
        .value_kind:     hidden_group_size_z
      - .offset:         74
        .size:           2
        .value_kind:     hidden_remainder_x
      - .offset:         76
        .size:           2
        .value_kind:     hidden_remainder_y
      - .offset:         78
        .size:           2
        .value_kind:     hidden_remainder_z
      - .offset:         96
        .size:           8
        .value_kind:     hidden_global_offset_x
      - .offset:         104
        .size:           8
        .value_kind:     hidden_global_offset_y
      - .offset:         112
        .size:           8
        .value_kind:     hidden_global_offset_z
      - .offset:         120
        .size:           2
        .value_kind:     hidden_grid_dims
    .group_segment_fixed_size: 0
    .kernarg_segment_align: 8
    .kernarg_segment_size: 312
    .language:       OpenCL C
    .language_version:
      - 2
      - 0
    .max_flat_workgroup_size: 512
    .name:           _ZN2at6native39vectorized_templated_elementwise_kernelILi2ENS0_13BinaryFunctorIfffZZZNS0_12_GLOBAL__N_132hermite_polynomial_h_kernel_cudaERNS_18TensorIteratorBaseEENKUlvE_clEvENKUlvE0_clEvEUlffE_EESt5arrayIPcLm3EE23TrivialOffsetCalculatorILi2EjESD_ILi1EjENS0_6memory12LoadWithCastILi2EEENSG_13StoreWithCastILi1EEEfJN3c108BFloat16EfEEEviT0_T1_T2_T3_T4_T5_
    .private_segment_fixed_size: 272
    .sgpr_count:     79
    .sgpr_spill_count: 0
    .symbol:         _ZN2at6native39vectorized_templated_elementwise_kernelILi2ENS0_13BinaryFunctorIfffZZZNS0_12_GLOBAL__N_132hermite_polynomial_h_kernel_cudaERNS_18TensorIteratorBaseEENKUlvE_clEvENKUlvE0_clEvEUlffE_EESt5arrayIPcLm3EE23TrivialOffsetCalculatorILi2EjESD_ILi1EjENS0_6memory12LoadWithCastILi2EEENSG_13StoreWithCastILi1EEEfJN3c108BFloat16EfEEEviT0_T1_T2_T3_T4_T5_.kd
    .uniform_work_group_size: 1
    .uses_dynamic_stack: false
    .vgpr_count:     68
    .vgpr_spill_count: 0
    .wavefront_size: 32
    .workgroup_processor_mode: 1
  - .args:
      - .offset:         0
        .size:           4
        .value_kind:     by_value
      - .offset:         4
        .size:           1
        .value_kind:     by_value
      - .offset:         8
        .size:           24
        .value_kind:     by_value
      - .offset:         32
        .size:           1
        .value_kind:     by_value
      - .offset:         33
        .size:           1
        .value_kind:     by_value
      - .offset:         36
        .size:           12
        .value_kind:     by_value
      - .offset:         48
        .size:           8
        .value_kind:     by_value
      - .offset:         56
        .size:           4
        .value_kind:     hidden_block_count_x
      - .offset:         60
        .size:           4
        .value_kind:     hidden_block_count_y
      - .offset:         64
        .size:           4
        .value_kind:     hidden_block_count_z
      - .offset:         68
        .size:           2
        .value_kind:     hidden_group_size_x
      - .offset:         70
        .size:           2
        .value_kind:     hidden_group_size_y
      - .offset:         72
        .size:           2
        .value_kind:     hidden_group_size_z
      - .offset:         74
        .size:           2
        .value_kind:     hidden_remainder_x
      - .offset:         76
        .size:           2
        .value_kind:     hidden_remainder_y
      - .offset:         78
        .size:           2
        .value_kind:     hidden_remainder_z
      - .offset:         96
        .size:           8
        .value_kind:     hidden_global_offset_x
      - .offset:         104
        .size:           8
        .value_kind:     hidden_global_offset_y
      - .offset:         112
        .size:           8
        .value_kind:     hidden_global_offset_z
      - .offset:         120
        .size:           2
        .value_kind:     hidden_grid_dims
    .group_segment_fixed_size: 0
    .kernarg_segment_align: 8
    .kernarg_segment_size: 312
    .language:       OpenCL C
    .language_version:
      - 2
      - 0
    .max_flat_workgroup_size: 512
    .name:           _ZN2at6native39vectorized_templated_elementwise_kernelILi8ENS0_13BinaryFunctorIfffZZZNS0_12_GLOBAL__N_132hermite_polynomial_h_kernel_cudaERNS_18TensorIteratorBaseEENKUlvE_clEvENKUlvE0_clEvEUlffE_EESt5arrayIPcLm3EE23TrivialOffsetCalculatorILi2EjESD_ILi1EjENS0_6memory12LoadWithCastILi2EEENSG_13StoreWithCastILi1EEEN3c108BFloat16EJSM_fEEEviT0_T1_T2_T3_T4_T5_
    .private_segment_fixed_size: 272
    .sgpr_count:     79
    .sgpr_spill_count: 0
    .symbol:         _ZN2at6native39vectorized_templated_elementwise_kernelILi8ENS0_13BinaryFunctorIfffZZZNS0_12_GLOBAL__N_132hermite_polynomial_h_kernel_cudaERNS_18TensorIteratorBaseEENKUlvE_clEvENKUlvE0_clEvEUlffE_EESt5arrayIPcLm3EE23TrivialOffsetCalculatorILi2EjESD_ILi1EjENS0_6memory12LoadWithCastILi2EEENSG_13StoreWithCastILi1EEEN3c108BFloat16EJSM_fEEEviT0_T1_T2_T3_T4_T5_.kd
    .uniform_work_group_size: 1
    .uses_dynamic_stack: false
    .vgpr_count:     68
    .vgpr_spill_count: 0
    .wavefront_size: 32
    .workgroup_processor_mode: 1
  - .args:
      - .offset:         0
        .size:           4
        .value_kind:     by_value
      - .offset:         4
        .size:           1
        .value_kind:     by_value
      - .offset:         8
        .size:           24
        .value_kind:     by_value
      - .offset:         32
        .size:           1
        .value_kind:     by_value
      - .offset:         33
        .size:           1
        .value_kind:     by_value
      - .offset:         36
        .size:           12
        .value_kind:     by_value
      - .offset:         48
        .size:           8
        .value_kind:     by_value
      - .offset:         56
        .size:           4
        .value_kind:     hidden_block_count_x
      - .offset:         60
        .size:           4
        .value_kind:     hidden_block_count_y
      - .offset:         64
        .size:           4
        .value_kind:     hidden_block_count_z
      - .offset:         68
        .size:           2
        .value_kind:     hidden_group_size_x
      - .offset:         70
        .size:           2
        .value_kind:     hidden_group_size_y
      - .offset:         72
        .size:           2
        .value_kind:     hidden_group_size_z
      - .offset:         74
        .size:           2
        .value_kind:     hidden_remainder_x
      - .offset:         76
        .size:           2
        .value_kind:     hidden_remainder_y
      - .offset:         78
        .size:           2
        .value_kind:     hidden_remainder_z
      - .offset:         96
        .size:           8
        .value_kind:     hidden_global_offset_x
      - .offset:         104
        .size:           8
        .value_kind:     hidden_global_offset_y
      - .offset:         112
        .size:           8
        .value_kind:     hidden_global_offset_z
      - .offset:         120
        .size:           2
        .value_kind:     hidden_grid_dims
    .group_segment_fixed_size: 0
    .kernarg_segment_align: 8
    .kernarg_segment_size: 312
    .language:       OpenCL C
    .language_version:
      - 2
      - 0
    .max_flat_workgroup_size: 512
    .name:           _ZN2at6native39vectorized_templated_elementwise_kernelILi4ENS0_13BinaryFunctorIfffZZZNS0_12_GLOBAL__N_132hermite_polynomial_h_kernel_cudaERNS_18TensorIteratorBaseEENKUlvE_clEvENKUlvE0_clEvEUlffE_EESt5arrayIPcLm3EE23TrivialOffsetCalculatorILi2EjESD_ILi1EjENS0_6memory12LoadWithCastILi2EEENSG_13StoreWithCastILi1EEEN3c108BFloat16EJSM_fEEEviT0_T1_T2_T3_T4_T5_
    .private_segment_fixed_size: 272
    .sgpr_count:     79
    .sgpr_spill_count: 0
    .symbol:         _ZN2at6native39vectorized_templated_elementwise_kernelILi4ENS0_13BinaryFunctorIfffZZZNS0_12_GLOBAL__N_132hermite_polynomial_h_kernel_cudaERNS_18TensorIteratorBaseEENKUlvE_clEvENKUlvE0_clEvEUlffE_EESt5arrayIPcLm3EE23TrivialOffsetCalculatorILi2EjESD_ILi1EjENS0_6memory12LoadWithCastILi2EEENSG_13StoreWithCastILi1EEEN3c108BFloat16EJSM_fEEEviT0_T1_T2_T3_T4_T5_.kd
    .uniform_work_group_size: 1
    .uses_dynamic_stack: false
    .vgpr_count:     68
    .vgpr_spill_count: 0
    .wavefront_size: 32
    .workgroup_processor_mode: 1
  - .args:
      - .offset:         0
        .size:           4
        .value_kind:     by_value
      - .offset:         4
        .size:           1
        .value_kind:     by_value
      - .offset:         8
        .size:           24
        .value_kind:     by_value
      - .offset:         32
        .size:           1
        .value_kind:     by_value
      - .offset:         33
        .size:           1
        .value_kind:     by_value
      - .offset:         36
        .size:           12
        .value_kind:     by_value
      - .offset:         48
        .size:           8
        .value_kind:     by_value
      - .offset:         56
        .size:           4
        .value_kind:     hidden_block_count_x
      - .offset:         60
        .size:           4
        .value_kind:     hidden_block_count_y
      - .offset:         64
        .size:           4
        .value_kind:     hidden_block_count_z
      - .offset:         68
        .size:           2
        .value_kind:     hidden_group_size_x
      - .offset:         70
        .size:           2
        .value_kind:     hidden_group_size_y
      - .offset:         72
        .size:           2
        .value_kind:     hidden_group_size_z
      - .offset:         74
        .size:           2
        .value_kind:     hidden_remainder_x
      - .offset:         76
        .size:           2
        .value_kind:     hidden_remainder_y
      - .offset:         78
        .size:           2
        .value_kind:     hidden_remainder_z
      - .offset:         96
        .size:           8
        .value_kind:     hidden_global_offset_x
      - .offset:         104
        .size:           8
        .value_kind:     hidden_global_offset_y
      - .offset:         112
        .size:           8
        .value_kind:     hidden_global_offset_z
      - .offset:         120
        .size:           2
        .value_kind:     hidden_grid_dims
    .group_segment_fixed_size: 0
    .kernarg_segment_align: 8
    .kernarg_segment_size: 312
    .language:       OpenCL C
    .language_version:
      - 2
      - 0
    .max_flat_workgroup_size: 512
    .name:           _ZN2at6native39vectorized_templated_elementwise_kernelILi2ENS0_13BinaryFunctorIfffZZZNS0_12_GLOBAL__N_132hermite_polynomial_h_kernel_cudaERNS_18TensorIteratorBaseEENKUlvE_clEvENKUlvE0_clEvEUlffE_EESt5arrayIPcLm3EE23TrivialOffsetCalculatorILi2EjESD_ILi1EjENS0_6memory12LoadWithCastILi2EEENSG_13StoreWithCastILi1EEEN3c108BFloat16EJSM_fEEEviT0_T1_T2_T3_T4_T5_
    .private_segment_fixed_size: 272
    .sgpr_count:     79
    .sgpr_spill_count: 0
    .symbol:         _ZN2at6native39vectorized_templated_elementwise_kernelILi2ENS0_13BinaryFunctorIfffZZZNS0_12_GLOBAL__N_132hermite_polynomial_h_kernel_cudaERNS_18TensorIteratorBaseEENKUlvE_clEvENKUlvE0_clEvEUlffE_EESt5arrayIPcLm3EE23TrivialOffsetCalculatorILi2EjESD_ILi1EjENS0_6memory12LoadWithCastILi2EEENSG_13StoreWithCastILi1EEEN3c108BFloat16EJSM_fEEEviT0_T1_T2_T3_T4_T5_.kd
    .uniform_work_group_size: 1
    .uses_dynamic_stack: false
    .vgpr_count:     68
    .vgpr_spill_count: 0
    .wavefront_size: 32
    .workgroup_processor_mode: 1
  - .args:
      - .offset:         0
        .size:           4
        .value_kind:     by_value
      - .offset:         4
        .size:           1
        .value_kind:     by_value
      - .offset:         8
        .size:           24
        .value_kind:     by_value
      - .offset:         32
        .size:           1
        .value_kind:     by_value
      - .offset:         33
        .size:           1
        .value_kind:     by_value
      - .offset:         36
        .size:           12
        .value_kind:     by_value
      - .offset:         48
        .size:           8
        .value_kind:     by_value
      - .offset:         56
        .size:           4
        .value_kind:     hidden_block_count_x
      - .offset:         60
        .size:           4
        .value_kind:     hidden_block_count_y
      - .offset:         64
        .size:           4
        .value_kind:     hidden_block_count_z
      - .offset:         68
        .size:           2
        .value_kind:     hidden_group_size_x
      - .offset:         70
        .size:           2
        .value_kind:     hidden_group_size_y
      - .offset:         72
        .size:           2
        .value_kind:     hidden_group_size_z
      - .offset:         74
        .size:           2
        .value_kind:     hidden_remainder_x
      - .offset:         76
        .size:           2
        .value_kind:     hidden_remainder_y
      - .offset:         78
        .size:           2
        .value_kind:     hidden_remainder_z
      - .offset:         96
        .size:           8
        .value_kind:     hidden_global_offset_x
      - .offset:         104
        .size:           8
        .value_kind:     hidden_global_offset_y
      - .offset:         112
        .size:           8
        .value_kind:     hidden_global_offset_z
      - .offset:         120
        .size:           2
        .value_kind:     hidden_grid_dims
    .group_segment_fixed_size: 0
    .kernarg_segment_align: 8
    .kernarg_segment_size: 312
    .language:       OpenCL C
    .language_version:
      - 2
      - 0
    .max_flat_workgroup_size: 512
    .name:           _ZN2at6native39vectorized_templated_elementwise_kernelILi8ENS0_13BinaryFunctorIfffZZZNS0_12_GLOBAL__N_132hermite_polynomial_h_kernel_cudaERNS_18TensorIteratorBaseEENKUlvE_clEvENKUlvE0_clEvEUlffE_EESt5arrayIPcLm3EE23TrivialOffsetCalculatorILi2EjESD_ILi1EjENS0_6memory12LoadWithCastILi2EEENSG_13StoreWithCastILi1EEEfJfN3c104HalfEEEEviT0_T1_T2_T3_T4_T5_
    .private_segment_fixed_size: 272
    .sgpr_count:     79
    .sgpr_spill_count: 0
    .symbol:         _ZN2at6native39vectorized_templated_elementwise_kernelILi8ENS0_13BinaryFunctorIfffZZZNS0_12_GLOBAL__N_132hermite_polynomial_h_kernel_cudaERNS_18TensorIteratorBaseEENKUlvE_clEvENKUlvE0_clEvEUlffE_EESt5arrayIPcLm3EE23TrivialOffsetCalculatorILi2EjESD_ILi1EjENS0_6memory12LoadWithCastILi2EEENSG_13StoreWithCastILi1EEEfJfN3c104HalfEEEEviT0_T1_T2_T3_T4_T5_.kd
    .uniform_work_group_size: 1
    .uses_dynamic_stack: false
    .vgpr_count:     68
    .vgpr_spill_count: 0
    .wavefront_size: 32
    .workgroup_processor_mode: 1
  - .args:
      - .offset:         0
        .size:           4
        .value_kind:     by_value
      - .offset:         4
        .size:           1
        .value_kind:     by_value
      - .offset:         8
        .size:           24
        .value_kind:     by_value
      - .offset:         32
        .size:           1
        .value_kind:     by_value
      - .offset:         33
        .size:           1
        .value_kind:     by_value
      - .offset:         36
        .size:           12
        .value_kind:     by_value
      - .offset:         48
        .size:           8
        .value_kind:     by_value
      - .offset:         56
        .size:           4
        .value_kind:     hidden_block_count_x
      - .offset:         60
        .size:           4
        .value_kind:     hidden_block_count_y
      - .offset:         64
        .size:           4
        .value_kind:     hidden_block_count_z
      - .offset:         68
        .size:           2
        .value_kind:     hidden_group_size_x
      - .offset:         70
        .size:           2
        .value_kind:     hidden_group_size_y
      - .offset:         72
        .size:           2
        .value_kind:     hidden_group_size_z
      - .offset:         74
        .size:           2
        .value_kind:     hidden_remainder_x
      - .offset:         76
        .size:           2
        .value_kind:     hidden_remainder_y
      - .offset:         78
        .size:           2
        .value_kind:     hidden_remainder_z
      - .offset:         96
        .size:           8
        .value_kind:     hidden_global_offset_x
      - .offset:         104
        .size:           8
        .value_kind:     hidden_global_offset_y
      - .offset:         112
        .size:           8
        .value_kind:     hidden_global_offset_z
      - .offset:         120
        .size:           2
        .value_kind:     hidden_grid_dims
    .group_segment_fixed_size: 0
    .kernarg_segment_align: 8
    .kernarg_segment_size: 312
    .language:       OpenCL C
    .language_version:
      - 2
      - 0
    .max_flat_workgroup_size: 512
    .name:           _ZN2at6native39vectorized_templated_elementwise_kernelILi4ENS0_13BinaryFunctorIfffZZZNS0_12_GLOBAL__N_132hermite_polynomial_h_kernel_cudaERNS_18TensorIteratorBaseEENKUlvE_clEvENKUlvE0_clEvEUlffE_EESt5arrayIPcLm3EE23TrivialOffsetCalculatorILi2EjESD_ILi1EjENS0_6memory12LoadWithCastILi2EEENSG_13StoreWithCastILi1EEEfJfN3c104HalfEEEEviT0_T1_T2_T3_T4_T5_
    .private_segment_fixed_size: 272
    .sgpr_count:     79
    .sgpr_spill_count: 0
    .symbol:         _ZN2at6native39vectorized_templated_elementwise_kernelILi4ENS0_13BinaryFunctorIfffZZZNS0_12_GLOBAL__N_132hermite_polynomial_h_kernel_cudaERNS_18TensorIteratorBaseEENKUlvE_clEvENKUlvE0_clEvEUlffE_EESt5arrayIPcLm3EE23TrivialOffsetCalculatorILi2EjESD_ILi1EjENS0_6memory12LoadWithCastILi2EEENSG_13StoreWithCastILi1EEEfJfN3c104HalfEEEEviT0_T1_T2_T3_T4_T5_.kd
    .uniform_work_group_size: 1
    .uses_dynamic_stack: false
    .vgpr_count:     68
    .vgpr_spill_count: 0
    .wavefront_size: 32
    .workgroup_processor_mode: 1
  - .args:
      - .offset:         0
        .size:           4
        .value_kind:     by_value
      - .offset:         4
        .size:           1
        .value_kind:     by_value
      - .offset:         8
        .size:           24
        .value_kind:     by_value
      - .offset:         32
        .size:           1
        .value_kind:     by_value
      - .offset:         33
        .size:           1
        .value_kind:     by_value
      - .offset:         36
        .size:           12
        .value_kind:     by_value
      - .offset:         48
        .size:           8
        .value_kind:     by_value
      - .offset:         56
        .size:           4
        .value_kind:     hidden_block_count_x
      - .offset:         60
        .size:           4
        .value_kind:     hidden_block_count_y
      - .offset:         64
        .size:           4
        .value_kind:     hidden_block_count_z
      - .offset:         68
        .size:           2
        .value_kind:     hidden_group_size_x
      - .offset:         70
        .size:           2
        .value_kind:     hidden_group_size_y
      - .offset:         72
        .size:           2
        .value_kind:     hidden_group_size_z
      - .offset:         74
        .size:           2
        .value_kind:     hidden_remainder_x
      - .offset:         76
        .size:           2
        .value_kind:     hidden_remainder_y
      - .offset:         78
        .size:           2
        .value_kind:     hidden_remainder_z
      - .offset:         96
        .size:           8
        .value_kind:     hidden_global_offset_x
      - .offset:         104
        .size:           8
        .value_kind:     hidden_global_offset_y
      - .offset:         112
        .size:           8
        .value_kind:     hidden_global_offset_z
      - .offset:         120
        .size:           2
        .value_kind:     hidden_grid_dims
    .group_segment_fixed_size: 0
    .kernarg_segment_align: 8
    .kernarg_segment_size: 312
    .language:       OpenCL C
    .language_version:
      - 2
      - 0
    .max_flat_workgroup_size: 512
    .name:           _ZN2at6native39vectorized_templated_elementwise_kernelILi2ENS0_13BinaryFunctorIfffZZZNS0_12_GLOBAL__N_132hermite_polynomial_h_kernel_cudaERNS_18TensorIteratorBaseEENKUlvE_clEvENKUlvE0_clEvEUlffE_EESt5arrayIPcLm3EE23TrivialOffsetCalculatorILi2EjESD_ILi1EjENS0_6memory12LoadWithCastILi2EEENSG_13StoreWithCastILi1EEEfJfN3c104HalfEEEEviT0_T1_T2_T3_T4_T5_
    .private_segment_fixed_size: 272
    .sgpr_count:     79
    .sgpr_spill_count: 0
    .symbol:         _ZN2at6native39vectorized_templated_elementwise_kernelILi2ENS0_13BinaryFunctorIfffZZZNS0_12_GLOBAL__N_132hermite_polynomial_h_kernel_cudaERNS_18TensorIteratorBaseEENKUlvE_clEvENKUlvE0_clEvEUlffE_EESt5arrayIPcLm3EE23TrivialOffsetCalculatorILi2EjESD_ILi1EjENS0_6memory12LoadWithCastILi2EEENSG_13StoreWithCastILi1EEEfJfN3c104HalfEEEEviT0_T1_T2_T3_T4_T5_.kd
    .uniform_work_group_size: 1
    .uses_dynamic_stack: false
    .vgpr_count:     68
    .vgpr_spill_count: 0
    .wavefront_size: 32
    .workgroup_processor_mode: 1
  - .args:
      - .offset:         0
        .size:           4
        .value_kind:     by_value
      - .offset:         4
        .size:           1
        .value_kind:     by_value
      - .offset:         8
        .size:           24
        .value_kind:     by_value
      - .offset:         32
        .size:           1
        .value_kind:     by_value
      - .offset:         33
        .size:           1
        .value_kind:     by_value
      - .offset:         36
        .size:           12
        .value_kind:     by_value
      - .offset:         48
        .size:           8
        .value_kind:     by_value
      - .offset:         56
        .size:           4
        .value_kind:     hidden_block_count_x
      - .offset:         60
        .size:           4
        .value_kind:     hidden_block_count_y
      - .offset:         64
        .size:           4
        .value_kind:     hidden_block_count_z
      - .offset:         68
        .size:           2
        .value_kind:     hidden_group_size_x
      - .offset:         70
        .size:           2
        .value_kind:     hidden_group_size_y
      - .offset:         72
        .size:           2
        .value_kind:     hidden_group_size_z
      - .offset:         74
        .size:           2
        .value_kind:     hidden_remainder_x
      - .offset:         76
        .size:           2
        .value_kind:     hidden_remainder_y
      - .offset:         78
        .size:           2
        .value_kind:     hidden_remainder_z
      - .offset:         96
        .size:           8
        .value_kind:     hidden_global_offset_x
      - .offset:         104
        .size:           8
        .value_kind:     hidden_global_offset_y
      - .offset:         112
        .size:           8
        .value_kind:     hidden_global_offset_z
      - .offset:         120
        .size:           2
        .value_kind:     hidden_grid_dims
    .group_segment_fixed_size: 0
    .kernarg_segment_align: 8
    .kernarg_segment_size: 312
    .language:       OpenCL C
    .language_version:
      - 2
      - 0
    .max_flat_workgroup_size: 512
    .name:           _ZN2at6native39vectorized_templated_elementwise_kernelILi8ENS0_13BinaryFunctorIfffZZZNS0_12_GLOBAL__N_132hermite_polynomial_h_kernel_cudaERNS_18TensorIteratorBaseEENKUlvE_clEvENKUlvE0_clEvEUlffE_EESt5arrayIPcLm3EE23TrivialOffsetCalculatorILi2EjESD_ILi1EjENS0_6memory12LoadWithCastILi2EEENSG_13StoreWithCastILi1EEEfJN3c104HalfEfEEEviT0_T1_T2_T3_T4_T5_
    .private_segment_fixed_size: 272
    .sgpr_count:     79
    .sgpr_spill_count: 0
    .symbol:         _ZN2at6native39vectorized_templated_elementwise_kernelILi8ENS0_13BinaryFunctorIfffZZZNS0_12_GLOBAL__N_132hermite_polynomial_h_kernel_cudaERNS_18TensorIteratorBaseEENKUlvE_clEvENKUlvE0_clEvEUlffE_EESt5arrayIPcLm3EE23TrivialOffsetCalculatorILi2EjESD_ILi1EjENS0_6memory12LoadWithCastILi2EEENSG_13StoreWithCastILi1EEEfJN3c104HalfEfEEEviT0_T1_T2_T3_T4_T5_.kd
    .uniform_work_group_size: 1
    .uses_dynamic_stack: false
    .vgpr_count:     68
    .vgpr_spill_count: 0
    .wavefront_size: 32
    .workgroup_processor_mode: 1
  - .args:
      - .offset:         0
        .size:           4
        .value_kind:     by_value
      - .offset:         4
        .size:           1
        .value_kind:     by_value
      - .offset:         8
        .size:           24
        .value_kind:     by_value
      - .offset:         32
        .size:           1
        .value_kind:     by_value
      - .offset:         33
        .size:           1
        .value_kind:     by_value
      - .offset:         36
        .size:           12
        .value_kind:     by_value
      - .offset:         48
        .size:           8
        .value_kind:     by_value
      - .offset:         56
        .size:           4
        .value_kind:     hidden_block_count_x
      - .offset:         60
        .size:           4
        .value_kind:     hidden_block_count_y
      - .offset:         64
        .size:           4
        .value_kind:     hidden_block_count_z
      - .offset:         68
        .size:           2
        .value_kind:     hidden_group_size_x
      - .offset:         70
        .size:           2
        .value_kind:     hidden_group_size_y
      - .offset:         72
        .size:           2
        .value_kind:     hidden_group_size_z
      - .offset:         74
        .size:           2
        .value_kind:     hidden_remainder_x
      - .offset:         76
        .size:           2
        .value_kind:     hidden_remainder_y
      - .offset:         78
        .size:           2
        .value_kind:     hidden_remainder_z
      - .offset:         96
        .size:           8
        .value_kind:     hidden_global_offset_x
      - .offset:         104
        .size:           8
        .value_kind:     hidden_global_offset_y
      - .offset:         112
        .size:           8
        .value_kind:     hidden_global_offset_z
      - .offset:         120
        .size:           2
        .value_kind:     hidden_grid_dims
    .group_segment_fixed_size: 0
    .kernarg_segment_align: 8
    .kernarg_segment_size: 312
    .language:       OpenCL C
    .language_version:
      - 2
      - 0
    .max_flat_workgroup_size: 512
    .name:           _ZN2at6native39vectorized_templated_elementwise_kernelILi4ENS0_13BinaryFunctorIfffZZZNS0_12_GLOBAL__N_132hermite_polynomial_h_kernel_cudaERNS_18TensorIteratorBaseEENKUlvE_clEvENKUlvE0_clEvEUlffE_EESt5arrayIPcLm3EE23TrivialOffsetCalculatorILi2EjESD_ILi1EjENS0_6memory12LoadWithCastILi2EEENSG_13StoreWithCastILi1EEEfJN3c104HalfEfEEEviT0_T1_T2_T3_T4_T5_
    .private_segment_fixed_size: 272
    .sgpr_count:     79
    .sgpr_spill_count: 0
    .symbol:         _ZN2at6native39vectorized_templated_elementwise_kernelILi4ENS0_13BinaryFunctorIfffZZZNS0_12_GLOBAL__N_132hermite_polynomial_h_kernel_cudaERNS_18TensorIteratorBaseEENKUlvE_clEvENKUlvE0_clEvEUlffE_EESt5arrayIPcLm3EE23TrivialOffsetCalculatorILi2EjESD_ILi1EjENS0_6memory12LoadWithCastILi2EEENSG_13StoreWithCastILi1EEEfJN3c104HalfEfEEEviT0_T1_T2_T3_T4_T5_.kd
    .uniform_work_group_size: 1
    .uses_dynamic_stack: false
    .vgpr_count:     68
    .vgpr_spill_count: 0
    .wavefront_size: 32
    .workgroup_processor_mode: 1
  - .args:
      - .offset:         0
        .size:           4
        .value_kind:     by_value
      - .offset:         4
        .size:           1
        .value_kind:     by_value
      - .offset:         8
        .size:           24
        .value_kind:     by_value
      - .offset:         32
        .size:           1
        .value_kind:     by_value
      - .offset:         33
        .size:           1
        .value_kind:     by_value
      - .offset:         36
        .size:           12
        .value_kind:     by_value
      - .offset:         48
        .size:           8
        .value_kind:     by_value
      - .offset:         56
        .size:           4
        .value_kind:     hidden_block_count_x
      - .offset:         60
        .size:           4
        .value_kind:     hidden_block_count_y
      - .offset:         64
        .size:           4
        .value_kind:     hidden_block_count_z
      - .offset:         68
        .size:           2
        .value_kind:     hidden_group_size_x
      - .offset:         70
        .size:           2
        .value_kind:     hidden_group_size_y
      - .offset:         72
        .size:           2
        .value_kind:     hidden_group_size_z
      - .offset:         74
        .size:           2
        .value_kind:     hidden_remainder_x
      - .offset:         76
        .size:           2
        .value_kind:     hidden_remainder_y
      - .offset:         78
        .size:           2
        .value_kind:     hidden_remainder_z
      - .offset:         96
        .size:           8
        .value_kind:     hidden_global_offset_x
      - .offset:         104
        .size:           8
        .value_kind:     hidden_global_offset_y
      - .offset:         112
        .size:           8
        .value_kind:     hidden_global_offset_z
      - .offset:         120
        .size:           2
        .value_kind:     hidden_grid_dims
    .group_segment_fixed_size: 0
    .kernarg_segment_align: 8
    .kernarg_segment_size: 312
    .language:       OpenCL C
    .language_version:
      - 2
      - 0
    .max_flat_workgroup_size: 512
    .name:           _ZN2at6native39vectorized_templated_elementwise_kernelILi2ENS0_13BinaryFunctorIfffZZZNS0_12_GLOBAL__N_132hermite_polynomial_h_kernel_cudaERNS_18TensorIteratorBaseEENKUlvE_clEvENKUlvE0_clEvEUlffE_EESt5arrayIPcLm3EE23TrivialOffsetCalculatorILi2EjESD_ILi1EjENS0_6memory12LoadWithCastILi2EEENSG_13StoreWithCastILi1EEEfJN3c104HalfEfEEEviT0_T1_T2_T3_T4_T5_
    .private_segment_fixed_size: 272
    .sgpr_count:     79
    .sgpr_spill_count: 0
    .symbol:         _ZN2at6native39vectorized_templated_elementwise_kernelILi2ENS0_13BinaryFunctorIfffZZZNS0_12_GLOBAL__N_132hermite_polynomial_h_kernel_cudaERNS_18TensorIteratorBaseEENKUlvE_clEvENKUlvE0_clEvEUlffE_EESt5arrayIPcLm3EE23TrivialOffsetCalculatorILi2EjESD_ILi1EjENS0_6memory12LoadWithCastILi2EEENSG_13StoreWithCastILi1EEEfJN3c104HalfEfEEEviT0_T1_T2_T3_T4_T5_.kd
    .uniform_work_group_size: 1
    .uses_dynamic_stack: false
    .vgpr_count:     68
    .vgpr_spill_count: 0
    .wavefront_size: 32
    .workgroup_processor_mode: 1
  - .args:
      - .offset:         0
        .size:           4
        .value_kind:     by_value
      - .offset:         4
        .size:           1
        .value_kind:     by_value
      - .offset:         8
        .size:           24
        .value_kind:     by_value
      - .offset:         32
        .size:           1
        .value_kind:     by_value
      - .offset:         33
        .size:           1
        .value_kind:     by_value
      - .offset:         36
        .size:           12
        .value_kind:     by_value
      - .offset:         48
        .size:           8
        .value_kind:     by_value
      - .offset:         56
        .size:           4
        .value_kind:     hidden_block_count_x
      - .offset:         60
        .size:           4
        .value_kind:     hidden_block_count_y
      - .offset:         64
        .size:           4
        .value_kind:     hidden_block_count_z
      - .offset:         68
        .size:           2
        .value_kind:     hidden_group_size_x
      - .offset:         70
        .size:           2
        .value_kind:     hidden_group_size_y
      - .offset:         72
        .size:           2
        .value_kind:     hidden_group_size_z
      - .offset:         74
        .size:           2
        .value_kind:     hidden_remainder_x
      - .offset:         76
        .size:           2
        .value_kind:     hidden_remainder_y
      - .offset:         78
        .size:           2
        .value_kind:     hidden_remainder_z
      - .offset:         96
        .size:           8
        .value_kind:     hidden_global_offset_x
      - .offset:         104
        .size:           8
        .value_kind:     hidden_global_offset_y
      - .offset:         112
        .size:           8
        .value_kind:     hidden_global_offset_z
      - .offset:         120
        .size:           2
        .value_kind:     hidden_grid_dims
    .group_segment_fixed_size: 0
    .kernarg_segment_align: 8
    .kernarg_segment_size: 312
    .language:       OpenCL C
    .language_version:
      - 2
      - 0
    .max_flat_workgroup_size: 512
    .name:           _ZN2at6native39vectorized_templated_elementwise_kernelILi8ENS0_13BinaryFunctorIfffZZZNS0_12_GLOBAL__N_132hermite_polynomial_h_kernel_cudaERNS_18TensorIteratorBaseEENKUlvE_clEvENKUlvE0_clEvEUlffE_EESt5arrayIPcLm3EE23TrivialOffsetCalculatorILi2EjESD_ILi1EjENS0_6memory12LoadWithCastILi2EEENSG_13StoreWithCastILi1EEEN3c104HalfEJSM_fEEEviT0_T1_T2_T3_T4_T5_
    .private_segment_fixed_size: 272
    .sgpr_count:     79
    .sgpr_spill_count: 0
    .symbol:         _ZN2at6native39vectorized_templated_elementwise_kernelILi8ENS0_13BinaryFunctorIfffZZZNS0_12_GLOBAL__N_132hermite_polynomial_h_kernel_cudaERNS_18TensorIteratorBaseEENKUlvE_clEvENKUlvE0_clEvEUlffE_EESt5arrayIPcLm3EE23TrivialOffsetCalculatorILi2EjESD_ILi1EjENS0_6memory12LoadWithCastILi2EEENSG_13StoreWithCastILi1EEEN3c104HalfEJSM_fEEEviT0_T1_T2_T3_T4_T5_.kd
    .uniform_work_group_size: 1
    .uses_dynamic_stack: false
    .vgpr_count:     68
    .vgpr_spill_count: 0
    .wavefront_size: 32
    .workgroup_processor_mode: 1
  - .args:
      - .offset:         0
        .size:           4
        .value_kind:     by_value
      - .offset:         4
        .size:           1
        .value_kind:     by_value
      - .offset:         8
        .size:           24
        .value_kind:     by_value
      - .offset:         32
        .size:           1
        .value_kind:     by_value
      - .offset:         33
        .size:           1
        .value_kind:     by_value
      - .offset:         36
        .size:           12
        .value_kind:     by_value
      - .offset:         48
        .size:           8
        .value_kind:     by_value
      - .offset:         56
        .size:           4
        .value_kind:     hidden_block_count_x
      - .offset:         60
        .size:           4
        .value_kind:     hidden_block_count_y
      - .offset:         64
        .size:           4
        .value_kind:     hidden_block_count_z
      - .offset:         68
        .size:           2
        .value_kind:     hidden_group_size_x
      - .offset:         70
        .size:           2
        .value_kind:     hidden_group_size_y
      - .offset:         72
        .size:           2
        .value_kind:     hidden_group_size_z
      - .offset:         74
        .size:           2
        .value_kind:     hidden_remainder_x
      - .offset:         76
        .size:           2
        .value_kind:     hidden_remainder_y
      - .offset:         78
        .size:           2
        .value_kind:     hidden_remainder_z
      - .offset:         96
        .size:           8
        .value_kind:     hidden_global_offset_x
      - .offset:         104
        .size:           8
        .value_kind:     hidden_global_offset_y
      - .offset:         112
        .size:           8
        .value_kind:     hidden_global_offset_z
      - .offset:         120
        .size:           2
        .value_kind:     hidden_grid_dims
    .group_segment_fixed_size: 0
    .kernarg_segment_align: 8
    .kernarg_segment_size: 312
    .language:       OpenCL C
    .language_version:
      - 2
      - 0
    .max_flat_workgroup_size: 512
    .name:           _ZN2at6native39vectorized_templated_elementwise_kernelILi4ENS0_13BinaryFunctorIfffZZZNS0_12_GLOBAL__N_132hermite_polynomial_h_kernel_cudaERNS_18TensorIteratorBaseEENKUlvE_clEvENKUlvE0_clEvEUlffE_EESt5arrayIPcLm3EE23TrivialOffsetCalculatorILi2EjESD_ILi1EjENS0_6memory12LoadWithCastILi2EEENSG_13StoreWithCastILi1EEEN3c104HalfEJSM_fEEEviT0_T1_T2_T3_T4_T5_
    .private_segment_fixed_size: 272
    .sgpr_count:     79
    .sgpr_spill_count: 0
    .symbol:         _ZN2at6native39vectorized_templated_elementwise_kernelILi4ENS0_13BinaryFunctorIfffZZZNS0_12_GLOBAL__N_132hermite_polynomial_h_kernel_cudaERNS_18TensorIteratorBaseEENKUlvE_clEvENKUlvE0_clEvEUlffE_EESt5arrayIPcLm3EE23TrivialOffsetCalculatorILi2EjESD_ILi1EjENS0_6memory12LoadWithCastILi2EEENSG_13StoreWithCastILi1EEEN3c104HalfEJSM_fEEEviT0_T1_T2_T3_T4_T5_.kd
    .uniform_work_group_size: 1
    .uses_dynamic_stack: false
    .vgpr_count:     68
    .vgpr_spill_count: 0
    .wavefront_size: 32
    .workgroup_processor_mode: 1
  - .args:
      - .offset:         0
        .size:           4
        .value_kind:     by_value
      - .offset:         4
        .size:           1
        .value_kind:     by_value
      - .offset:         8
        .size:           24
        .value_kind:     by_value
      - .offset:         32
        .size:           1
        .value_kind:     by_value
      - .offset:         33
        .size:           1
        .value_kind:     by_value
      - .offset:         36
        .size:           12
        .value_kind:     by_value
      - .offset:         48
        .size:           8
        .value_kind:     by_value
      - .offset:         56
        .size:           4
        .value_kind:     hidden_block_count_x
      - .offset:         60
        .size:           4
        .value_kind:     hidden_block_count_y
      - .offset:         64
        .size:           4
        .value_kind:     hidden_block_count_z
      - .offset:         68
        .size:           2
        .value_kind:     hidden_group_size_x
      - .offset:         70
        .size:           2
        .value_kind:     hidden_group_size_y
      - .offset:         72
        .size:           2
        .value_kind:     hidden_group_size_z
      - .offset:         74
        .size:           2
        .value_kind:     hidden_remainder_x
      - .offset:         76
        .size:           2
        .value_kind:     hidden_remainder_y
      - .offset:         78
        .size:           2
        .value_kind:     hidden_remainder_z
      - .offset:         96
        .size:           8
        .value_kind:     hidden_global_offset_x
      - .offset:         104
        .size:           8
        .value_kind:     hidden_global_offset_y
      - .offset:         112
        .size:           8
        .value_kind:     hidden_global_offset_z
      - .offset:         120
        .size:           2
        .value_kind:     hidden_grid_dims
    .group_segment_fixed_size: 0
    .kernarg_segment_align: 8
    .kernarg_segment_size: 312
    .language:       OpenCL C
    .language_version:
      - 2
      - 0
    .max_flat_workgroup_size: 512
    .name:           _ZN2at6native39vectorized_templated_elementwise_kernelILi2ENS0_13BinaryFunctorIfffZZZNS0_12_GLOBAL__N_132hermite_polynomial_h_kernel_cudaERNS_18TensorIteratorBaseEENKUlvE_clEvENKUlvE0_clEvEUlffE_EESt5arrayIPcLm3EE23TrivialOffsetCalculatorILi2EjESD_ILi1EjENS0_6memory12LoadWithCastILi2EEENSG_13StoreWithCastILi1EEEN3c104HalfEJSM_fEEEviT0_T1_T2_T3_T4_T5_
    .private_segment_fixed_size: 272
    .sgpr_count:     79
    .sgpr_spill_count: 0
    .symbol:         _ZN2at6native39vectorized_templated_elementwise_kernelILi2ENS0_13BinaryFunctorIfffZZZNS0_12_GLOBAL__N_132hermite_polynomial_h_kernel_cudaERNS_18TensorIteratorBaseEENKUlvE_clEvENKUlvE0_clEvEUlffE_EESt5arrayIPcLm3EE23TrivialOffsetCalculatorILi2EjESD_ILi1EjENS0_6memory12LoadWithCastILi2EEENSG_13StoreWithCastILi1EEEN3c104HalfEJSM_fEEEviT0_T1_T2_T3_T4_T5_.kd
    .uniform_work_group_size: 1
    .uses_dynamic_stack: false
    .vgpr_count:     68
    .vgpr_spill_count: 0
    .wavefront_size: 32
    .workgroup_processor_mode: 1
  - .args:
      - .offset:         0
        .size:           4
        .value_kind:     by_value
      - .offset:         8
        .size:           40
        .value_kind:     by_value
    .group_segment_fixed_size: 0
    .kernarg_segment_align: 8
    .kernarg_segment_size: 48
    .language:       OpenCL C
    .language_version:
      - 2
      - 0
    .max_flat_workgroup_size: 128
    .name:           _ZN2at6native32elementwise_kernel_manual_unrollILi128ELi4EZNS0_15gpu_kernel_implINS0_13BinaryFunctorIfffZZZNS0_12_GLOBAL__N_132hermite_polynomial_h_kernel_cudaERNS_18TensorIteratorBaseEENKUlvE_clEvENKUlvE0_clEvEUlffE_EEEEvS6_RKT_EUlibE_EEviT1_
    .private_segment_fixed_size: 0
    .sgpr_count:     36
    .sgpr_spill_count: 0
    .symbol:         _ZN2at6native32elementwise_kernel_manual_unrollILi128ELi4EZNS0_15gpu_kernel_implINS0_13BinaryFunctorIfffZZZNS0_12_GLOBAL__N_132hermite_polynomial_h_kernel_cudaERNS_18TensorIteratorBaseEENKUlvE_clEvENKUlvE0_clEvEUlffE_EEEEvS6_RKT_EUlibE_EEviT1_.kd
    .uniform_work_group_size: 1
    .uses_dynamic_stack: false
    .vgpr_count:     16
    .vgpr_spill_count: 0
    .wavefront_size: 32
    .workgroup_processor_mode: 1
  - .args:
      - .offset:         0
        .size:           4
        .value_kind:     by_value
      - .offset:         8
        .size:           424
        .value_kind:     by_value
    .group_segment_fixed_size: 0
    .kernarg_segment_align: 8
    .kernarg_segment_size: 432
    .language:       OpenCL C
    .language_version:
      - 2
      - 0
    .max_flat_workgroup_size: 128
    .name:           _ZN2at6native32elementwise_kernel_manual_unrollILi128ELi4EZNS0_12_GLOBAL__N_142type_specialized_broadcast_kernel_launcherILi0EE5applyINS0_13BinaryFunctorIfffZZZNS2_32hermite_polynomial_h_kernel_cudaERNS_18TensorIteratorBaseEENKUlvE_clEvENKUlvE0_clEvEUlffE_EESt5arrayIPcLm3EESD_IN3c1010ScalarTypeELm3EE16OffsetCalculatorILi3EjLb0EEEEvlT_T0_T1_T2_EUlibE_EEviSN_
    .private_segment_fixed_size: 0
    .sgpr_count:     46
    .sgpr_spill_count: 0
    .symbol:         _ZN2at6native32elementwise_kernel_manual_unrollILi128ELi4EZNS0_12_GLOBAL__N_142type_specialized_broadcast_kernel_launcherILi0EE5applyINS0_13BinaryFunctorIfffZZZNS2_32hermite_polynomial_h_kernel_cudaERNS_18TensorIteratorBaseEENKUlvE_clEvENKUlvE0_clEvEUlffE_EESt5arrayIPcLm3EESD_IN3c1010ScalarTypeELm3EE16OffsetCalculatorILi3EjLb0EEEEvlT_T0_T1_T2_EUlibE_EEviSN_.kd
    .uniform_work_group_size: 1
    .uses_dynamic_stack: false
    .vgpr_count:     20
    .vgpr_spill_count: 0
    .wavefront_size: 32
    .workgroup_processor_mode: 1
  - .args:
      - .offset:         0
        .size:           4
        .value_kind:     by_value
      - .offset:         8
        .size:           424
        .value_kind:     by_value
    .group_segment_fixed_size: 0
    .kernarg_segment_align: 8
    .kernarg_segment_size: 432
    .language:       OpenCL C
    .language_version:
      - 2
      - 0
    .max_flat_workgroup_size: 128
    .name:           _ZN2at6native32elementwise_kernel_manual_unrollILi128ELi4EZNS0_12_GLOBAL__N_142type_specialized_broadcast_kernel_launcherILi1EE5applyINS0_13BinaryFunctorIfffZZZNS2_32hermite_polynomial_h_kernel_cudaERNS_18TensorIteratorBaseEENKUlvE_clEvENKUlvE0_clEvEUlffE_EESt5arrayIPcLm3EESD_IN3c1010ScalarTypeELm3EE16OffsetCalculatorILi3EjLb0EEEEvlT_T0_T1_T2_EUlibE_EEviSN_
    .private_segment_fixed_size: 0
    .sgpr_count:     46
    .sgpr_spill_count: 0
    .symbol:         _ZN2at6native32elementwise_kernel_manual_unrollILi128ELi4EZNS0_12_GLOBAL__N_142type_specialized_broadcast_kernel_launcherILi1EE5applyINS0_13BinaryFunctorIfffZZZNS2_32hermite_polynomial_h_kernel_cudaERNS_18TensorIteratorBaseEENKUlvE_clEvENKUlvE0_clEvEUlffE_EESt5arrayIPcLm3EESD_IN3c1010ScalarTypeELm3EE16OffsetCalculatorILi3EjLb0EEEEvlT_T0_T1_T2_EUlibE_EEviSN_.kd
    .uniform_work_group_size: 1
    .uses_dynamic_stack: false
    .vgpr_count:     20
    .vgpr_spill_count: 0
    .wavefront_size: 32
    .workgroup_processor_mode: 1
  - .args:
      - .offset:         0
        .size:           4
        .value_kind:     by_value
      - .offset:         8
        .size:           424
        .value_kind:     by_value
    .group_segment_fixed_size: 0
    .kernarg_segment_align: 8
    .kernarg_segment_size: 432
    .language:       OpenCL C
    .language_version:
      - 2
      - 0
    .max_flat_workgroup_size: 128
    .name:           _ZN2at6native32elementwise_kernel_manual_unrollILi128ELi4EZNS0_12_GLOBAL__N_142type_specialized_broadcast_kernel_launcherILi2EE5applyINS0_13BinaryFunctorIfffZZZNS2_32hermite_polynomial_h_kernel_cudaERNS_18TensorIteratorBaseEENKUlvE_clEvENKUlvE0_clEvEUlffE_EESt5arrayIPcLm3EESD_IN3c1010ScalarTypeELm3EE16OffsetCalculatorILi3EjLb0EEEEvlT_T0_T1_T2_EUlibE_EEviSN_
    .private_segment_fixed_size: 0
    .sgpr_count:     46
    .sgpr_spill_count: 0
    .symbol:         _ZN2at6native32elementwise_kernel_manual_unrollILi128ELi4EZNS0_12_GLOBAL__N_142type_specialized_broadcast_kernel_launcherILi2EE5applyINS0_13BinaryFunctorIfffZZZNS2_32hermite_polynomial_h_kernel_cudaERNS_18TensorIteratorBaseEENKUlvE_clEvENKUlvE0_clEvEUlffE_EESt5arrayIPcLm3EESD_IN3c1010ScalarTypeELm3EE16OffsetCalculatorILi3EjLb0EEEEvlT_T0_T1_T2_EUlibE_EEviSN_.kd
    .uniform_work_group_size: 1
    .uses_dynamic_stack: false
    .vgpr_count:     20
    .vgpr_spill_count: 0
    .wavefront_size: 32
    .workgroup_processor_mode: 1
  - .args:
      - .offset:         0
        .size:           4
        .value_kind:     by_value
      - .offset:         8
        .size:           424
        .value_kind:     by_value
    .group_segment_fixed_size: 0
    .kernarg_segment_align: 8
    .kernarg_segment_size: 432
    .language:       OpenCL C
    .language_version:
      - 2
      - 0
    .max_flat_workgroup_size: 128
    .name:           _ZN2at6native32elementwise_kernel_manual_unrollILi128ELi4EZNS0_12_GLOBAL__N_142type_specialized_broadcast_kernel_launcherILi3EE5applyINS0_13BinaryFunctorIfffZZZNS2_32hermite_polynomial_h_kernel_cudaERNS_18TensorIteratorBaseEENKUlvE_clEvENKUlvE0_clEvEUlffE_EESt5arrayIPcLm3EESD_IN3c1010ScalarTypeELm3EE16OffsetCalculatorILi3EjLb0EEEEvlT_T0_T1_T2_EUlibE_EEviSN_
    .private_segment_fixed_size: 0
    .sgpr_count:     46
    .sgpr_spill_count: 0
    .symbol:         _ZN2at6native32elementwise_kernel_manual_unrollILi128ELi4EZNS0_12_GLOBAL__N_142type_specialized_broadcast_kernel_launcherILi3EE5applyINS0_13BinaryFunctorIfffZZZNS2_32hermite_polynomial_h_kernel_cudaERNS_18TensorIteratorBaseEENKUlvE_clEvENKUlvE0_clEvEUlffE_EESt5arrayIPcLm3EESD_IN3c1010ScalarTypeELm3EE16OffsetCalculatorILi3EjLb0EEEEvlT_T0_T1_T2_EUlibE_EEviSN_.kd
    .uniform_work_group_size: 1
    .uses_dynamic_stack: false
    .vgpr_count:     20
    .vgpr_spill_count: 0
    .wavefront_size: 32
    .workgroup_processor_mode: 1
  - .args:
      - .offset:         0
        .size:           4
        .value_kind:     by_value
      - .offset:         8
        .size:           424
        .value_kind:     by_value
    .group_segment_fixed_size: 0
    .kernarg_segment_align: 8
    .kernarg_segment_size: 432
    .language:       OpenCL C
    .language_version:
      - 2
      - 0
    .max_flat_workgroup_size: 128
    .name:           _ZN2at6native32elementwise_kernel_manual_unrollILi128ELi4EZNS0_12_GLOBAL__N_142type_specialized_broadcast_kernel_launcherILi4EE5applyINS0_13BinaryFunctorIfffZZZNS2_32hermite_polynomial_h_kernel_cudaERNS_18TensorIteratorBaseEENKUlvE_clEvENKUlvE0_clEvEUlffE_EESt5arrayIPcLm3EESD_IN3c1010ScalarTypeELm3EE16OffsetCalculatorILi3EjLb0EEEEvlT_T0_T1_T2_EUlibE_EEviSN_
    .private_segment_fixed_size: 0
    .sgpr_count:     46
    .sgpr_spill_count: 0
    .symbol:         _ZN2at6native32elementwise_kernel_manual_unrollILi128ELi4EZNS0_12_GLOBAL__N_142type_specialized_broadcast_kernel_launcherILi4EE5applyINS0_13BinaryFunctorIfffZZZNS2_32hermite_polynomial_h_kernel_cudaERNS_18TensorIteratorBaseEENKUlvE_clEvENKUlvE0_clEvEUlffE_EESt5arrayIPcLm3EESD_IN3c1010ScalarTypeELm3EE16OffsetCalculatorILi3EjLb0EEEEvlT_T0_T1_T2_EUlibE_EEviSN_.kd
    .uniform_work_group_size: 1
    .uses_dynamic_stack: false
    .vgpr_count:     20
    .vgpr_spill_count: 0
    .wavefront_size: 32
    .workgroup_processor_mode: 1
  - .args:
      - .offset:         0
        .size:           4
        .value_kind:     by_value
      - .offset:         8
        .size:           424
        .value_kind:     by_value
    .group_segment_fixed_size: 0
    .kernarg_segment_align: 8
    .kernarg_segment_size: 432
    .language:       OpenCL C
    .language_version:
      - 2
      - 0
    .max_flat_workgroup_size: 128
    .name:           _ZN2at6native32elementwise_kernel_manual_unrollILi128ELi4EZNS0_12_GLOBAL__N_142type_specialized_broadcast_kernel_launcherILi5EE5applyINS0_13BinaryFunctorIfffZZZNS2_32hermite_polynomial_h_kernel_cudaERNS_18TensorIteratorBaseEENKUlvE_clEvENKUlvE0_clEvEUlffE_EESt5arrayIPcLm3EESD_IN3c1010ScalarTypeELm3EE16OffsetCalculatorILi3EjLb0EEEEvlT_T0_T1_T2_EUlibE_EEviSN_
    .private_segment_fixed_size: 0
    .sgpr_count:     46
    .sgpr_spill_count: 0
    .symbol:         _ZN2at6native32elementwise_kernel_manual_unrollILi128ELi4EZNS0_12_GLOBAL__N_142type_specialized_broadcast_kernel_launcherILi5EE5applyINS0_13BinaryFunctorIfffZZZNS2_32hermite_polynomial_h_kernel_cudaERNS_18TensorIteratorBaseEENKUlvE_clEvENKUlvE0_clEvEUlffE_EESt5arrayIPcLm3EESD_IN3c1010ScalarTypeELm3EE16OffsetCalculatorILi3EjLb0EEEEvlT_T0_T1_T2_EUlibE_EEviSN_.kd
    .uniform_work_group_size: 1
    .uses_dynamic_stack: false
    .vgpr_count:     20
    .vgpr_spill_count: 0
    .wavefront_size: 32
    .workgroup_processor_mode: 1
  - .args:
      - .offset:         0
        .size:           4
        .value_kind:     by_value
      - .offset:         8
        .size:           424
        .value_kind:     by_value
    .group_segment_fixed_size: 0
    .kernarg_segment_align: 8
    .kernarg_segment_size: 432
    .language:       OpenCL C
    .language_version:
      - 2
      - 0
    .max_flat_workgroup_size: 128
    .name:           _ZN2at6native32elementwise_kernel_manual_unrollILi128ELi4EZNS0_15gpu_kernel_implINS0_13BinaryFunctorIfffZZZNS0_12_GLOBAL__N_132hermite_polynomial_h_kernel_cudaERNS_18TensorIteratorBaseEENKUlvE_clEvENKUlvE0_clEvEUlffE_EEEEvS6_RKT_EUlibE0_EEviT1_
    .private_segment_fixed_size: 0
    .sgpr_count:     60
    .sgpr_spill_count: 0
    .symbol:         _ZN2at6native32elementwise_kernel_manual_unrollILi128ELi4EZNS0_15gpu_kernel_implINS0_13BinaryFunctorIfffZZZNS0_12_GLOBAL__N_132hermite_polynomial_h_kernel_cudaERNS_18TensorIteratorBaseEENKUlvE_clEvENKUlvE0_clEvEUlffE_EEEEvS6_RKT_EUlibE0_EEviT1_.kd
    .uniform_work_group_size: 1
    .uses_dynamic_stack: false
    .vgpr_count:     20
    .vgpr_spill_count: 0
    .wavefront_size: 32
    .workgroup_processor_mode: 1
amdhsa.target:   amdgcn-amd-amdhsa--gfx1100
amdhsa.version:
  - 1
  - 2
...

	.end_amdgpu_metadata
